;; amdgpu-corpus repo=ggml-org/llama.cpp kind=compiled arch=gfx942 opt=O3
	.text
	.amdgcn_target "amdgcn-amd-amdhsa--gfx942"
	.amdhsa_code_object_version 6
	.section	.text._ZL17mul_mat_vec_q_moeIL9ggml_type41ELi2EEvPKvS2_PKiPfj15HIP_vector_typeIjLj3EEjjjjjjjjj,"axG",@progbits,_ZL17mul_mat_vec_q_moeIL9ggml_type41ELi2EEvPKvS2_PKiPfj15HIP_vector_typeIjLj3EEjjjjjjjjj,comdat
	.globl	_ZL17mul_mat_vec_q_moeIL9ggml_type41ELi2EEvPKvS2_PKiPfj15HIP_vector_typeIjLj3EEjjjjjjjjj ; -- Begin function _ZL17mul_mat_vec_q_moeIL9ggml_type41ELi2EEvPKvS2_PKiPfj15HIP_vector_typeIjLj3EEjjjjjjjjj
	.p2align	8
	.type	_ZL17mul_mat_vec_q_moeIL9ggml_type41ELi2EEvPKvS2_PKiPfj15HIP_vector_typeIjLj3EEjjjjjjjjj,@function
_ZL17mul_mat_vec_q_moeIL9ggml_type41ELi2EEvPKvS2_PKiPfj15HIP_vector_typeIjLj3EEjjjjjjjjj: ; @_ZL17mul_mat_vec_q_moeIL9ggml_type41ELi2EEvPKvS2_PKiPfj15HIP_vector_typeIjLj3EEjjjjjjjjj
; %bb.0:
	s_load_dwordx8 s[16:23], s[0:1], 0x30
	v_bfe_u32 v14, v0, 10, 10
	s_waitcnt lgkmcnt(0)
	v_cmp_gt_u32_e32 vcc, s23, v14
	s_and_saveexec_b64 s[4:5], vcc
	s_cbranch_execz .LBB0_7
; %bb.1:
	s_load_dword s5, s[0:1], 0x20
	s_load_dword s4, s[0:1], 0x50
	s_load_dwordx8 s[24:31], s[0:1], 0x0
	v_and_b32_e32 v15, 0x3ff, v0
	v_lshrrev_b32_e32 v16, 2, v15
	s_waitcnt lgkmcnt(0)
	s_lshr_b32 s23, s5, 7
	v_mov_b32_e32 v9, 0
	s_lshl_b32 s2, s2, 1
	v_cmp_gt_u32_e32 vcc, s23, v16
	v_mov_b32_e32 v8, v9
	s_and_saveexec_b64 s[14:15], vcc
	s_cbranch_execz .LBB0_5
; %bb.2:
	v_mul_lo_u32 v2, v14, s4
	v_mov_b32_e32 v0, s28
	v_mov_b32_e32 v1, s29
	v_add_u32_e32 v10, s3, v2
	v_mov_b32_e32 v11, 0
	v_lshl_add_u64 v[0:1], v[10:11], 2, v[0:1]
	global_load_dword v2, v[0:1], off
	s_load_dwordx4 s[4:7], s[0:1], 0x24
	v_mul_lo_u32 v0, v14, s18
	s_add_i32 s0, s2, 1
	v_lshrrev_b32_e32 v4, 2, v15
	s_movk_i32 s8, 0x90
	s_mul_i32 s9, s17, s0
	v_mad_u64_u32 v[0:1], s[0:1], v0, 36, 0
	v_mad_u64_u32 v[0:1], s[0:1], v4, s8, v[0:1]
	s_waitcnt lgkmcnt(0)
	s_mul_hi_u32 s0, s4, s3
	s_add_i32 s0, s3, s0
	s_lshr_b32 s0, s0, s5
	s_mul_i32 s0, s0, s6
	s_sub_i32 s0, s3, s0
	s_mul_i32 s0, s0, s21
	v_and_b32_e32 v3, 3, v15
	v_mad_u64_u32 v[0:1], s[0:1], s0, 36, v[0:1]
	v_mad_u64_u32 v[0:1], s[0:1], v3, 36, v[0:1]
	v_lshl_add_u64 v[0:1], v[0:1], 0, s[26:27]
	s_mul_i32 s7, s2, s17
	v_lshl_add_u64 v[12:13], v[0:1], 0, 32
	s_mov_b64 s[28:29], 0
	v_mov_b32_e32 v17, 0xff
	v_mov_b32_e32 v18, 0x100
	;; [unrolled: 1-line block ×7, first 2 shown]
	s_mov_b64 s[34:35], 0x900
	v_mov_b32_e32 v24, -1
	v_mov_b32_e32 v8, v11
	v_lshlrev_b32_e32 v10, 2, v3
	v_mov_b32_e32 v9, v11
	s_waitcnt vmcnt(0)
	v_mul_lo_u32 v0, v2, s20
	v_add_u32_e32 v25, s7, v0
	v_add_u32_e32 v26, s9, v0
.LBB0_3:                                ; =>This Inner Loop Header: Depth=1
	v_add_u32_e32 v28, v25, v16
	v_add_u32_e32 v30, v26, v16
	v_mad_i64_i32 v[28:29], s[0:1], v28, 18, s[24:25]
	v_mad_i64_i32 v[30:31], s[0:1], v30, 18, s[24:25]
	global_load_dword v27, v[12:13], off
	global_load_dwordx4 v[0:3], v[12:13], off offset:-16
	global_load_dwordx4 v[4:7], v[12:13], off offset:-32
	v_lshl_add_u64 v[32:33], v[28:29], 0, v[10:11]
	v_lshl_add_u64 v[34:35], v[30:31], 0, v[10:11]
	global_load_ushort v38, v[28:29], off
	global_load_dword v39, v[32:33], off offset:2
	global_load_dword v40, v[34:35], off offset:2
	global_load_ushort v41, v[30:31], off
	v_mov_b32_e32 v36, 0
	v_mov_b32_e32 v37, 0
	v_add_u32_e32 v16, 16, v16
	v_lshl_add_u64 v[12:13], v[12:13], 0, s[34:35]
	s_waitcnt vmcnt(3)
	v_cvt_f32_f16_e32 v28, v38
	s_waitcnt vmcnt(2)
	v_cmp_gt_i16_sdwa vcc, sext(v39), v24 src0_sel:BYTE_0 src1_sel:DWORD
	v_and_b32_e32 v33, 1, v39
	v_and_b32_e32 v34, 2, v39
	v_cndmask_b32_e32 v45, v22, v23, vcc
	s_waitcnt vmcnt(1)
	v_cmp_gt_i16_sdwa vcc, sext(v40), v24 src0_sel:BYTE_0 src1_sel:DWORD
	v_and_b32_e32 v35, 4, v39
	v_and_b32_e32 v38, 8, v39
	v_cndmask_b32_e32 v58, v22, v23, vcc
	v_cmp_eq_u32_e32 vcc, 0, v33
	v_and_b32_e32 v42, 16, v39
	v_and_b32_e32 v43, 32, v39
	v_cndmask_b32_e32 v33, 1, v17, vcc
	v_cmp_eq_u32_e32 vcc, 0, v34
	;; [unrolled: 4-line block ×3, first 2 shown]
	v_bfe_u32 v46, v39, 8, 1
	v_and_b32_e32 v52, 2, v40
	v_cndmask_b32_e32 v35, v20, v21, vcc
	v_cmp_eq_u32_e32 vcc, 0, v38
	v_cmp_eq_u32_e64 s[0:1], 0, v51
	v_lshrrev_b32_e32 v31, 8, v39
	v_cndmask_b32_e32 v38, v22, v23, vcc
	v_cmp_eq_u32_e32 vcc, 0, v42
	v_and_b32_e32 v53, 4, v40
	v_cndmask_b32_e64 v51, 1, v17, s[0:1]
	v_cndmask_b32_e32 v42, 1, v17, vcc
	v_cmp_eq_u32_e32 vcc, 0, v43
	v_cmp_eq_u32_e64 s[0:1], 0, v52
	v_bfe_u32 v47, v39, 16, 1
	v_cndmask_b32_e32 v43, v18, v19, vcc
	v_cmp_eq_u32_e32 vcc, 0, v44
	v_and_b32_e32 v55, 16, v40
	v_or_b32_e32 v33, v33, v34
	v_cndmask_b32_e32 v44, v20, v21, vcc
	v_cmp_eq_u32_e32 vcc, 0, v46
	v_or_b32_e32 v43, v43, v45
	v_cndmask_b32_e64 v52, v18, v19, s[0:1]
	v_cndmask_b32_e32 v46, 1, v17, vcc
	v_cmp_gt_i16_sdwa vcc, sext(v31), v24 src0_sel:BYTE_0 src1_sel:DWORD
	v_cmp_eq_u32_e64 s[0:1], 0, v53
	v_and_b32_e32 v54, 8, v40
	v_and_b32_e32 v56, 32, v40
	;; [unrolled: 1-line block ×3, first 2 shown]
	v_or3_b32 v33, v33, v35, v38
	v_and_b32_e32 v35, 4, v31
	v_and_b32_e32 v38, 8, v31
	;; [unrolled: 1-line block ×3, first 2 shown]
	v_or3_b32 v42, v43, v42, v44
	v_and_b32_e32 v43, 32, v31
	v_and_b32_e32 v44, 64, v31
	v_cndmask_b32_e32 v31, v22, v23, vcc
	v_cmp_eq_u32_e32 vcc, 0, v47
	v_cndmask_b32_e64 v53, v20, v21, s[0:1]
	v_cmp_eq_u32_e64 s[0:1], 0, v55
	v_and_b32_e32 v57, 64, v40
	v_cndmask_b32_e32 v47, 1, v17, vcc
	v_cmp_eq_u32_e32 vcc, 0, v54
	v_cndmask_b32_e64 v55, 1, v17, s[0:1]
	v_cmp_eq_u32_e64 s[0:1], 0, v56
	v_lshrrev_b32_e32 v30, 16, v39
	v_or_b32_e32 v51, v51, v52
	v_cndmask_b32_e32 v52, v22, v23, vcc
	v_cmp_eq_u32_e32 vcc, 0, v57
	v_cndmask_b32_e64 v56, v18, v19, s[0:1]
	v_cmp_eq_u32_e64 s[0:1], 0, v34
	v_lshrrev_b32_e32 v32, 24, v39
	v_bfe_u32 v39, v39, 24, 1
	v_or_b32_e32 v56, v56, v58
	v_cndmask_b32_e32 v58, v20, v21, vcc
	v_cmp_gt_i16_sdwa vcc, sext(v30), v24 src0_sel:BYTE_0 src1_sel:DWORD
	v_cndmask_b32_e64 v34, v18, v19, s[0:1]
	v_cmp_eq_u32_e64 s[0:1], 0, v35
	v_and_b32_e32 v54, 2, v30
	v_or3_b32 v51, v51, v53, v52
	v_and_b32_e32 v52, 4, v30
	v_and_b32_e32 v53, 8, v30
	;; [unrolled: 1-line block ×3, first 2 shown]
	v_or3_b32 v55, v56, v55, v58
	v_and_b32_e32 v56, 32, v30
	v_and_b32_e32 v58, 64, v30
	v_cndmask_b32_e32 v30, v22, v23, vcc
	v_cmp_eq_u32_e32 vcc, 0, v39
	v_cndmask_b32_e64 v35, v20, v21, s[0:1]
	v_cmp_eq_u32_e64 s[0:1], 0, v45
	v_cndmask_b32_e32 v39, 1, v17, vcc
	v_cmp_eq_u32_e32 vcc, 0, v38
	v_cndmask_b32_e64 v45, 1, v17, s[0:1]
	v_cmp_eq_u32_e64 s[0:1], 0, v43
	v_or_b32_e32 v34, v46, v34
	v_cndmask_b32_e32 v46, v22, v23, vcc
	v_cmp_eq_u32_e32 vcc, 0, v44
	v_cndmask_b32_e64 v43, v18, v19, s[0:1]
	v_cmp_eq_u32_e64 s[0:1], 0, v54
	v_bfe_u32 v59, v40, 8, 1
	v_or_b32_e32 v31, v43, v31
	v_cndmask_b32_e32 v43, v20, v21, vcc
	v_cmp_gt_i16_sdwa vcc, sext(v32), v24 src0_sel:BYTE_0 src1_sel:DWORD
	v_cndmask_b32_e64 v54, v18, v19, s[0:1]
	v_cmp_eq_u32_e64 s[0:1], 0, v52
	v_and_b32_e32 v38, 2, v32
	v_or3_b32 v34, v34, v35, v46
	v_and_b32_e32 v35, 4, v32
	v_and_b32_e32 v46, 8, v32
	;; [unrolled: 1-line block ×3, first 2 shown]
	v_or3_b32 v31, v31, v45, v43
	v_and_b32_e32 v43, 32, v32
	v_and_b32_e32 v45, 64, v32
	v_cndmask_b32_e32 v32, v22, v23, vcc
	v_cmp_eq_u32_e32 vcc, 0, v59
	v_cndmask_b32_e64 v52, v20, v21, s[0:1]
	v_cmp_eq_u32_e64 s[0:1], 0, v57
	v_cndmask_b32_e32 v59, 1, v17, vcc
	v_cmp_eq_u32_e32 vcc, 0, v53
	v_cndmask_b32_e64 v57, 1, v17, s[0:1]
	v_cmp_eq_u32_e64 s[0:1], 0, v56
	v_lshrrev_b32_e32 v49, 8, v40
	v_or_b32_e32 v47, v47, v54
	v_cndmask_b32_e32 v54, v22, v23, vcc
	v_cmp_eq_u32_e32 vcc, 0, v58
	v_cndmask_b32_e64 v56, v18, v19, s[0:1]
	v_cmp_eq_u32_e64 s[0:1], 0, v38
	s_waitcnt vmcnt(0)
	v_cvt_f32_f16_e32 v29, v41
	v_bfe_u32 v41, v40, 16, 1
	v_or_b32_e32 v30, v56, v30
	v_cndmask_b32_e32 v56, v20, v21, vcc
	v_cmp_gt_i16_sdwa vcc, sext(v49), v24 src0_sel:BYTE_0 src1_sel:DWORD
	v_cndmask_b32_e64 v38, v18, v19, s[0:1]
	v_cmp_eq_u32_e64 s[0:1], 0, v35
	v_and_b32_e32 v53, 2, v49
	v_or3_b32 v47, v47, v52, v54
	v_and_b32_e32 v52, 4, v49
	v_and_b32_e32 v54, 8, v49
	;; [unrolled: 1-line block ×3, first 2 shown]
	v_or3_b32 v30, v30, v57, v56
	v_and_b32_e32 v56, 32, v49
	v_and_b32_e32 v57, 64, v49
	v_cndmask_b32_e32 v49, v22, v23, vcc
	v_cmp_eq_u32_e32 vcc, 0, v41
	v_cndmask_b32_e64 v35, v20, v21, s[0:1]
	v_cmp_eq_u32_e64 s[0:1], 0, v44
	v_cndmask_b32_e32 v41, 1, v17, vcc
	v_cmp_eq_u32_e32 vcc, 0, v46
	v_cndmask_b32_e64 v44, 1, v17, s[0:1]
	v_cmp_eq_u32_e64 s[0:1], 0, v43
	v_lshrrev_b32_e32 v48, 16, v40
	v_or_b32_e32 v38, v39, v38
	v_cndmask_b32_e32 v39, v22, v23, vcc
	v_cmp_eq_u32_e32 vcc, 0, v45
	v_cndmask_b32_e64 v43, v18, v19, s[0:1]
	v_lshrrev_b32_e32 v50, 24, v40
	v_bfe_u32 v40, v40, 24, 1
	v_or_b32_e32 v32, v43, v32
	v_cndmask_b32_e32 v43, v20, v21, vcc
	v_cmp_gt_i16_sdwa vcc, sext(v48), v24 src0_sel:BYTE_0 src1_sel:DWORD
	v_and_b32_e32 v46, 2, v48
	v_or3_b32 v35, v38, v35, v39
	v_and_b32_e32 v38, 4, v48
	v_and_b32_e32 v39, 8, v48
	;; [unrolled: 1-line block ×3, first 2 shown]
	v_or3_b32 v32, v32, v44, v43
	v_and_b32_e32 v43, 32, v48
	v_and_b32_e32 v44, 64, v48
	v_cndmask_b32_e32 v48, v22, v23, vcc
	v_cmp_eq_u32_e32 vcc, 0, v40
	v_and_b32_e32 v40, 2, v50
	v_cmp_eq_u32_e64 s[0:1], 0, v40
	v_and_b32_e32 v40, 4, v50
	v_cmp_eq_u32_e64 s[4:5], 0, v40
	;; [unrolled: 2-line block ×5, first 2 shown]
	v_cndmask_b32_e32 v40, 1, v17, vcc
	v_cmp_gt_i16_sdwa vcc, sext(v50), v24 src0_sel:BYTE_0 src1_sel:DWORD
	v_and_b32_e32 v50, 64, v50
	v_cmp_eq_u32_e64 s[12:13], 0, v50
	v_cndmask_b32_e32 v50, v22, v23, vcc
	v_cmp_eq_u32_e32 vcc, 0, v53
	v_dot4c_i32_i8_e32 v36, v33, v5
	v_dot4c_i32_i8_e32 v37, v51, v5
	v_cndmask_b32_e32 v53, v18, v19, vcc
	v_cmp_eq_u32_e32 vcc, 0, v52
	v_or_b32_e32 v53, v59, v53
	v_dot4c_i32_i8_e32 v36, v42, v6
	v_cndmask_b32_e32 v52, v20, v21, vcc
	v_cmp_eq_u32_e32 vcc, 0, v54
	v_dot4c_i32_i8_e32 v37, v55, v6
	v_dot4c_i32_i8_e32 v36, v34, v7
	v_cndmask_b32_e32 v54, v22, v23, vcc
	v_cmp_eq_u32_e32 vcc, 0, v58
	v_or3_b32 v33, v53, v52, v54
	v_dot4c_i32_i8_e32 v37, v33, v7
	v_cndmask_b32_e32 v58, 1, v17, vcc
	v_cmp_eq_u32_e32 vcc, 0, v56
	v_cndmask_b32_e64 v59, v18, v19, s[0:1]
	v_dot4c_i32_i8_e32 v36, v31, v0
	v_cndmask_b32_e32 v56, v18, v19, vcc
	v_cmp_eq_u32_e32 vcc, 0, v57
	v_or_b32_e32 v49, v56, v49
	v_cndmask_b32_e64 v56, v20, v21, s[4:5]
	v_cndmask_b32_e32 v57, v20, v21, vcc
	v_cmp_eq_u32_e32 vcc, 0, v46
	v_or3_b32 v49, v49, v58, v57
	v_dot4c_i32_i8_e32 v37, v49, v0
	v_cndmask_b32_e32 v46, v18, v19, vcc
	v_cmp_eq_u32_e32 vcc, 0, v38
	v_or_b32_e32 v41, v41, v46
	v_cndmask_b32_e64 v46, v22, v23, s[6:7]
	v_cndmask_b32_e32 v38, v20, v21, vcc
	v_cmp_eq_u32_e32 vcc, 0, v39
	v_or_b32_e32 v40, v40, v59
	v_cndmask_b32_e64 v59, v18, v19, s[10:11]
	v_cndmask_b32_e32 v39, v22, v23, vcc
	v_cmp_eq_u32_e32 vcc, 0, v45
	v_or3_b32 v38, v41, v38, v39
	v_dot4c_i32_i8_e32 v36, v47, v1
	v_cndmask_b32_e32 v45, 1, v17, vcc
	v_cmp_eq_u32_e32 vcc, 0, v43
	v_dot4c_i32_i8_e32 v37, v38, v1
	v_or_b32_e32 v50, v59, v50
	v_cndmask_b32_e32 v43, v18, v19, vcc
	v_cmp_eq_u32_e32 vcc, 0, v44
	v_or_b32_e32 v43, v43, v48
	v_cndmask_b32_e64 v48, 1, v17, s[8:9]
	v_cndmask_b32_e32 v44, v20, v21, vcc
	v_or3_b32 v39, v43, v45, v44
	v_cndmask_b32_e64 v59, v20, v21, s[12:13]
	v_or3_b32 v40, v40, v56, v46
	v_dot4c_i32_i8_e32 v36, v30, v2
	v_dot4c_i32_i8_e32 v37, v39, v2
	v_or3_b32 v41, v50, v48, v59
	v_dot4c_i32_i8_e32 v36, v35, v3
	v_dot4c_i32_i8_e32 v37, v40, v3
	v_cvt_f32_f16_e32 v4, v4
	v_dot4c_i32_i8_e32 v36, v32, v27
	v_dot4c_i32_i8_e32 v37, v41, v27
	v_cmp_le_u32_e32 vcc, s23, v16
	v_pk_mul_f32 v[2:3], v[4:5], v[28:29] op_sel_hi:[0,1]
	v_cvt_f32_i32_e32 v0, v36
	v_cvt_f32_i32_e32 v1, v37
	s_or_b64 s[28:29], vcc, s[28:29]
	v_pk_fma_f32 v[8:9], v[2:3], v[0:1], v[8:9]
	s_andn2_b64 exec, exec, s[28:29]
	s_cbranch_execnz .LBB0_3
; %bb.4:
	s_or_b64 exec, exec, s[28:29]
.LBB0_5:
	s_or_b64 exec, exec, s[14:15]
	v_mbcnt_lo_u32_b32 v0, -1, 0
	v_mbcnt_hi_u32_b32 v4, -1, v0
	v_and_b32_e32 v0, 64, v4
	v_add_u32_e32 v5, 64, v0
	v_xor_b32_e32 v0, 32, v4
	v_cmp_lt_i32_e32 vcc, v0, v5
	v_xor_b32_e32 v2, 16, v4
	v_xor_b32_e32 v6, 8, v4
	v_cndmask_b32_e32 v0, v4, v0, vcc
	v_lshlrev_b32_e32 v1, 2, v0
	ds_bpermute_b32 v0, v1, v8
	ds_bpermute_b32 v1, v1, v9
	v_cmp_lt_i32_e32 vcc, v2, v5
	s_waitcnt lgkmcnt(0)
	v_pk_add_f32 v[0:1], v[8:9], v[0:1]
	v_cndmask_b32_e32 v2, v4, v2, vcc
	v_lshlrev_b32_e32 v3, 2, v2
	ds_bpermute_b32 v2, v3, v0
	ds_bpermute_b32 v3, v3, v1
	v_cmp_lt_i32_e32 vcc, v6, v5
	s_waitcnt lgkmcnt(0)
	v_pk_add_f32 v[0:1], v[0:1], v[2:3]
	v_cndmask_b32_e32 v6, v4, v6, vcc
	v_lshlrev_b32_e32 v6, 2, v6
	ds_bpermute_b32 v2, v6, v0
	ds_bpermute_b32 v3, v6, v1
	v_xor_b32_e32 v6, 4, v4
	v_cmp_lt_i32_e32 vcc, v6, v5
	s_waitcnt lgkmcnt(0)
	v_pk_add_f32 v[0:1], v[0:1], v[2:3]
	v_cndmask_b32_e32 v6, v4, v6, vcc
	v_lshlrev_b32_e32 v6, 2, v6
	ds_bpermute_b32 v2, v6, v0
	ds_bpermute_b32 v3, v6, v1
	v_xor_b32_e32 v6, 2, v4
	;; [unrolled: 8-line block ×3, first 2 shown]
	v_cmp_lt_i32_e32 vcc, v6, v5
	s_waitcnt lgkmcnt(0)
	v_pk_add_f32 v[0:1], v[0:1], v[2:3]
	v_cndmask_b32_e32 v4, v4, v6, vcc
	v_lshlrev_b32_e32 v4, 2, v4
	ds_bpermute_b32 v2, v4, v0
	ds_bpermute_b32 v3, v4, v1
	v_add_u32_e32 v4, s2, v15
	v_cmp_gt_u32_e32 vcc, 2, v15
	v_cmp_gt_u32_e64 s[0:1], s16, v4
	s_and_b64 s[0:1], vcc, s[0:1]
	s_and_b64 exec, exec, s[0:1]
	s_cbranch_execz .LBB0_7
; %bb.6:
	v_cmp_eq_u32_e32 vcc, 1, v15
	s_mul_i32 s3, s3, s22
	v_mov_b32_e32 v4, s30
	s_waitcnt lgkmcnt(0)
	v_cndmask_b32_e32 v2, v2, v3, vcc
	v_cndmask_b32_e32 v0, v0, v1, vcc
	v_add_f32_e32 v2, v0, v2
	v_mul_lo_u32 v0, v14, s19
	v_or_b32_e32 v1, s2, v15
	v_mov_b32_e32 v5, s31
	v_add3_u32 v0, v1, v0, s3
	v_mov_b32_e32 v1, 0
	v_lshl_add_u64 v[0:1], v[0:1], 2, v[4:5]
	global_store_dword v[0:1], v2, off
.LBB0_7:
	s_endpgm
	.section	.rodata,"a",@progbits
	.p2align	6, 0x0
	.amdhsa_kernel _ZL17mul_mat_vec_q_moeIL9ggml_type41ELi2EEvPKvS2_PKiPfj15HIP_vector_typeIjLj3EEjjjjjjjjj
		.amdhsa_group_segment_fixed_size 0
		.amdhsa_private_segment_fixed_size 0
		.amdhsa_kernarg_size 84
		.amdhsa_user_sgpr_count 2
		.amdhsa_user_sgpr_dispatch_ptr 0
		.amdhsa_user_sgpr_queue_ptr 0
		.amdhsa_user_sgpr_kernarg_segment_ptr 1
		.amdhsa_user_sgpr_dispatch_id 0
		.amdhsa_user_sgpr_kernarg_preload_length 0
		.amdhsa_user_sgpr_kernarg_preload_offset 0
		.amdhsa_user_sgpr_private_segment_size 0
		.amdhsa_uses_dynamic_stack 0
		.amdhsa_enable_private_segment 0
		.amdhsa_system_sgpr_workgroup_id_x 1
		.amdhsa_system_sgpr_workgroup_id_y 1
		.amdhsa_system_sgpr_workgroup_id_z 0
		.amdhsa_system_sgpr_workgroup_info 0
		.amdhsa_system_vgpr_workitem_id 1
		.amdhsa_next_free_vgpr 60
		.amdhsa_next_free_sgpr 36
		.amdhsa_accum_offset 60
		.amdhsa_reserve_vcc 1
		.amdhsa_float_round_mode_32 0
		.amdhsa_float_round_mode_16_64 0
		.amdhsa_float_denorm_mode_32 3
		.amdhsa_float_denorm_mode_16_64 3
		.amdhsa_dx10_clamp 1
		.amdhsa_ieee_mode 1
		.amdhsa_fp16_overflow 0
		.amdhsa_tg_split 0
		.amdhsa_exception_fp_ieee_invalid_op 0
		.amdhsa_exception_fp_denorm_src 0
		.amdhsa_exception_fp_ieee_div_zero 0
		.amdhsa_exception_fp_ieee_overflow 0
		.amdhsa_exception_fp_ieee_underflow 0
		.amdhsa_exception_fp_ieee_inexact 0
		.amdhsa_exception_int_div_zero 0
	.end_amdhsa_kernel
	.section	.text._ZL17mul_mat_vec_q_moeIL9ggml_type41ELi2EEvPKvS2_PKiPfj15HIP_vector_typeIjLj3EEjjjjjjjjj,"axG",@progbits,_ZL17mul_mat_vec_q_moeIL9ggml_type41ELi2EEvPKvS2_PKiPfj15HIP_vector_typeIjLj3EEjjjjjjjjj,comdat
.Lfunc_end0:
	.size	_ZL17mul_mat_vec_q_moeIL9ggml_type41ELi2EEvPKvS2_PKiPfj15HIP_vector_typeIjLj3EEjjjjjjjjj, .Lfunc_end0-_ZL17mul_mat_vec_q_moeIL9ggml_type41ELi2EEvPKvS2_PKiPfj15HIP_vector_typeIjLj3EEjjjjjjjjj
                                        ; -- End function
	.section	.AMDGPU.csdata,"",@progbits
; Kernel info:
; codeLenInByte = 2188
; NumSgprs: 42
; NumVgprs: 60
; NumAgprs: 0
; TotalNumVgprs: 60
; ScratchSize: 0
; MemoryBound: 0
; FloatMode: 240
; IeeeMode: 1
; LDSByteSize: 0 bytes/workgroup (compile time only)
; SGPRBlocks: 5
; VGPRBlocks: 7
; NumSGPRsForWavesPerEU: 42
; NumVGPRsForWavesPerEU: 60
; AccumOffset: 60
; Occupancy: 8
; WaveLimiterHint : 1
; COMPUTE_PGM_RSRC2:SCRATCH_EN: 0
; COMPUTE_PGM_RSRC2:USER_SGPR: 2
; COMPUTE_PGM_RSRC2:TRAP_HANDLER: 0
; COMPUTE_PGM_RSRC2:TGID_X_EN: 1
; COMPUTE_PGM_RSRC2:TGID_Y_EN: 1
; COMPUTE_PGM_RSRC2:TGID_Z_EN: 0
; COMPUTE_PGM_RSRC2:TIDIG_COMP_CNT: 1
; COMPUTE_PGM_RSRC3_GFX90A:ACCUM_OFFSET: 14
; COMPUTE_PGM_RSRC3_GFX90A:TG_SPLIT: 0
	.section	.text._ZL13mul_mat_vec_qIL9ggml_type41ELi1ELb1ELb1EEvPKvS2_PKi31ggml_cuda_mm_fusion_args_devicePfj15HIP_vector_typeIjLj3EEjjjS8_jjjS8_jjjj,"axG",@progbits,_ZL13mul_mat_vec_qIL9ggml_type41ELi1ELb1ELb1EEvPKvS2_PKi31ggml_cuda_mm_fusion_args_devicePfj15HIP_vector_typeIjLj3EEjjjS8_jjjS8_jjjj,comdat
	.globl	_ZL13mul_mat_vec_qIL9ggml_type41ELi1ELb1ELb1EEvPKvS2_PKi31ggml_cuda_mm_fusion_args_devicePfj15HIP_vector_typeIjLj3EEjjjS8_jjjS8_jjjj ; -- Begin function _ZL13mul_mat_vec_qIL9ggml_type41ELi1ELb1ELb1EEvPKvS2_PKi31ggml_cuda_mm_fusion_args_devicePfj15HIP_vector_typeIjLj3EEjjjS8_jjjS8_jjjj
	.p2align	8
	.type	_ZL13mul_mat_vec_qIL9ggml_type41ELi1ELb1ELb1EEvPKvS2_PKi31ggml_cuda_mm_fusion_args_devicePfj15HIP_vector_typeIjLj3EEjjjS8_jjjS8_jjjj,@function
_ZL13mul_mat_vec_qIL9ggml_type41ELi1ELb1ELb1EEvPKvS2_PKi31ggml_cuda_mm_fusion_args_devicePfj15HIP_vector_typeIjLj3EEjjjS8_jjjS8_jjjj: ; @_ZL13mul_mat_vec_qIL9ggml_type41ELi1ELb1ELb1EEvPKvS2_PKi31ggml_cuda_mm_fusion_args_devicePfj15HIP_vector_typeIjLj3EEjjjS8_jjjS8_jjjj
; %bb.0:
	s_load_dwordx8 s[16:23], s[2:3], 0x0
	s_load_dwordx4 s[36:39], s[2:3], 0x20
	s_load_dwordx4 s[40:43], s[2:3], 0x40
	;; [unrolled: 1-line block ×3, first 2 shown]
	s_mov_b32 s14, s5
	s_waitcnt lgkmcnt(0)
	s_cmp_lg_u64 s[20:21], 0
	s_cselect_b64 s[8:9], -1, 0
	s_cmp_eq_u64 s[20:21], 0
	s_mov_b64 s[10:11], 0
	s_cbranch_scc1 .LBB1_5
; %bb.1:
	s_mov_b32 s15, 0
	s_lshl_b64 s[12:13], s[14:15], 2
	s_add_u32 s12, s20, s12
	s_addc_u32 s13, s21, s13
	s_load_dword s44, s[12:13], 0x0
	s_load_dword s33, s[2:3], 0x50
	;; [unrolled: 1-line block ×3, first 2 shown]
	s_andn2_b64 vcc, exec, s[10:11]
	s_cbranch_vccnz .LBB1_3
.LBB1_2:
	s_load_dwordx2 s[10:11], s[2:3], 0x5c
	s_waitcnt lgkmcnt(0)
	s_mul_hi_u32 s5, s10, s14
	s_add_i32 s5, s14, s5
	s_lshr_b32 s44, s5, s11
.LBB1_3:
	s_andn2_b64 vcc, exec, s[8:9]
	s_cbranch_vccnz .LBB1_6
; %bb.4:
	s_mul_hi_u32 s5, s41, s14
	s_add_i32 s5, s14, s5
	s_lshr_b32 s5, s5, s42
	s_mul_i32 s5, s5, s43
	s_sub_i32 s41, s14, s5
	s_waitcnt lgkmcnt(0)
	s_mov_b32 s15, s44
	s_branch .LBB1_7
.LBB1_5:
                                        ; implicit-def: $sgpr44
	s_load_dword s33, s[2:3], 0x50
	s_load_dword s45, s[2:3], 0x78
	s_branch .LBB1_2
.LBB1_6:
	s_mov_b32 s15, s14
	s_mov_b32 s41, s14
.LBB1_7:
	s_load_dword s7, s[2:3], 0x58
	s_load_dwordx4 s[28:31], s[2:3], 0x80
	s_lshl_b32 s20, s4, 1
	s_cmp_eq_u64 s[22:23], 0
	v_and_b32_e32 v12, 0x3ff, v0
	v_bfe_u32 v17, v0, 10, 10
	s_cselect_b64 s[8:9], -1, 0
	s_and_b64 vcc, exec, s[8:9]
	v_mov_b32_e32 v13, 0
	v_cmp_gt_u32_e64 s[4:5], 2, v12
	v_cmp_eq_u32_e64 s[10:11], 0, v17
	v_or_b32_e32 v1, s20, v12
	v_mov_b32_e32 v14, 0
	s_cbranch_vccnz .LBB1_11
; %bb.8:
	s_waitcnt lgkmcnt(0)
	v_cmp_gt_u32_e32 vcc, s7, v1
	s_and_b64 s[4:5], s[4:5], vcc
	s_mov_b32 s13, 0
	s_and_b64 s[10:11], s[4:5], s[10:11]
	v_mov_b32_e32 v14, 0
	s_and_saveexec_b64 s[4:5], s[10:11]
	s_cbranch_execz .LBB1_10
; %bb.9:
	s_mul_i32 s12, s6, s30
	s_lshl_b64 s[10:11], s[12:13], 2
	s_add_u32 s21, s22, s10
	s_mul_i32 s12, s15, s26
	s_addc_u32 s22, s23, s11
	s_lshl_b64 s[10:11], s[12:13], 2
	s_add_u32 s12, s21, s10
	s_addc_u32 s13, s22, s11
	s_ashr_i32 s21, s20, 31
	s_lshl_b64 s[10:11], s[20:21], 2
	s_add_u32 s10, s12, s10
	s_addc_u32 s11, s13, s11
	v_lshlrev_b32_e32 v2, 2, v12
	global_load_dword v14, v2, s[10:11]
.LBB1_10:
	s_or_b64 exec, exec, s[4:5]
.LBB1_11:
	s_cmp_lg_u64 s[36:37], 0
	s_cselect_b64 s[34:35], -1, 0
	s_cmp_eq_u64 s[36:37], 0
	s_cselect_b64 s[22:23], -1, 0
	s_cmp_lg_u64 s[38:39], 0
	s_cselect_b64 s[4:5], -1, 0
	s_and_b64 s[10:11], s[4:5], s[34:35]
	s_andn2_b64 vcc, exec, s[10:11]
	s_cbranch_vccnz .LBB1_15
; %bb.12:
	v_cmp_gt_u32_e32 vcc, 2, v12
	s_waitcnt lgkmcnt(0)
	v_cmp_gt_u32_e64 s[12:13], s7, v1
	v_cmp_eq_u32_e64 s[10:11], 0, v17
	s_and_b64 s[12:13], vcc, s[12:13]
	s_mov_b32 s43, 0
	s_and_b64 s[12:13], s[12:13], s[10:11]
	v_mov_b32_e32 v13, 0
	s_and_saveexec_b64 s[10:11], s[12:13]
	s_cbranch_execz .LBB1_14
; %bb.13:
	s_mul_i32 s42, s6, s30
	s_lshl_b64 s[12:13], s[42:43], 2
	s_add_u32 s21, s38, s12
	s_mul_i32 s42, s15, s26
	s_addc_u32 s31, s39, s13
	s_lshl_b64 s[12:13], s[42:43], 2
	s_add_u32 s15, s21, s12
	s_addc_u32 s31, s31, s13
	s_ashr_i32 s21, s20, 31
	s_lshl_b64 s[12:13], s[20:21], 2
	s_add_u32 s12, s15, s12
	s_addc_u32 s13, s31, s13
	v_lshlrev_b32_e32 v1, 2, v12
	global_load_dword v13, v1, s[12:13]
.LBB1_14:
	s_or_b64 exec, exec, s[10:11]
.LBB1_15:
	s_load_dwordx2 s[0:1], s[0:1], 0x4
	v_bfe_u32 v1, v0, 20, 10
	v_lshl_add_u32 v0, v17, 6, v12
	s_lshr_b32 s15, s40, 7
	v_lshrrev_b32_e32 v18, 2, v0
	s_waitcnt lgkmcnt(0)
	s_lshr_b32 s0, s0, 16
	v_mul_u32_u24_e32 v2, s1, v17
	s_mul_i32 s0, s0, s1
	v_mad_u32_u24 v2, s0, v12, v2
	v_add_lshl_u32 v1, v2, v1, 3
	v_add_u32_e32 v16, 0x800, v1
	v_add_u32_e32 v15, 0x400, v1
	v_cndmask_b32_e64 v1, 0, 1, s[34:35]
	v_mov_b32_e32 v22, 0
	v_cmp_gt_u32_e32 vcc, s15, v18
	v_cmp_ne_u32_e64 s[10:11], 1, v1
	v_mov_b32_e32 v19, 0
	v_mov_b32_e32 v21, 0
	v_mov_b32_e32 v20, 0
	ds_write2_b32 v16, v22, v22 offset1:1
	ds_write2_b32 v15, v22, v22 offset1:1
	s_and_saveexec_b64 s[0:1], vcc
	s_cbranch_execz .LBB1_23
; %bb.16:
	s_mul_hi_u32 s12, s27, s6
	s_add_i32 s12, s6, s12
	s_lshr_b32 s12, s12, s45
	s_mul_i32 s13, s44, s24
	s_mul_i32 s12, s12, s28
	;; [unrolled: 1-line block ×3, first 2 shown]
	s_add_i32 s24, s12, s13
	s_add_i32 s12, s20, 1
	s_mul_i32 s21, s20, s33
	s_mul_i32 s33, s33, s12
	s_mul_hi_u32 s12, s25, 36
	s_mul_i32 s25, s25, 36
	v_lshrrev_b32_e32 v3, 2, v0
	v_mov_b32_e32 v0, s25
	v_mov_b32_e32 v1, s12
	s_movk_i32 s12, 0x90
	s_mul_i32 s27, s6, s29
	v_mad_u64_u32 v[0:1], s[12:13], v3, s12, v[0:1]
	v_and_b32_e32 v2, 3, v12
	v_mad_u64_u32 v[0:1], s[12:13], s27, 36, v[0:1]
	v_mad_u64_u32 v[0:1], s[12:13], v2, 36, v[0:1]
	v_mov_b32_e32 v9, 0
	v_lshl_add_u64 v[0:1], v[0:1], 0, s[18:19]
	v_lshlrev_b32_e32 v8, 2, v2
	s_add_i32 s21, s24, s21
	s_add_i32 s24, s24, s33
	v_lshl_add_u64 v[10:11], v[0:1], 0, 32
	s_mov_b64 s[12:13], 0
	s_mov_b64 s[18:19], 0x1200
	v_mov_b32_e32 v23, 0xff
	v_mov_b32_e32 v24, 0x100
	;; [unrolled: 1-line block ×7, first 2 shown]
	v_mov_b32_e32 v30, -1
	v_mov_b32_e32 v20, v9
	v_mov_b32_e32 v19, v9
	;; [unrolled: 1-line block ×4, first 2 shown]
	s_branch .LBB1_18
.LBB1_17:                               ;   in Loop: Header=BB1_18 Depth=1
	s_waitcnt vmcnt(0)
	v_and_b32_e32 v40, 1, v35
	v_cmp_eq_u32_e32 vcc, 0, v40
	v_and_b32_e32 v41, 2, v35
	v_and_b32_e32 v42, 4, v35
	v_cndmask_b32_e32 v40, 1, v23, vcc
	v_cmp_eq_u32_e32 vcc, 0, v41
	v_and_b32_e32 v43, 8, v35
	v_lshrrev_b32_e32 v38, 8, v35
	v_cndmask_b32_e32 v41, v24, v25, vcc
	v_cmp_eq_u32_e32 vcc, 0, v42
	v_or_b32_e32 v40, v40, v41
	v_and_b32_e32 v41, 16, v35
	v_cndmask_b32_e32 v42, v26, v27, vcc
	v_cmp_eq_u32_e32 vcc, 0, v43
	v_and_b32_e32 v45, 8, v38
	v_lshrrev_b32_e32 v37, 16, v35
	v_cndmask_b32_e32 v43, v28, v29, vcc
	v_or3_b32 v40, v40, v42, v43
	v_cmp_eq_u32_e32 vcc, 0, v41
	v_and_b32_e32 v42, 32, v35
	v_and_b32_e32 v43, 64, v35
	v_cndmask_b32_e32 v41, 1, v23, vcc
	v_cmp_eq_u32_e32 vcc, 0, v42
	v_and_b32_e32 v46, 8, v37
	v_lshrrev_b32_e32 v39, 24, v35
	v_cndmask_b32_e32 v42, v24, v25, vcc
	v_cmp_eq_u32_e32 vcc, 0, v43
	v_lshrrev_b32_e32 v36, 16, v33
	v_cvt_f32_f16_e32 v34, v34
	v_cndmask_b32_e32 v43, v26, v27, vcc
	v_cmp_gt_i16_sdwa vcc, sext(v35), v30 src0_sel:BYTE_0 src1_sel:DWORD
	v_add_u32_e32 v18, 32, v18
	v_lshl_add_u64 v[10:11], v[10:11], 0, s[18:19]
	v_cndmask_b32_e32 v44, v28, v29, vcc
	v_or_b32_e32 v42, v42, v44
	v_or3_b32 v41, v42, v41, v43
	v_bfe_u32 v42, v35, 8, 1
	v_cmp_eq_u32_e32 vcc, 0, v42
	v_and_b32_e32 v43, 2, v38
	v_and_b32_e32 v44, 4, v38
	v_cndmask_b32_e32 v42, 1, v23, vcc
	v_cmp_eq_u32_e32 vcc, 0, v43
	s_nop 1
	v_cndmask_b32_e32 v43, v24, v25, vcc
	v_cmp_eq_u32_e32 vcc, 0, v44
	v_or_b32_e32 v42, v42, v43
	v_and_b32_e32 v43, 16, v38
	v_cndmask_b32_e32 v44, v26, v27, vcc
	v_cmp_eq_u32_e32 vcc, 0, v45
	s_nop 1
	v_cndmask_b32_e32 v45, v28, v29, vcc
	v_or3_b32 v42, v42, v44, v45
	v_cmp_eq_u32_e32 vcc, 0, v43
	v_and_b32_e32 v44, 32, v38
	v_and_b32_e32 v45, 64, v38
	v_cndmask_b32_e32 v43, 1, v23, vcc
	v_cmp_eq_u32_e32 vcc, 0, v44
	s_nop 1
	v_cndmask_b32_e32 v44, v24, v25, vcc
	v_cmp_eq_u32_e32 vcc, 0, v45
	s_nop 1
	v_cndmask_b32_e32 v45, v26, v27, vcc
	v_cmp_gt_i16_sdwa vcc, sext(v38), v30 src0_sel:BYTE_0 src1_sel:DWORD
	s_nop 1
	v_cndmask_b32_e32 v38, v28, v29, vcc
	v_or_b32_e32 v38, v44, v38
	v_or3_b32 v38, v38, v43, v45
	v_bfe_u32 v43, v35, 16, 1
	v_cmp_eq_u32_e32 vcc, 0, v43
	v_and_b32_e32 v44, 2, v37
	v_and_b32_e32 v45, 4, v37
	v_cndmask_b32_e32 v43, 1, v23, vcc
	v_cmp_eq_u32_e32 vcc, 0, v44
	v_bfe_u32 v35, v35, 24, 1
	s_nop 0
	v_cndmask_b32_e32 v44, v24, v25, vcc
	v_cmp_eq_u32_e32 vcc, 0, v45
	v_or_b32_e32 v43, v43, v44
	v_and_b32_e32 v44, 16, v37
	v_cndmask_b32_e32 v45, v26, v27, vcc
	v_cmp_eq_u32_e32 vcc, 0, v46
	s_nop 1
	v_cndmask_b32_e32 v46, v28, v29, vcc
	v_or3_b32 v43, v43, v45, v46
	v_cmp_eq_u32_e32 vcc, 0, v44
	v_and_b32_e32 v45, 32, v37
	v_and_b32_e32 v46, 64, v37
	v_cndmask_b32_e32 v44, 1, v23, vcc
	v_cmp_eq_u32_e32 vcc, 0, v45
	s_nop 1
	v_cndmask_b32_e32 v45, v24, v25, vcc
	v_cmp_eq_u32_e32 vcc, 0, v46
	s_nop 1
	v_cndmask_b32_e32 v46, v26, v27, vcc
	v_cmp_gt_i16_sdwa vcc, sext(v37), v30 src0_sel:BYTE_0 src1_sel:DWORD
	s_nop 1
	v_cndmask_b32_e32 v37, v28, v29, vcc
	v_or_b32_e32 v37, v45, v37
	v_or3_b32 v37, v37, v44, v46
	v_cmp_eq_u32_e32 vcc, 0, v35
	v_and_b32_e32 v44, 2, v39
	v_and_b32_e32 v45, 4, v39
	v_cndmask_b32_e32 v35, 1, v23, vcc
	v_cmp_eq_u32_e32 vcc, 0, v44
	v_and_b32_e32 v46, 8, v39
	s_nop 0
	v_cndmask_b32_e32 v44, v24, v25, vcc
	v_cmp_eq_u32_e32 vcc, 0, v45
	v_or_b32_e32 v35, v35, v44
	v_and_b32_e32 v44, 16, v39
	v_cndmask_b32_e32 v45, v26, v27, vcc
	v_cmp_eq_u32_e32 vcc, 0, v46
	s_nop 1
	v_cndmask_b32_e32 v46, v28, v29, vcc
	v_or3_b32 v35, v35, v45, v46
	v_cmp_eq_u32_e32 vcc, 0, v44
	v_and_b32_e32 v45, 32, v39
	v_and_b32_e32 v46, 64, v39
	v_cndmask_b32_e32 v44, 1, v23, vcc
	v_cmp_eq_u32_e32 vcc, 0, v45
	s_nop 1
	v_cndmask_b32_e32 v45, v24, v25, vcc
	v_cmp_eq_u32_e32 vcc, 0, v46
	s_nop 1
	v_cndmask_b32_e32 v46, v26, v27, vcc
	v_cmp_gt_i16_sdwa vcc, sext(v39), v30 src0_sel:BYTE_0 src1_sel:DWORD
	s_nop 1
	v_cndmask_b32_e32 v39, v28, v29, vcc
	v_or_b32_e32 v39, v45, v39
	v_or3_b32 v39, v39, v44, v46
	v_mov_b32_e32 v44, 0
	v_dot4c_i32_i8_e32 v44, v40, v5
	v_dot4c_i32_i8_e32 v44, v41, v6
	;; [unrolled: 1-line block ×8, first 2 shown]
	v_and_b32_e32 v39, 1, v33
	v_cmp_eq_u32_e32 vcc, 0, v39
	v_and_b32_e32 v40, 2, v33
	v_and_b32_e32 v41, 4, v33
	v_cndmask_b32_e32 v39, 1, v23, vcc
	v_cmp_eq_u32_e32 vcc, 0, v40
	v_and_b32_e32 v42, 8, v33
	v_lshrrev_b32_e32 v37, 8, v33
	v_cndmask_b32_e32 v40, v24, v25, vcc
	v_cmp_eq_u32_e32 vcc, 0, v41
	v_or_b32_e32 v39, v39, v40
	v_and_b32_e32 v40, 16, v33
	v_cndmask_b32_e32 v41, v26, v27, vcc
	v_cmp_eq_u32_e32 vcc, 0, v42
	v_cvt_f32_i32_e32 v35, v44
	v_and_b32_e32 v44, 8, v37
	v_cndmask_b32_e32 v42, v28, v29, vcc
	v_or3_b32 v39, v39, v41, v42
	v_cmp_eq_u32_e32 vcc, 0, v40
	v_and_b32_e32 v41, 32, v33
	v_and_b32_e32 v42, 64, v33
	v_cndmask_b32_e32 v40, 1, v23, vcc
	v_cmp_eq_u32_e32 vcc, 0, v41
	v_and_b32_e32 v45, 8, v36
	v_lshrrev_b32_e32 v38, 24, v33
	v_cndmask_b32_e32 v41, v24, v25, vcc
	v_cmp_eq_u32_e32 vcc, 0, v42
	s_nop 1
	v_cndmask_b32_e32 v42, v26, v27, vcc
	v_cmp_gt_i16_sdwa vcc, sext(v33), v30 src0_sel:BYTE_0 src1_sel:DWORD
	s_nop 1
	v_cndmask_b32_e32 v43, v28, v29, vcc
	v_or_b32_e32 v41, v41, v43
	v_or3_b32 v40, v41, v40, v42
	v_bfe_u32 v41, v33, 8, 1
	v_cmp_eq_u32_e32 vcc, 0, v41
	v_and_b32_e32 v42, 2, v37
	v_and_b32_e32 v43, 4, v37
	v_cndmask_b32_e32 v41, 1, v23, vcc
	v_cmp_eq_u32_e32 vcc, 0, v42
	s_nop 1
	v_cndmask_b32_e32 v42, v24, v25, vcc
	v_cmp_eq_u32_e32 vcc, 0, v43
	v_or_b32_e32 v41, v41, v42
	v_and_b32_e32 v42, 16, v37
	v_cndmask_b32_e32 v43, v26, v27, vcc
	v_cmp_eq_u32_e32 vcc, 0, v44
	s_nop 1
	v_cndmask_b32_e32 v44, v28, v29, vcc
	v_or3_b32 v41, v41, v43, v44
	v_cmp_eq_u32_e32 vcc, 0, v42
	v_and_b32_e32 v43, 32, v37
	v_and_b32_e32 v44, 64, v37
	v_cndmask_b32_e32 v42, 1, v23, vcc
	v_cmp_eq_u32_e32 vcc, 0, v43
	s_nop 1
	v_cndmask_b32_e32 v43, v24, v25, vcc
	v_cmp_eq_u32_e32 vcc, 0, v44
	s_nop 1
	v_cndmask_b32_e32 v44, v26, v27, vcc
	v_cmp_gt_i16_sdwa vcc, sext(v37), v30 src0_sel:BYTE_0 src1_sel:DWORD
	s_nop 1
	v_cndmask_b32_e32 v37, v28, v29, vcc
	v_or_b32_e32 v37, v43, v37
	v_or3_b32 v37, v37, v42, v44
	v_bfe_u32 v42, v33, 16, 1
	v_cmp_eq_u32_e32 vcc, 0, v42
	v_and_b32_e32 v43, 2, v36
	v_and_b32_e32 v44, 4, v36
	v_cndmask_b32_e32 v42, 1, v23, vcc
	v_cmp_eq_u32_e32 vcc, 0, v43
	v_bfe_u32 v33, v33, 24, 1
	s_nop 0
	v_cndmask_b32_e32 v43, v24, v25, vcc
	v_cmp_eq_u32_e32 vcc, 0, v44
	v_or_b32_e32 v42, v42, v43
	v_and_b32_e32 v43, 16, v36
	v_cndmask_b32_e32 v44, v26, v27, vcc
	v_cmp_eq_u32_e32 vcc, 0, v45
	s_nop 1
	v_cndmask_b32_e32 v45, v28, v29, vcc
	v_or3_b32 v42, v42, v44, v45
	v_cmp_eq_u32_e32 vcc, 0, v43
	v_and_b32_e32 v44, 32, v36
	v_and_b32_e32 v45, 64, v36
	v_cndmask_b32_e32 v43, 1, v23, vcc
	v_cmp_eq_u32_e32 vcc, 0, v44
	s_nop 1
	v_cndmask_b32_e32 v44, v24, v25, vcc
	v_cmp_eq_u32_e32 vcc, 0, v45
	s_nop 1
	v_cndmask_b32_e32 v45, v26, v27, vcc
	v_cmp_gt_i16_sdwa vcc, sext(v36), v30 src0_sel:BYTE_0 src1_sel:DWORD
	s_nop 1
	v_cndmask_b32_e32 v36, v28, v29, vcc
	v_or_b32_e32 v36, v44, v36
	v_or3_b32 v36, v36, v43, v45
	v_cmp_eq_u32_e32 vcc, 0, v33
	v_and_b32_e32 v43, 2, v38
	v_and_b32_e32 v44, 4, v38
	v_cndmask_b32_e32 v33, 1, v23, vcc
	v_cmp_eq_u32_e32 vcc, 0, v43
	v_and_b32_e32 v45, 8, v38
	s_nop 0
	v_cndmask_b32_e32 v43, v24, v25, vcc
	v_cmp_eq_u32_e32 vcc, 0, v44
	v_or_b32_e32 v33, v33, v43
	v_and_b32_e32 v43, 16, v38
	v_cndmask_b32_e32 v44, v26, v27, vcc
	v_cmp_eq_u32_e32 vcc, 0, v45
	s_nop 1
	v_cndmask_b32_e32 v45, v28, v29, vcc
	v_or3_b32 v33, v33, v44, v45
	v_cmp_eq_u32_e32 vcc, 0, v43
	v_and_b32_e32 v44, 32, v38
	v_and_b32_e32 v45, 64, v38
	v_cndmask_b32_e32 v43, 1, v23, vcc
	v_cmp_eq_u32_e32 vcc, 0, v44
	s_nop 1
	v_cndmask_b32_e32 v44, v24, v25, vcc
	v_cmp_eq_u32_e32 vcc, 0, v45
	s_nop 1
	v_cndmask_b32_e32 v45, v26, v27, vcc
	v_cmp_gt_i16_sdwa vcc, sext(v38), v30 src0_sel:BYTE_0 src1_sel:DWORD
	s_nop 1
	v_cndmask_b32_e32 v38, v28, v29, vcc
	v_or_b32_e32 v38, v44, v38
	v_or3_b32 v38, v38, v43, v45
	v_mov_b32_e32 v43, 0
	v_dot4c_i32_i8_e32 v43, v39, v5
	v_dot4c_i32_i8_e32 v43, v40, v6
	;; [unrolled: 1-line block ×8, first 2 shown]
	v_cvt_f32_f16_e32 v0, v32
	v_mul_f32_e32 v2, v34, v4
	v_cmp_le_u32_e32 vcc, s15, v18
	v_cvt_f32_i32_e32 v1, v43
	v_mul_f32_e32 v0, v0, v4
	v_fmac_f32_e32 v19, v2, v35
	s_or_b64 s[12:13], vcc, s[12:13]
	v_fmac_f32_e32 v22, v0, v1
	s_andn2_b64 exec, exec, s[12:13]
	s_cbranch_execz .LBB1_22
.LBB1_18:                               ; =>This Inner Loop Header: Depth=1
	global_load_dwordx4 v[4:7], v[10:11], off offset:-32
	global_load_dwordx4 v[0:3], v[10:11], off offset:-16
	global_load_dword v31, v[10:11], off
	v_add_u32_e32 v34, s21, v18
	v_mad_i64_i32 v[36:37], s[28:29], v34, 18, s[16:17]
	v_lshl_add_u64 v[38:39], v[36:37], 0, v[8:9]
	global_load_ushort v32, v[36:37], off
	global_load_dword v33, v[38:39], off offset:2
	s_and_b64 vcc, exec, s[10:11]
	s_waitcnt vmcnt(4)
	v_cvt_f32_f16_e32 v4, v4
	s_cbranch_vccnz .LBB1_20
; %bb.19:                               ;   in Loop: Header=BB1_18 Depth=1
	v_mad_i64_i32 v[34:35], s[28:29], v34, 18, s[36:37]
	v_lshl_add_u64 v[36:37], v[34:35], 0, v[8:9]
	global_load_dword v38, v[36:37], off offset:2
	global_load_ushort v39, v[34:35], off
	s_waitcnt vmcnt(1)
	v_and_b32_e32 v37, 1, v38
	v_cmp_gt_i16_sdwa vcc, sext(v38), v30 src0_sel:BYTE_0 src1_sel:DWORD
	v_and_b32_e32 v40, 2, v38
	v_and_b32_e32 v41, 4, v38
	v_cndmask_b32_e32 v46, v28, v29, vcc
	v_cmp_eq_u32_e32 vcc, 0, v37
	v_and_b32_e32 v42, 8, v38
	v_and_b32_e32 v43, 16, v38
	v_cndmask_b32_e32 v37, 1, v23, vcc
	v_cmp_eq_u32_e32 vcc, 0, v40
	;; [unrolled: 4-line block ×3, first 2 shown]
	v_bfe_u32 v47, v38, 8, 1
	v_lshrrev_b32_e32 v35, 8, v38
	v_cndmask_b32_e32 v41, v26, v27, vcc
	v_cmp_eq_u32_e32 vcc, 0, v42
	v_bfe_u32 v48, v38, 16, 1
	v_lshrrev_b32_e32 v34, 16, v38
	v_cndmask_b32_e32 v42, v28, v29, vcc
	v_cmp_eq_u32_e32 vcc, 0, v43
	v_and_b32_e32 v49, 2, v35
	v_and_b32_e32 v50, 4, v35
	v_cndmask_b32_e32 v43, 1, v23, vcc
	v_cmp_eq_u32_e32 vcc, 0, v44
	v_and_b32_e32 v51, 8, v35
	v_and_b32_e32 v52, 16, v35
	;; [unrolled: 4-line block ×4, first 2 shown]
	v_cndmask_b32_e32 v47, 1, v23, vcc
	v_cmp_gt_i16_sdwa vcc, sext(v35), v30 src0_sel:BYTE_0 src1_sel:DWORD
	v_and_b32_e32 v57, 8, v34
	v_and_b32_e32 v58, 16, v34
	v_cndmask_b32_e32 v35, v28, v29, vcc
	v_cmp_eq_u32_e32 vcc, 0, v48
	v_and_b32_e32 v59, 32, v34
	v_and_b32_e32 v60, 64, v34
	v_cndmask_b32_e32 v48, 1, v23, vcc
	v_cmp_gt_i16_sdwa vcc, sext(v34), v30 src0_sel:BYTE_0 src1_sel:DWORD
	v_or_b32_e32 v37, v37, v40
	v_or_b32_e32 v40, v44, v46
	v_cndmask_b32_e32 v34, v28, v29, vcc
	v_cmp_eq_u32_e32 vcc, 0, v49
	v_lshrrev_b32_e32 v36, 24, v38
	v_bfe_u32 v38, v38, 24, 1
	v_cndmask_b32_e32 v44, v24, v25, vcc
	v_cmp_eq_u32_e32 vcc, 0, v50
	v_or3_b32 v40, v40, v43, v45
	v_and_b32_e32 v43, 2, v36
	v_cndmask_b32_e32 v46, v26, v27, vcc
	v_cmp_eq_u32_e32 vcc, 0, v51
	v_or3_b32 v37, v37, v41, v42
	v_or_b32_e32 v41, v47, v44
	v_cndmask_b32_e32 v49, v28, v29, vcc
	v_cmp_eq_u32_e32 vcc, 0, v52
	v_and_b32_e32 v44, 4, v36
	v_and_b32_e32 v45, 8, v36
	v_cndmask_b32_e32 v50, 1, v23, vcc
	v_cmp_eq_u32_e32 vcc, 0, v53
	v_or3_b32 v41, v41, v46, v49
	s_nop 0
	v_cndmask_b32_e32 v51, v24, v25, vcc
	v_cmp_eq_u32_e32 vcc, 0, v54
	v_or_b32_e32 v35, v51, v35
	s_nop 0
	v_cndmask_b32_e32 v52, v26, v27, vcc
	v_cmp_eq_u32_e32 vcc, 0, v55
	v_or3_b32 v35, v35, v50, v52
	s_nop 0
	v_cndmask_b32_e32 v53, v24, v25, vcc
	v_cmp_eq_u32_e32 vcc, 0, v56
	v_or_b32_e32 v42, v48, v53
	s_nop 0
	v_cndmask_b32_e32 v54, v26, v27, vcc
	v_cmp_eq_u32_e32 vcc, 0, v57
	s_nop 1
	v_cndmask_b32_e32 v55, v28, v29, vcc
	v_cmp_eq_u32_e32 vcc, 0, v58
	v_or3_b32 v42, v42, v54, v55
	s_nop 0
	v_cndmask_b32_e32 v56, 1, v23, vcc
	v_cmp_eq_u32_e32 vcc, 0, v59
	s_nop 1
	v_cndmask_b32_e32 v57, v24, v25, vcc
	v_cmp_eq_u32_e32 vcc, 0, v60
	v_or_b32_e32 v34, v57, v34
	s_nop 0
	v_cndmask_b32_e32 v58, v26, v27, vcc
	v_cmp_eq_u32_e32 vcc, 0, v38
	v_or3_b32 v34, v34, v56, v58
	s_nop 0
	v_cndmask_b32_e32 v38, 1, v23, vcc
	v_cmp_eq_u32_e32 vcc, 0, v43
	s_nop 1
	v_cndmask_b32_e32 v43, v24, v25, vcc
	v_cmp_eq_u32_e32 vcc, 0, v44
	v_or_b32_e32 v38, v38, v43
	v_and_b32_e32 v43, 16, v36
	v_cndmask_b32_e32 v44, v26, v27, vcc
	v_cmp_eq_u32_e32 vcc, 0, v45
	s_nop 1
	v_cndmask_b32_e32 v45, v28, v29, vcc
	v_or3_b32 v38, v38, v44, v45
	v_cmp_eq_u32_e32 vcc, 0, v43
	v_and_b32_e32 v44, 32, v36
	v_and_b32_e32 v45, 64, v36
	v_cndmask_b32_e32 v43, 1, v23, vcc
	v_cmp_eq_u32_e32 vcc, 0, v44
	s_nop 1
	v_cndmask_b32_e32 v44, v24, v25, vcc
	v_cmp_eq_u32_e32 vcc, 0, v45
	s_nop 1
	v_cndmask_b32_e32 v45, v26, v27, vcc
	v_cmp_gt_i16_sdwa vcc, sext(v36), v30 src0_sel:BYTE_0 src1_sel:DWORD
	s_nop 1
	v_cndmask_b32_e32 v36, v28, v29, vcc
	v_or_b32_e32 v36, v44, v36
	v_or3_b32 v36, v36, v43, v45
	v_mov_b32_e32 v43, 0
	v_dot4c_i32_i8_e32 v43, v37, v5
	v_dot4c_i32_i8_e32 v43, v40, v6
	;; [unrolled: 1-line block ×8, first 2 shown]
	s_waitcnt vmcnt(0)
	v_cvt_f32_f16_e32 v34, v39
	v_mul_f32_e32 v34, v4, v34
	v_cvt_f32_i32_e32 v35, v43
	v_fmac_f32_e32 v21, v34, v35
.LBB1_20:                               ;   in Loop: Header=BB1_18 Depth=1
	v_add_u32_e32 v36, s24, v18
	v_mad_i64_i32 v[38:39], s[28:29], v36, 18, s[16:17]
	v_lshl_add_u64 v[40:41], v[38:39], 0, v[8:9]
	global_load_ushort v34, v[38:39], off
	global_load_dword v35, v[40:41], off offset:2
	s_and_b64 vcc, exec, s[10:11]
	s_cbranch_vccnz .LBB1_17
; %bb.21:                               ;   in Loop: Header=BB1_18 Depth=1
	v_mad_i64_i32 v[36:37], s[28:29], v36, 18, s[36:37]
	v_lshl_add_u64 v[38:39], v[36:37], 0, v[8:9]
	global_load_dword v40, v[38:39], off offset:2
	global_load_ushort v41, v[36:37], off
	s_waitcnt vmcnt(1)
	v_and_b32_e32 v39, 1, v40
	v_cmp_gt_i16_sdwa vcc, sext(v40), v30 src0_sel:BYTE_0 src1_sel:DWORD
	v_and_b32_e32 v42, 2, v40
	v_and_b32_e32 v43, 4, v40
	v_cndmask_b32_e32 v48, v28, v29, vcc
	v_cmp_eq_u32_e32 vcc, 0, v39
	v_and_b32_e32 v44, 8, v40
	v_and_b32_e32 v45, 16, v40
	v_cndmask_b32_e32 v39, 1, v23, vcc
	v_cmp_eq_u32_e32 vcc, 0, v42
	;; [unrolled: 4-line block ×3, first 2 shown]
	v_bfe_u32 v49, v40, 8, 1
	v_lshrrev_b32_e32 v37, 8, v40
	v_cndmask_b32_e32 v43, v26, v27, vcc
	v_cmp_eq_u32_e32 vcc, 0, v44
	v_bfe_u32 v50, v40, 16, 1
	v_lshrrev_b32_e32 v36, 16, v40
	v_cndmask_b32_e32 v44, v28, v29, vcc
	v_cmp_eq_u32_e32 vcc, 0, v45
	v_and_b32_e32 v51, 2, v37
	v_and_b32_e32 v52, 4, v37
	v_cndmask_b32_e32 v45, 1, v23, vcc
	v_cmp_eq_u32_e32 vcc, 0, v46
	v_and_b32_e32 v53, 8, v37
	v_and_b32_e32 v54, 16, v37
	;; [unrolled: 4-line block ×4, first 2 shown]
	v_cndmask_b32_e32 v49, 1, v23, vcc
	v_cmp_gt_i16_sdwa vcc, sext(v37), v30 src0_sel:BYTE_0 src1_sel:DWORD
	v_and_b32_e32 v59, 8, v36
	v_and_b32_e32 v60, 16, v36
	v_cndmask_b32_e32 v37, v28, v29, vcc
	v_cmp_eq_u32_e32 vcc, 0, v50
	v_and_b32_e32 v61, 32, v36
	v_and_b32_e32 v62, 64, v36
	v_cndmask_b32_e32 v50, 1, v23, vcc
	v_cmp_gt_i16_sdwa vcc, sext(v36), v30 src0_sel:BYTE_0 src1_sel:DWORD
	v_or_b32_e32 v39, v39, v42
	v_or_b32_e32 v42, v46, v48
	v_cndmask_b32_e32 v36, v28, v29, vcc
	v_cmp_eq_u32_e32 vcc, 0, v51
	v_lshrrev_b32_e32 v38, 24, v40
	v_bfe_u32 v40, v40, 24, 1
	v_cndmask_b32_e32 v46, v24, v25, vcc
	v_cmp_eq_u32_e32 vcc, 0, v52
	v_or3_b32 v42, v42, v45, v47
	v_and_b32_e32 v45, 2, v38
	v_cndmask_b32_e32 v48, v26, v27, vcc
	v_cmp_eq_u32_e32 vcc, 0, v53
	v_or3_b32 v39, v39, v43, v44
	v_or_b32_e32 v43, v49, v46
	v_cndmask_b32_e32 v51, v28, v29, vcc
	v_cmp_eq_u32_e32 vcc, 0, v54
	v_and_b32_e32 v46, 4, v38
	v_and_b32_e32 v47, 8, v38
	v_cndmask_b32_e32 v52, 1, v23, vcc
	v_cmp_eq_u32_e32 vcc, 0, v55
	v_or3_b32 v43, v43, v48, v51
	s_nop 0
	v_cndmask_b32_e32 v53, v24, v25, vcc
	v_cmp_eq_u32_e32 vcc, 0, v56
	v_or_b32_e32 v37, v53, v37
	s_nop 0
	v_cndmask_b32_e32 v54, v26, v27, vcc
	v_cmp_eq_u32_e32 vcc, 0, v57
	v_or3_b32 v37, v37, v52, v54
	s_nop 0
	v_cndmask_b32_e32 v55, v24, v25, vcc
	v_cmp_eq_u32_e32 vcc, 0, v58
	v_or_b32_e32 v44, v50, v55
	s_nop 0
	v_cndmask_b32_e32 v56, v26, v27, vcc
	v_cmp_eq_u32_e32 vcc, 0, v59
	s_nop 1
	v_cndmask_b32_e32 v57, v28, v29, vcc
	v_cmp_eq_u32_e32 vcc, 0, v60
	v_or3_b32 v44, v44, v56, v57
	s_nop 0
	v_cndmask_b32_e32 v58, 1, v23, vcc
	v_cmp_eq_u32_e32 vcc, 0, v61
	s_nop 1
	v_cndmask_b32_e32 v59, v24, v25, vcc
	v_cmp_eq_u32_e32 vcc, 0, v62
	v_or_b32_e32 v36, v59, v36
	s_nop 0
	v_cndmask_b32_e32 v60, v26, v27, vcc
	v_cmp_eq_u32_e32 vcc, 0, v40
	v_or3_b32 v36, v36, v58, v60
	s_nop 0
	v_cndmask_b32_e32 v40, 1, v23, vcc
	v_cmp_eq_u32_e32 vcc, 0, v45
	s_nop 1
	v_cndmask_b32_e32 v45, v24, v25, vcc
	v_cmp_eq_u32_e32 vcc, 0, v46
	v_or_b32_e32 v40, v40, v45
	v_and_b32_e32 v45, 16, v38
	v_cndmask_b32_e32 v46, v26, v27, vcc
	v_cmp_eq_u32_e32 vcc, 0, v47
	s_nop 1
	v_cndmask_b32_e32 v47, v28, v29, vcc
	v_or3_b32 v40, v40, v46, v47
	v_cmp_eq_u32_e32 vcc, 0, v45
	v_and_b32_e32 v46, 32, v38
	v_and_b32_e32 v47, 64, v38
	v_cndmask_b32_e32 v45, 1, v23, vcc
	v_cmp_eq_u32_e32 vcc, 0, v46
	s_nop 1
	v_cndmask_b32_e32 v46, v24, v25, vcc
	v_cmp_eq_u32_e32 vcc, 0, v47
	s_nop 1
	v_cndmask_b32_e32 v47, v26, v27, vcc
	v_cmp_gt_i16_sdwa vcc, sext(v38), v30 src0_sel:BYTE_0 src1_sel:DWORD
	s_nop 1
	v_cndmask_b32_e32 v38, v28, v29, vcc
	v_or_b32_e32 v38, v46, v38
	v_or3_b32 v38, v38, v45, v47
	v_mov_b32_e32 v45, 0
	v_dot4c_i32_i8_e32 v45, v39, v5
	v_dot4c_i32_i8_e32 v45, v42, v6
	;; [unrolled: 1-line block ×8, first 2 shown]
	s_waitcnt vmcnt(0)
	v_cvt_f32_f16_e32 v36, v41
	v_mul_f32_e32 v36, v4, v36
	v_cvt_f32_i32_e32 v37, v45
	v_fmac_f32_e32 v20, v36, v37
	s_branch .LBB1_17
.LBB1_22:
	s_or_b64 exec, exec, s[12:13]
	ds_write2_b32 v16, v22, v19 offset1:1
	ds_write2_b32 v15, v21, v20 offset1:1
.LBB1_23:
	s_or_b64 exec, exec, s[0:1]
	s_load_dword s15, s[2:3], 0x30
	v_cmp_eq_u32_e64 s[0:1], 0, v17
	v_cmp_ne_u32_e32 vcc, 0, v17
	v_lshlrev_b32_e32 v0, 2, v12
	s_and_saveexec_b64 s[12:13], vcc
	s_cbranch_execz .LBB1_28
; %bb.24:
	v_add_u32_e32 v1, -1, v17
	v_lshl_or_b32 v1, v1, 9, v0
	s_mov_b64 s[16:17], -1
	s_and_b64 vcc, exec, s[22:23]
	ds_write_b32 v1, v22
	s_cbranch_vccz .LBB1_26
; %bb.25:
	ds_write_b32 v1, v19 offset:256
	s_mov_b64 s[16:17], 0
.LBB1_26:
	s_andn2_b64 vcc, exec, s[16:17]
	s_cbranch_vccnz .LBB1_28
; %bb.27:
	ds_write_b32 v1, v19 offset:256
	ds_write2st64_b32 v1, v21, v20 offset0:2 offset1:3
.LBB1_28:
	s_or_b64 exec, exec, s[12:13]
	s_waitcnt lgkmcnt(0)
	s_barrier
	s_and_saveexec_b64 s[12:13], s[0:1]
	s_cbranch_execz .LBB1_61
; %bb.29:
	ds_read_b32 v2, v0
	ds_read_b32 v3, v16
	s_and_b64 vcc, exec, s[10:11]
	s_cbranch_vccnz .LBB1_31
; %bb.30:
	ds_read_b32 v1, v0 offset:512
	ds_read_b32 v4, v15
	s_waitcnt lgkmcnt(0)
	v_add_f32_e32 v1, v1, v4
	ds_write_b32 v15, v1
.LBB1_31:
	v_mbcnt_lo_u32_b32 v1, -1, 0
	v_mbcnt_hi_u32_b32 v6, -1, v1
	v_and_b32_e32 v1, 64, v6
	v_add_u32_e32 v7, 64, v1
	v_xor_b32_e32 v1, 32, v6
	v_cmp_lt_i32_e32 vcc, v1, v7
	s_waitcnt lgkmcnt(0)
	v_add_f32_e32 v3, v2, v3
	v_xor_b32_e32 v2, 16, v6
	v_cndmask_b32_e32 v1, v6, v1, vcc
	v_lshlrev_b32_e32 v1, 2, v1
	ds_bpermute_b32 v4, v1, v3
	v_cmp_lt_i32_e32 vcc, v2, v7
	v_xor_b32_e32 v10, 1, v6
	s_waitcnt lgkmcnt(0)
	v_add_f32_e32 v4, v3, v4
	v_cndmask_b32_e32 v2, v6, v2, vcc
	v_lshlrev_b32_e32 v2, 2, v2
	ds_bpermute_b32 v5, v2, v4
	v_xor_b32_e32 v3, 8, v6
	v_cmp_lt_i32_e32 vcc, v3, v7
	s_waitcnt lgkmcnt(0)
	v_add_f32_e32 v5, v4, v5
	v_cndmask_b32_e32 v3, v6, v3, vcc
	v_lshlrev_b32_e32 v3, 2, v3
	ds_bpermute_b32 v8, v3, v5
	v_xor_b32_e32 v4, 4, v6
	v_cmp_lt_i32_e32 vcc, v4, v7
	;; [unrolled: 7-line block ×3, first 2 shown]
	s_waitcnt lgkmcnt(0)
	v_add_f32_e32 v8, v8, v9
	v_cndmask_b32_e32 v5, v6, v5, vcc
	v_lshlrev_b32_e32 v5, 2, v5
	ds_bpermute_b32 v9, v5, v8
	v_cmp_lt_i32_e32 vcc, v10, v7
	s_waitcnt lgkmcnt(0)
	v_add_f32_e32 v7, v8, v9
	v_cndmask_b32_e32 v6, v6, v10, vcc
	v_lshlrev_b32_e32 v6, 2, v6
	ds_bpermute_b32 v8, v6, v7
	s_and_b64 vcc, exec, s[10:11]
	s_waitcnt lgkmcnt(0)
	v_add_f32_e32 v7, v7, v8
	ds_write_b32 v16, v7
	s_cbranch_vccnz .LBB1_33
; %bb.32:
	ds_read_b32 v7, v15
	s_waitcnt lgkmcnt(0)
	ds_bpermute_b32 v8, v1, v7
	s_waitcnt lgkmcnt(0)
	v_add_f32_e32 v7, v7, v8
	ds_bpermute_b32 v8, v2, v7
	s_waitcnt lgkmcnt(0)
	v_add_f32_e32 v7, v7, v8
	;; [unrolled: 3-line block ×6, first 2 shown]
	ds_write_b32 v15, v7
.LBB1_33:
	ds_read_b32 v7, v0 offset:256
	ds_read_b32 v8, v16 offset:4
	s_and_b64 vcc, exec, s[10:11]
	s_cbranch_vccnz .LBB1_35
; %bb.34:
	ds_read_b32 v9, v0 offset:768
	ds_read_b32 v10, v15 offset:4
	s_waitcnt lgkmcnt(0)
	v_add_f32_e32 v9, v9, v10
	ds_write_b32 v15, v9 offset:4
.LBB1_35:
	s_waitcnt lgkmcnt(0)
	v_add_f32_e32 v7, v7, v8
	ds_bpermute_b32 v8, v1, v7
	s_and_b64 vcc, exec, s[10:11]
	s_waitcnt lgkmcnt(0)
	v_add_f32_e32 v7, v7, v8
	ds_bpermute_b32 v8, v2, v7
	s_waitcnt lgkmcnt(0)
	v_add_f32_e32 v7, v7, v8
	ds_bpermute_b32 v8, v3, v7
	;; [unrolled: 3-line block ×5, first 2 shown]
	s_waitcnt lgkmcnt(0)
	v_add_f32_e32 v7, v7, v8
	ds_write_b32 v16, v7 offset:4
	s_cbranch_vccnz .LBB1_37
; %bb.36:
	ds_read_b32 v7, v15 offset:4
	s_waitcnt lgkmcnt(0)
	ds_bpermute_b32 v1, v1, v7
	s_waitcnt lgkmcnt(0)
	v_add_f32_e32 v1, v7, v1
	ds_bpermute_b32 v2, v2, v1
	s_waitcnt lgkmcnt(0)
	v_add_f32_e32 v1, v1, v2
	;; [unrolled: 3-line block ×6, first 2 shown]
	ds_write_b32 v15, v1 offset:4
.LBB1_37:
	v_add_u32_e32 v1, s20, v12
	v_cmp_gt_u32_e32 vcc, 2, v12
	v_cmp_gt_u32_e64 s[0:1], s7, v1
	s_and_b64 s[0:1], vcc, s[0:1]
	s_and_b64 exec, exec, s[0:1]
	s_cbranch_execz .LBB1_61
; %bb.38:
	v_lshl_add_u32 v1, v12, 2, v16
	ds_read_b32 v1, v1
	s_and_b64 vcc, exec, s[10:11]
	s_waitcnt vmcnt(0) lgkmcnt(0)
	v_add_f32_e32 v2, v14, v1
	v_cndmask_b32_e64 v1, v2, v1, s[8:9]
	s_cbranch_vccnz .LBB1_60
; %bb.39:
	v_lshl_add_u32 v2, v12, 2, v15
	ds_read_b32 v2, v2
	s_cmp_lt_i32 s15, 2
	s_mov_b64 s[0:1], 0
	s_waitcnt lgkmcnt(0)
	v_add_f32_e32 v3, v13, v2
	v_cndmask_b32_e64 v2, v2, v3, s[4:5]
	s_cbranch_scc1 .LBB1_43
; %bb.40:
	s_cmp_gt_i32 s15, 2
	s_cbranch_scc0 .LBB1_44
; %bb.41:
	s_cmp_eq_u32 s15, 3
	s_cbranch_scc0 .LBB1_45
; %bb.42:
	v_max_f32_e32 v3, v2, v2
	v_min_f32_e32 v3, 0x40e00000, v3
	v_mul_f32_e32 v5, 0xbfd9db23, v3
	s_mov_b32 s4, 0x3fb8aa3b
	v_mul_f32_e32 v4, 0x3fb8aa3b, v5
	v_fma_f32 v6, v5, s4, -v4
	v_rndne_f32_e32 v7, v4
	v_fmamk_f32 v6, v5, 0x32a5705f, v6
	v_sub_f32_e32 v4, v4, v7
	v_add_f32_e32 v4, v4, v6
	v_exp_f32_e32 v6, v4
	v_cvt_i32_f32_e32 v7, v7
	s_mov_b32 s4, 0xc2ce8ed0
	v_max_f32_e32 v4, v1, v1
	v_cmp_ngt_f32_e32 vcc, s4, v5
	v_ldexp_f32 v6, v6, v7
	s_mov_b32 s4, 0x42b17218
	v_min_f32_e32 v4, 0x40e00000, v4
	v_cndmask_b32_e32 v6, 0, v6, vcc
	v_mov_b32_e32 v7, 0x7f800000
	v_cmp_nlt_f32_e32 vcc, s4, v5
	v_max_f32_e32 v4, 0xc0e00000, v4
	s_nop 0
	v_cndmask_b32_e32 v5, v7, v6, vcc
	v_pk_add_f32 v[4:5], v[4:5], 1.0 op_sel_hi:[1,0]
	s_nop 0
	v_div_scale_f32 v6, s[4:5], v5, v5, v3
	v_rcp_f32_e32 v7, v6
	s_mov_b64 s[4:5], 0
	v_fma_f32 v8, -v6, v7, 1.0
	v_fmac_f32_e32 v7, v8, v7
	v_div_scale_f32 v8, vcc, v3, v5, v3
	v_mul_f32_e32 v9, v8, v7
	v_fma_f32 v10, -v6, v9, v8
	v_fmac_f32_e32 v9, v10, v7
	v_fma_f32 v6, -v6, v9, v8
	v_div_fmas_f32 v6, v6, v7, v9
	v_div_fixup_f32 v3, v6, v5, v3
	v_mul_f32_e32 v3, v4, v3
	s_branch .LBB1_46
.LBB1_43:
                                        ; implicit-def: $vgpr3
	s_mov_b64 s[4:5], 0
	s_cbranch_execnz .LBB1_50
	s_branch .LBB1_51
.LBB1_44:
	s_mov_b64 s[8:9], -1
	s_mov_b64 s[4:5], 0
                                        ; implicit-def: $vgpr3
	s_branch .LBB1_47
.LBB1_45:
	s_mov_b64 s[4:5], -1
                                        ; implicit-def: $vgpr3
.LBB1_46:
	s_mov_b64 s[8:9], 0
.LBB1_47:
	s_and_b64 vcc, exec, s[8:9]
	s_cbranch_vccz .LBB1_49
; %bb.48:
	v_mul_f32_e32 v3, 0xbfb8aa3b, v2
	s_mov_b32 s7, 0xbfb8aa3b
	v_rndne_f32_e32 v4, v3
	v_sub_f32_e32 v5, v3, v4
	v_fma_f32 v3, v2, s7, -v3
	v_fmamk_f32 v3, v2, 0xb2a5705f, v3
	v_add_f32_e32 v3, v5, v3
	v_exp_f32_e32 v3, v3
	v_cvt_i32_f32_e32 v4, v4
	s_mov_b32 s7, 0x42ce8ed0
	v_cmp_nlt_f32_e32 vcc, s7, v2
	s_mov_b32 s7, 0xc2b17218
	v_ldexp_f32 v3, v3, v4
	v_cndmask_b32_e32 v3, 0, v3, vcc
	v_mov_b32_e32 v4, 0x7f800000
	v_cmp_ngt_f32_e32 vcc, s7, v2
	s_nop 1
	v_cndmask_b32_e32 v3, v4, v3, vcc
	v_add_f32_e32 v3, 1.0, v3
	v_div_scale_f32 v4, s[8:9], v3, v3, v2
	v_rcp_f32_e32 v5, v4
	s_nop 0
	v_fma_f32 v6, -v4, v5, 1.0
	v_fmac_f32_e32 v5, v6, v5
	v_div_scale_f32 v6, vcc, v2, v3, v2
	v_mul_f32_e32 v7, v6, v5
	v_fma_f32 v8, -v4, v7, v6
	v_fmac_f32_e32 v7, v8, v5
	v_fma_f32 v4, -v4, v7, v6
	v_div_fmas_f32 v4, v4, v5, v7
	v_div_fixup_f32 v3, v4, v3, v2
	v_mul_f32_e32 v3, v1, v3
.LBB1_49:
	s_branch .LBB1_51
.LBB1_50:
	s_cmp_lg_u32 s15, 1
	s_mov_b64 s[0:1], -1
	s_cselect_b64 s[4:5], -1, 0
                                        ; implicit-def: $vgpr3
.LBB1_51:
	s_andn2_b64 vcc, exec, s[4:5]
	s_cbranch_vccz .LBB1_53
; %bb.52:
	s_andn2_b64 vcc, exec, s[0:1]
	s_cbranch_vccz .LBB1_54
	s_branch .LBB1_59
.LBB1_53:
	v_mul_f32_e32 v3, v1, v2
	s_cbranch_execnz .LBB1_59
.LBB1_54:
	v_mul_f32_e32 v4, 0x3d372713, v2
	v_mul_f32_e32 v3, 0x3f4c422a, v2
	v_fma_f32 v4, v2, v4, 1.0
	v_mul_f32_e32 v3, v3, v4
	s_mov_b32 s0, 0x3f200000
	v_cmp_nlt_f32_e64 s[0:1], |v3|, s0
                                        ; implicit-def: $vgpr4
	s_and_saveexec_b64 s[4:5], s[0:1]
	s_xor_b64 s[0:1], exec, s[4:5]
	s_cbranch_execz .LBB1_56
; %bb.55:
	v_add_f32_e64 v4, |v3|, |v3|
	v_mul_f32_e32 v5, 0x3fb8aa3b, v4
	s_mov_b32 s4, 0x3fb8aa3b
	v_rndne_f32_e32 v6, v5
	v_sub_f32_e32 v7, v5, v6
	v_fma_f32 v5, v4, s4, -v5
	v_fmamk_f32 v5, v4, 0x32a5705f, v5
	v_add_f32_e32 v5, v7, v5
	v_exp_f32_e32 v5, v5
	v_cvt_i32_f32_e32 v6, v6
	s_mov_b32 s4, 0xc2ce8ed0
	v_cmp_ngt_f32_e32 vcc, s4, v4
	s_mov_b32 s4, 0x42b17218
	v_ldexp_f32 v5, v5, v6
	v_cndmask_b32_e32 v5, 0, v5, vcc
	v_mov_b32_e32 v6, 0x7f800000
	v_cmp_nlt_f32_e32 vcc, s4, v4
	s_nop 1
	v_cndmask_b32_e32 v4, v6, v5, vcc
	v_add_f32_e32 v4, 1.0, v4
	v_rcp_f32_e32 v4, v4
	s_nop 0
	v_fma_f32 v4, v4, -2.0, 1.0
.LBB1_56:
	s_andn2_saveexec_b64 s[0:1], s[0:1]
; %bb.57:
	v_mul_f32_e32 v4, v3, v3
	v_mov_b32_e32 v5, 0x3ca908c9
	v_fmac_f32_e32 v5, 0xbbbac73d, v4
	v_fmaak_f32 v5, v4, v5, 0xbd5c1c4e
	v_fmaak_f32 v5, v4, v5, 0x3e088382
	;; [unrolled: 1-line block ×3, first 2 shown]
	v_mul_f32_e64 v5, |v3|, v5
	v_fma_f32 v4, v4, v5, |v3|
; %bb.58:
	s_or_b64 exec, exec, s[0:1]
	s_brev_b32 s0, -2
	v_bfi_b32 v3, s0, v4, v3
	v_mul_f32_e32 v2, 0.5, v2
	v_add_f32_e32 v3, 1.0, v3
	v_mul_f32_e32 v2, v2, v3
	v_mul_f32_e32 v3, v1, v2
.LBB1_59:
	v_mov_b32_e32 v1, v3
.LBB1_60:
	s_load_dwordx2 s[0:1], s[2:3], 0x38
	s_mul_i32 s4, s14, s26
	s_mul_i32 s6, s6, s30
	s_add_i32 s2, s4, s20
	s_add_i32 s2, s2, s6
	s_mov_b32 s3, 0
	s_lshl_b64 s[2:3], s[2:3], 2
	s_waitcnt lgkmcnt(0)
	s_add_u32 s0, s0, s2
	s_addc_u32 s1, s1, s3
	global_store_dword v0, v1, s[0:1]
.LBB1_61:
	s_endpgm
	.section	.rodata,"a",@progbits
	.p2align	6, 0x0
	.amdhsa_kernel _ZL13mul_mat_vec_qIL9ggml_type41ELi1ELb1ELb1EEvPKvS2_PKi31ggml_cuda_mm_fusion_args_devicePfj15HIP_vector_typeIjLj3EEjjjS8_jjjS8_jjjj
		.amdhsa_group_segment_fixed_size 3072
		.amdhsa_private_segment_fixed_size 0
		.amdhsa_kernarg_size 144
		.amdhsa_user_sgpr_count 4
		.amdhsa_user_sgpr_dispatch_ptr 1
		.amdhsa_user_sgpr_queue_ptr 0
		.amdhsa_user_sgpr_kernarg_segment_ptr 1
		.amdhsa_user_sgpr_dispatch_id 0
		.amdhsa_user_sgpr_kernarg_preload_length 0
		.amdhsa_user_sgpr_kernarg_preload_offset 0
		.amdhsa_user_sgpr_private_segment_size 0
		.amdhsa_uses_dynamic_stack 0
		.amdhsa_enable_private_segment 0
		.amdhsa_system_sgpr_workgroup_id_x 1
		.amdhsa_system_sgpr_workgroup_id_y 1
		.amdhsa_system_sgpr_workgroup_id_z 1
		.amdhsa_system_sgpr_workgroup_info 0
		.amdhsa_system_vgpr_workitem_id 2
		.amdhsa_next_free_vgpr 63
		.amdhsa_next_free_sgpr 46
		.amdhsa_accum_offset 64
		.amdhsa_reserve_vcc 1
		.amdhsa_float_round_mode_32 0
		.amdhsa_float_round_mode_16_64 0
		.amdhsa_float_denorm_mode_32 3
		.amdhsa_float_denorm_mode_16_64 3
		.amdhsa_dx10_clamp 1
		.amdhsa_ieee_mode 1
		.amdhsa_fp16_overflow 0
		.amdhsa_tg_split 0
		.amdhsa_exception_fp_ieee_invalid_op 0
		.amdhsa_exception_fp_denorm_src 0
		.amdhsa_exception_fp_ieee_div_zero 0
		.amdhsa_exception_fp_ieee_overflow 0
		.amdhsa_exception_fp_ieee_underflow 0
		.amdhsa_exception_fp_ieee_inexact 0
		.amdhsa_exception_int_div_zero 0
	.end_amdhsa_kernel
	.section	.text._ZL13mul_mat_vec_qIL9ggml_type41ELi1ELb1ELb1EEvPKvS2_PKi31ggml_cuda_mm_fusion_args_devicePfj15HIP_vector_typeIjLj3EEjjjS8_jjjS8_jjjj,"axG",@progbits,_ZL13mul_mat_vec_qIL9ggml_type41ELi1ELb1ELb1EEvPKvS2_PKi31ggml_cuda_mm_fusion_args_devicePfj15HIP_vector_typeIjLj3EEjjjS8_jjjS8_jjjj,comdat
.Lfunc_end1:
	.size	_ZL13mul_mat_vec_qIL9ggml_type41ELi1ELb1ELb1EEvPKvS2_PKi31ggml_cuda_mm_fusion_args_devicePfj15HIP_vector_typeIjLj3EEjjjS8_jjjS8_jjjj, .Lfunc_end1-_ZL13mul_mat_vec_qIL9ggml_type41ELi1ELb1ELb1EEvPKvS2_PKi31ggml_cuda_mm_fusion_args_devicePfj15HIP_vector_typeIjLj3EEjjjS8_jjjS8_jjjj
                                        ; -- End function
	.section	.AMDGPU.csdata,"",@progbits
; Kernel info:
; codeLenInByte = 5416
; NumSgprs: 52
; NumVgprs: 63
; NumAgprs: 0
; TotalNumVgprs: 63
; ScratchSize: 0
; MemoryBound: 0
; FloatMode: 240
; IeeeMode: 1
; LDSByteSize: 3072 bytes/workgroup (compile time only)
; SGPRBlocks: 6
; VGPRBlocks: 7
; NumSGPRsForWavesPerEU: 52
; NumVGPRsForWavesPerEU: 63
; AccumOffset: 64
; Occupancy: 8
; WaveLimiterHint : 0
; COMPUTE_PGM_RSRC2:SCRATCH_EN: 0
; COMPUTE_PGM_RSRC2:USER_SGPR: 4
; COMPUTE_PGM_RSRC2:TRAP_HANDLER: 0
; COMPUTE_PGM_RSRC2:TGID_X_EN: 1
; COMPUTE_PGM_RSRC2:TGID_Y_EN: 1
; COMPUTE_PGM_RSRC2:TGID_Z_EN: 1
; COMPUTE_PGM_RSRC2:TIDIG_COMP_CNT: 2
; COMPUTE_PGM_RSRC3_GFX90A:ACCUM_OFFSET: 15
; COMPUTE_PGM_RSRC3_GFX90A:TG_SPLIT: 0
	.section	.text._ZL13mul_mat_vec_qIL9ggml_type41ELi1ELb0ELb1EEvPKvS2_PKi31ggml_cuda_mm_fusion_args_devicePfj15HIP_vector_typeIjLj3EEjjjS8_jjjS8_jjjj,"axG",@progbits,_ZL13mul_mat_vec_qIL9ggml_type41ELi1ELb0ELb1EEvPKvS2_PKi31ggml_cuda_mm_fusion_args_devicePfj15HIP_vector_typeIjLj3EEjjjS8_jjjS8_jjjj,comdat
	.globl	_ZL13mul_mat_vec_qIL9ggml_type41ELi1ELb0ELb1EEvPKvS2_PKi31ggml_cuda_mm_fusion_args_devicePfj15HIP_vector_typeIjLj3EEjjjS8_jjjS8_jjjj ; -- Begin function _ZL13mul_mat_vec_qIL9ggml_type41ELi1ELb0ELb1EEvPKvS2_PKi31ggml_cuda_mm_fusion_args_devicePfj15HIP_vector_typeIjLj3EEjjjS8_jjjS8_jjjj
	.p2align	8
	.type	_ZL13mul_mat_vec_qIL9ggml_type41ELi1ELb0ELb1EEvPKvS2_PKi31ggml_cuda_mm_fusion_args_devicePfj15HIP_vector_typeIjLj3EEjjjS8_jjjS8_jjjj,@function
_ZL13mul_mat_vec_qIL9ggml_type41ELi1ELb0ELb1EEvPKvS2_PKi31ggml_cuda_mm_fusion_args_devicePfj15HIP_vector_typeIjLj3EEjjjS8_jjjS8_jjjj: ; @_ZL13mul_mat_vec_qIL9ggml_type41ELi1ELb0ELb1EEvPKvS2_PKi31ggml_cuda_mm_fusion_args_devicePfj15HIP_vector_typeIjLj3EEjjjS8_jjjS8_jjjj
; %bb.0:
	s_load_dwordx2 s[16:17], s[2:3], 0x10
	s_load_dwordx4 s[8:11], s[2:3], 0x40
	s_mov_b32 s28, s5
	s_mov_b64 s[14:15], 0
	s_waitcnt lgkmcnt(0)
	s_cmp_lg_u64 s[16:17], 0
	s_cselect_b64 s[12:13], -1, 0
	s_cmp_eq_u64 s[16:17], 0
	s_cbranch_scc1 .LBB2_5
; %bb.1:
	s_mov_b32 s29, 0
	s_lshl_b64 s[18:19], s[28:29], 2
	s_add_u32 s16, s16, s18
	s_addc_u32 s17, s17, s19
	s_load_dword s29, s[16:17], 0x0
	s_nop 0
	s_load_dwordx4 s[16:19], s[2:3], 0x68
	s_load_dword s5, s[2:3], 0x50
	s_andn2_b64 vcc, exec, s[14:15]
	s_cbranch_vccnz .LBB2_3
.LBB2_2:
	s_load_dwordx2 s[14:15], s[2:3], 0x5c
	s_waitcnt lgkmcnt(0)
	s_mul_hi_u32 s7, s14, s28
	s_add_i32 s7, s28, s7
	s_lshr_b32 s29, s7, s15
.LBB2_3:
	s_load_dword s14, s[2:3], 0x78
	s_andn2_b64 vcc, exec, s[12:13]
	s_cbranch_vccnz .LBB2_6
; %bb.4:
	s_mul_hi_u32 s7, s9, s28
	s_add_i32 s7, s28, s7
	s_lshr_b32 s7, s7, s10
	s_mul_i32 s7, s7, s11
	s_sub_i32 s9, s28, s7
	s_branch .LBB2_7
.LBB2_5:
                                        ; implicit-def: $sgpr29
	s_load_dwordx4 s[16:19], s[2:3], 0x68
	s_load_dword s5, s[2:3], 0x50
	s_branch .LBB2_2
.LBB2_6:
	s_mov_b32 s9, s28
.LBB2_7:
	s_load_dwordx2 s[10:11], s[0:1], 0x4
	s_load_dwordx4 s[20:23], s[2:3], 0x80
	v_bfe_u32 v16, v0, 10, 10
	v_and_b32_e32 v15, 0x3ff, v0
	v_bfe_u32 v0, v0, 20, 10
	s_waitcnt lgkmcnt(0)
	s_lshr_b32 s0, s10, 16
	v_mul_u32_u24_e32 v1, s11, v16
	s_mul_i32 s0, s0, s11
	v_mad_u32_u24 v1, s0, v15, v1
	v_add_lshl_u32 v1, v1, v0, 3
	v_lshl_add_u32 v0, v16, 6, v15
	s_lshr_b32 s23, s8, 7
	v_lshrrev_b32_e32 v17, 2, v0
	v_add_u32_e32 v14, 0x200, v1
	s_lshl_b32 s7, s4, 1
	v_mov_b32_e32 v11, 0
	v_cmp_gt_u32_e32 vcc, s23, v17
	v_mov_b32_e32 v10, 0
	ds_write2_b32 v1, v11, v11 offset0:128 offset1:129
	s_and_saveexec_b64 s[30:31], vcc
	s_cbranch_execz .LBB2_11
; %bb.8:
	s_mul_hi_u32 s1, s19, s6
	s_add_i32 s1, s6, s1
	s_lshr_b32 s1, s1, s14
	s_mul_i32 s0, s29, s16
	s_mul_i32 s1, s1, s20
	;; [unrolled: 1-line block ×3, first 2 shown]
	s_add_i32 s29, s1, s0
	s_add_i32 s0, s7, 1
	s_load_dwordx4 s[24:27], s[2:3], 0x0
	s_mul_i32 s9, s7, s5
	s_mul_i32 s5, s5, s0
	s_mul_hi_u32 s0, s8, 36
	s_mul_i32 s8, s8, 36
	v_lshrrev_b32_e32 v3, 2, v0
	v_mov_b32_e32 v0, s8
	v_mov_b32_e32 v1, s0
	s_movk_i32 s0, 0x90
	s_mul_i32 s4, s6, s21
	v_mad_u64_u32 v[0:1], s[0:1], v3, s0, v[0:1]
	v_and_b32_e32 v2, 3, v15
	v_mad_u64_u32 v[0:1], s[0:1], s4, 36, v[0:1]
	v_mad_u64_u32 v[0:1], s[0:1], v2, 36, v[0:1]
	v_mov_b32_e32 v9, 0
	s_waitcnt lgkmcnt(0)
	v_lshl_add_u64 v[0:1], v[0:1], 0, s[26:27]
	v_lshlrev_b32_e32 v8, 2, v2
	s_add_i32 s19, s29, s9
	s_add_i32 s29, s29, s5
	v_lshl_add_u64 v[12:13], v[0:1], 0, 32
	s_mov_b64 s[20:21], 0
	v_mov_b32_e32 v18, 0xff
	v_mov_b32_e32 v19, 0x100
	;; [unrolled: 1-line block ×7, first 2 shown]
	s_mov_b64 s[26:27], 0x1200
	v_mov_b32_e32 v25, -1
	v_mov_b32_e32 v10, v9
	v_mov_b32_e32 v11, v9
.LBB2_9:                                ; =>This Inner Loop Header: Depth=1
	v_add_u32_e32 v27, s19, v17
	v_add_u32_e32 v30, s29, v17
	v_mad_i64_i32 v[28:29], s[0:1], v27, 18, s[24:25]
	v_mad_i64_i32 v[30:31], s[0:1], v30, 18, s[24:25]
	global_load_dword v26, v[12:13], off
	global_load_dwordx4 v[0:3], v[12:13], off offset:-16
	global_load_dwordx4 v[4:7], v[12:13], off offset:-32
	v_lshl_add_u64 v[32:33], v[28:29], 0, v[8:9]
	v_lshl_add_u64 v[34:35], v[30:31], 0, v[8:9]
	global_load_ushort v27, v[28:29], off
	global_load_dword v38, v[32:33], off offset:2
	global_load_dword v39, v[34:35], off offset:2
	global_load_ushort v40, v[30:31], off
	v_mov_b32_e32 v36, 0
	v_mov_b32_e32 v37, 0
	v_add_u32_e32 v17, 32, v17
	v_lshl_add_u64 v[12:13], v[12:13], 0, s[26:27]
	s_waitcnt vmcnt(3)
	v_cvt_f32_f16_e32 v28, v27
	s_waitcnt vmcnt(2)
	v_cmp_gt_i16_sdwa vcc, sext(v38), v25 src0_sel:BYTE_0 src1_sel:DWORD
	v_and_b32_e32 v32, 1, v38
	v_and_b32_e32 v33, 2, v38
	v_cndmask_b32_e32 v44, v23, v24, vcc
	s_waitcnt vmcnt(1)
	v_cmp_gt_i16_sdwa vcc, sext(v39), v25 src0_sel:BYTE_0 src1_sel:DWORD
	v_and_b32_e32 v34, 4, v38
	v_and_b32_e32 v35, 8, v38
	v_cndmask_b32_e32 v57, v23, v24, vcc
	v_cmp_eq_u32_e32 vcc, 0, v32
	v_and_b32_e32 v41, 16, v38
	v_and_b32_e32 v42, 32, v38
	v_cndmask_b32_e32 v32, 1, v18, vcc
	v_cmp_eq_u32_e32 vcc, 0, v33
	v_and_b32_e32 v43, 64, v38
	s_waitcnt vmcnt(0)
	v_cvt_f32_f16_e32 v29, v40
	v_cndmask_b32_e32 v33, v19, v20, vcc
	v_cmp_eq_u32_e32 vcc, 0, v34
	v_lshrrev_b32_e32 v30, 8, v38
	v_bfe_u32 v45, v38, 8, 1
	v_cndmask_b32_e32 v34, v21, v22, vcc
	v_cmp_eq_u32_e32 vcc, 0, v35
	v_bfe_u32 v46, v38, 16, 1
	v_and_b32_e32 v50, 1, v39
	v_cndmask_b32_e32 v35, v23, v24, vcc
	v_cmp_eq_u32_e32 vcc, 0, v41
	v_or_b32_e32 v32, v32, v33
	v_cmp_gt_i16_sdwa s[0:1], sext(v30), v25 src0_sel:BYTE_0 src1_sel:DWORD
	v_cndmask_b32_e32 v40, 1, v18, vcc
	v_cmp_eq_u32_e32 vcc, 0, v42
	v_and_b32_e32 v51, 2, v39
	v_and_b32_e32 v60, 4, v30
	v_cndmask_b32_e32 v41, v19, v20, vcc
	v_cmp_eq_u32_e32 vcc, 0, v43
	v_and_b32_e32 v33, 8, v30
	v_or3_b32 v32, v32, v34, v35
	v_cndmask_b32_e32 v42, v21, v22, vcc
	v_cmp_eq_u32_e32 vcc, 0, v45
	v_and_b32_e32 v45, 2, v30
	v_and_b32_e32 v34, 16, v30
	v_cndmask_b32_e32 v43, 1, v18, vcc
	v_and_b32_e32 v35, 32, v30
	v_cmp_eq_u32_e32 vcc, 0, v46
	v_and_b32_e32 v46, 64, v30
	v_cndmask_b32_e64 v30, v23, v24, s[0:1]
	v_cmp_eq_u32_e64 s[0:1], 0, v50
	v_and_b32_e32 v52, 4, v39
	v_and_b32_e32 v53, 8, v39
	v_cndmask_b32_e64 v50, 1, v18, s[0:1]
	v_cmp_eq_u32_e64 s[0:1], 0, v51
	v_lshrrev_b32_e32 v27, 16, v38
	v_or_b32_e32 v41, v41, v44
	v_cndmask_b32_e32 v44, 1, v18, vcc
	v_cmp_eq_u32_e32 vcc, 0, v53
	v_cndmask_b32_e64 v51, v19, v20, s[0:1]
	v_cmp_eq_u32_e64 s[0:1], 0, v52
	v_lshrrev_b32_e32 v31, 24, v38
	v_bfe_u32 v38, v38, 24, 1
	v_and_b32_e32 v56, 64, v39
	v_cndmask_b32_e64 v52, v21, v22, s[0:1]
	v_or_b32_e32 v50, v50, v51
	v_cndmask_b32_e32 v51, v23, v24, vcc
	v_cmp_gt_i16_sdwa s[0:1], sext(v27), v25 src0_sel:BYTE_0 src1_sel:DWORD
	v_and_b32_e32 v54, 16, v39
	v_or3_b32 v40, v41, v40, v42
	v_and_b32_e32 v41, 2, v27
	v_and_b32_e32 v42, 4, v27
	;; [unrolled: 1-line block ×3, first 2 shown]
	v_or3_b32 v50, v50, v52, v51
	v_and_b32_e32 v51, 16, v27
	v_and_b32_e32 v52, 32, v27
	v_cmp_eq_u32_e32 vcc, 0, v56
	v_and_b32_e32 v56, 64, v27
	v_cndmask_b32_e64 v27, v23, v24, s[0:1]
	v_cmp_eq_u32_e64 s[0:1], 0, v38
	v_and_b32_e32 v55, 32, v39
	v_bfe_u32 v58, v39, 8, 1
	v_cndmask_b32_e64 v38, 1, v18, s[0:1]
	v_cmp_eq_u32_e64 s[0:1], 0, v54
	v_lshrrev_b32_e32 v48, 8, v39
	v_bfe_u32 v59, v39, 16, 1
	v_cndmask_b32_e64 v54, 1, v18, s[0:1]
	v_cmp_eq_u32_e64 s[0:1], 0, v55
	v_lshrrev_b32_e32 v47, 16, v39
	v_lshrrev_b32_e32 v49, 24, v39
	v_cndmask_b32_e64 v55, v19, v20, s[0:1]
	v_cmp_eq_u32_e64 s[0:1], 0, v45
	v_or_b32_e32 v55, v55, v57
	v_cndmask_b32_e32 v57, v21, v22, vcc
	v_cmp_eq_u32_e32 vcc, 0, v33
	v_cndmask_b32_e64 v45, v19, v20, s[0:1]
	v_cmp_eq_u32_e64 s[0:1], 0, v60
	v_or_b32_e32 v43, v43, v45
	v_cndmask_b32_e32 v45, v23, v24, vcc
	v_cndmask_b32_e64 v60, v21, v22, s[0:1]
	v_cmp_eq_u32_e32 vcc, 0, v58
	v_cmp_gt_i16_sdwa s[0:1], sext(v31), v25 src0_sel:BYTE_0 src1_sel:DWORD
	v_or3_b32 v54, v55, v54, v57
	v_and_b32_e32 v55, 2, v31
	v_and_b32_e32 v57, 4, v31
	;; [unrolled: 1-line block ×3, first 2 shown]
	v_or3_b32 v43, v43, v60, v45
	v_and_b32_e32 v45, 16, v31
	v_and_b32_e32 v60, 32, v31
	;; [unrolled: 1-line block ×3, first 2 shown]
	v_cndmask_b32_e64 v31, v23, v24, s[0:1]
	v_cmp_eq_u32_e64 s[0:1], 0, v46
	v_cndmask_b32_e32 v46, 1, v18, vcc
	v_cmp_eq_u32_e32 vcc, 0, v34
	v_bfe_u32 v39, v39, 24, 1
	v_dot4c_i32_i8_e32 v36, v32, v5
	v_cndmask_b32_e32 v34, 1, v18, vcc
	v_cmp_eq_u32_e32 vcc, 0, v35
	v_dot4c_i32_i8_e32 v37, v50, v5
	v_dot4c_i32_i8_e32 v36, v40, v6
	v_cndmask_b32_e32 v35, v19, v20, vcc
	v_or_b32_e32 v30, v35, v30
	v_cndmask_b32_e64 v35, v21, v22, s[0:1]
	v_cmp_eq_u32_e64 s[0:1], 0, v41
	v_cmp_eq_u32_e32 vcc, 0, v53
	v_or3_b32 v30, v30, v34, v35
	v_cndmask_b32_e64 v41, v19, v20, s[0:1]
	v_cmp_eq_u32_e64 s[0:1], 0, v42
	v_or_b32_e32 v41, v44, v41
	v_cndmask_b32_e32 v44, v23, v24, vcc
	v_cndmask_b32_e64 v42, v21, v22, s[0:1]
	v_cmp_eq_u32_e32 vcc, 0, v59
	v_cmp_gt_i16_sdwa s[0:1], sext(v48), v25 src0_sel:BYTE_0 src1_sel:DWORD
	v_and_b32_e32 v34, 2, v48
	v_and_b32_e32 v35, 4, v48
	;; [unrolled: 1-line block ×3, first 2 shown]
	v_or3_b32 v41, v41, v42, v44
	v_and_b32_e32 v42, 16, v48
	v_and_b32_e32 v44, 32, v48
	v_and_b32_e32 v59, 64, v48
	v_cndmask_b32_e64 v48, v23, v24, s[0:1]
	v_cmp_eq_u32_e64 s[0:1], 0, v56
	v_cndmask_b32_e32 v56, 1, v18, vcc
	v_cmp_eq_u32_e32 vcc, 0, v51
	v_dot4c_i32_i8_e32 v37, v54, v6
	v_dot4c_i32_i8_e32 v36, v43, v7
	v_cndmask_b32_e32 v51, 1, v18, vcc
	v_cmp_eq_u32_e32 vcc, 0, v52
	v_dot4c_i32_i8_e32 v36, v30, v0
	v_dot4c_i32_i8_e32 v36, v41, v1
	v_cndmask_b32_e32 v52, v19, v20, vcc
	v_or_b32_e32 v27, v52, v27
	v_cndmask_b32_e64 v52, v21, v22, s[0:1]
	v_cmp_eq_u32_e64 s[0:1], 0, v55
	v_cmp_eq_u32_e32 vcc, 0, v33
	v_or3_b32 v27, v27, v51, v52
	v_cndmask_b32_e64 v55, v19, v20, s[0:1]
	v_cmp_eq_u32_e64 s[0:1], 0, v57
	v_or_b32_e32 v38, v38, v55
	v_cndmask_b32_e32 v55, v23, v24, vcc
	v_cndmask_b32_e64 v57, v21, v22, s[0:1]
	v_cmp_eq_u32_e32 vcc, 0, v39
	v_and_b32_e32 v39, 64, v47
	v_cmp_gt_i16_sdwa s[0:1], sext(v47), v25 src0_sel:BYTE_0 src1_sel:DWORD
	v_and_b32_e32 v51, 2, v47
	v_and_b32_e32 v52, 4, v47
	;; [unrolled: 1-line block ×3, first 2 shown]
	v_or3_b32 v38, v38, v57, v55
	v_and_b32_e32 v55, 16, v47
	v_and_b32_e32 v57, 32, v47
	v_cndmask_b32_e64 v47, v23, v24, s[0:1]
	v_cmp_eq_u32_e64 s[0:1], 0, v39
	v_and_b32_e32 v39, 2, v49
	v_cmp_eq_u32_e64 s[4:5], 0, v39
	v_and_b32_e32 v39, 4, v49
	;; [unrolled: 2-line block ×5, first 2 shown]
	v_cmp_eq_u32_e64 s[14:15], 0, v39
	v_cndmask_b32_e32 v39, 1, v18, vcc
	v_cmp_gt_i16_sdwa vcc, sext(v49), v25 src0_sel:BYTE_0 src1_sel:DWORD
	v_and_b32_e32 v49, 64, v49
	v_cmp_eq_u32_e64 s[16:17], 0, v49
	v_cndmask_b32_e32 v49, v23, v24, vcc
	v_cmp_eq_u32_e32 vcc, 0, v45
	v_dot4c_i32_i8_e32 v36, v27, v2
	v_dot4c_i32_i8_e32 v36, v38, v3
	v_cndmask_b32_e32 v45, 1, v18, vcc
	v_cmp_eq_u32_e32 vcc, 0, v60
	v_cvt_f32_f16_e32 v4, v4
	s_nop 0
	v_cndmask_b32_e32 v60, v19, v20, vcc
	v_cmp_eq_u32_e32 vcc, 0, v58
	v_or_b32_e32 v31, v60, v31
	v_cndmask_b32_e64 v60, v21, v22, s[0:1]
	v_cndmask_b32_e32 v58, v21, v22, vcc
	v_cmp_eq_u32_e32 vcc, 0, v34
	v_or3_b32 v31, v31, v45, v58
	v_dot4c_i32_i8_e32 v36, v31, v26
	v_cndmask_b32_e32 v34, v19, v20, vcc
	v_cmp_eq_u32_e32 vcc, 0, v35
	v_or_b32_e32 v34, v46, v34
	v_cndmask_b32_e64 v46, v19, v20, s[4:5]
	v_cndmask_b32_e32 v35, v21, v22, vcc
	v_cmp_eq_u32_e32 vcc, 0, v53
	v_or_b32_e32 v39, v39, v46
	v_cndmask_b32_e64 v46, v19, v20, s[14:15]
	v_cndmask_b32_e32 v53, v23, v24, vcc
	v_cmp_eq_u32_e32 vcc, 0, v42
	v_or3_b32 v32, v34, v35, v53
	v_dot4c_i32_i8_e32 v37, v32, v7
	v_cndmask_b32_e32 v42, 1, v18, vcc
	v_cmp_eq_u32_e32 vcc, 0, v44
	v_or_b32_e32 v46, v46, v49
	v_cndmask_b32_e64 v49, v21, v22, s[16:17]
	;; [unrolled: 12-line block ×3, first 2 shown]
	v_cndmask_b32_e32 v52, v21, v22, vcc
	v_cmp_eq_u32_e32 vcc, 0, v33
	v_or3_b32 v39, v39, v48, v56
	v_cvt_f32_i32_e32 v0, v36
	v_cndmask_b32_e32 v33, v23, v24, vcc
	v_cmp_eq_u32_e32 vcc, 0, v55
	v_or3_b32 v33, v51, v52, v33
	v_dot4c_i32_i8_e32 v37, v33, v1
	v_cndmask_b32_e32 v55, 1, v18, vcc
	v_cmp_eq_u32_e32 vcc, 0, v57
	s_nop 1
	v_cndmask_b32_e32 v57, v19, v20, vcc
	v_or_b32_e32 v47, v57, v47
	v_or3_b32 v35, v47, v55, v60
	v_cndmask_b32_e64 v57, 1, v18, s[12:13]
	v_dot4c_i32_i8_e32 v37, v35, v2
	v_or3_b32 v42, v46, v57, v49
	v_dot4c_i32_i8_e32 v37, v39, v3
	v_dot4c_i32_i8_e32 v37, v42, v26
	v_cmp_le_u32_e32 vcc, s23, v17
	v_pk_mul_f32 v[2:3], v[4:5], v[28:29] op_sel_hi:[0,1]
	s_or_b64 s[20:21], vcc, s[20:21]
	v_cvt_f32_i32_e32 v1, v37
	v_pk_fma_f32 v[10:11], v[2:3], v[0:1], v[10:11]
	s_andn2_b64 exec, exec, s[20:21]
	s_cbranch_execnz .LBB2_9
; %bb.10:
	s_or_b64 exec, exec, s[20:21]
	ds_write2_b32 v14, v10, v11 offset1:1
.LBB2_11:
	s_or_b64 exec, exec, s[30:31]
	v_cmp_eq_u32_e32 vcc, 0, v16
	v_cmp_ne_u32_e64 s[0:1], 0, v16
	v_lshlrev_b32_e32 v0, 2, v15
	s_and_saveexec_b64 s[4:5], s[0:1]
	s_cbranch_execz .LBB2_13
; %bb.12:
	v_lshl_or_b32 v1, v16, 9, v0
	v_add_u32_e32 v1, 0xfffffe00, v1
	ds_write2st64_b32 v1, v10, v11 offset1:1
.LBB2_13:
	s_or_b64 exec, exec, s[4:5]
	s_waitcnt lgkmcnt(0)
	s_barrier
	s_and_saveexec_b64 s[0:1], vcc
	s_cbranch_execz .LBB2_16
; %bb.14:
	v_mbcnt_lo_u32_b32 v1, -1, 0
	v_mbcnt_hi_u32_b32 v1, -1, v1
	v_and_b32_e32 v2, 64, v1
	v_add_u32_e32 v6, 64, v2
	ds_read2st64_b32 v[2:3], v0 offset1:1
	ds_read2_b32 v[4:5], v14 offset1:1
	v_xor_b32_e32 v7, 32, v1
	v_cmp_lt_i32_e32 vcc, v7, v6
	s_load_dword s0, s[2:3], 0x58
	s_mov_b32 s5, 0
	v_cndmask_b32_e32 v7, v1, v7, vcc
	v_lshlrev_b32_e32 v7, 2, v7
	s_waitcnt lgkmcnt(0)
	v_pk_add_f32 v[2:3], v[2:3], v[4:5]
	ds_bpermute_b32 v4, v7, v2
	ds_bpermute_b32 v5, v7, v3
	v_xor_b32_e32 v7, 16, v1
	v_cmp_lt_i32_e32 vcc, v7, v6
	s_waitcnt lgkmcnt(0)
	v_pk_add_f32 v[2:3], v[2:3], v[4:5]
	v_cndmask_b32_e32 v7, v1, v7, vcc
	v_lshlrev_b32_e32 v7, 2, v7
	ds_bpermute_b32 v4, v7, v2
	ds_bpermute_b32 v5, v7, v3
	v_xor_b32_e32 v7, 8, v1
	v_cmp_lt_i32_e32 vcc, v7, v6
	s_waitcnt lgkmcnt(0)
	v_pk_add_f32 v[2:3], v[2:3], v[4:5]
	v_cndmask_b32_e32 v7, v1, v7, vcc
	v_lshlrev_b32_e32 v7, 2, v7
	;; [unrolled: 8-line block ×5, first 2 shown]
	ds_bpermute_b32 v4, v1, v2
	ds_bpermute_b32 v5, v1, v3
	v_or_b32_e32 v1, s7, v15
	v_cmp_gt_u32_e32 vcc, 2, v15
	v_cmp_gt_u32_e64 s[0:1], s0, v1
	s_and_b64 s[0:1], vcc, s[0:1]
	s_waitcnt lgkmcnt(0)
	v_pk_add_f32 v[2:3], v[2:3], v[4:5]
	ds_write2_b32 v14, v2, v3 offset1:1
	s_and_b64 exec, exec, s[0:1]
	s_cbranch_execz .LBB2_16
; %bb.15:
	s_load_dwordx2 s[0:1], s[2:3], 0x38
	s_mul_i32 s2, s28, s18
	v_add_u32_e32 v1, v14, v0
	s_add_i32 s2, s2, s7
	s_mul_i32 s6, s6, s22
	ds_read_b32 v1, v1
	s_add_i32 s4, s2, s6
	s_lshl_b64 s[2:3], s[4:5], 2
	s_waitcnt lgkmcnt(0)
	s_add_u32 s0, s0, s2
	s_addc_u32 s1, s1, s3
	global_store_dword v0, v1, s[0:1]
.LBB2_16:
	s_endpgm
	.section	.rodata,"a",@progbits
	.p2align	6, 0x0
	.amdhsa_kernel _ZL13mul_mat_vec_qIL9ggml_type41ELi1ELb0ELb1EEvPKvS2_PKi31ggml_cuda_mm_fusion_args_devicePfj15HIP_vector_typeIjLj3EEjjjS8_jjjS8_jjjj
		.amdhsa_group_segment_fixed_size 1536
		.amdhsa_private_segment_fixed_size 0
		.amdhsa_kernarg_size 144
		.amdhsa_user_sgpr_count 4
		.amdhsa_user_sgpr_dispatch_ptr 1
		.amdhsa_user_sgpr_queue_ptr 0
		.amdhsa_user_sgpr_kernarg_segment_ptr 1
		.amdhsa_user_sgpr_dispatch_id 0
		.amdhsa_user_sgpr_kernarg_preload_length 0
		.amdhsa_user_sgpr_kernarg_preload_offset 0
		.amdhsa_user_sgpr_private_segment_size 0
		.amdhsa_uses_dynamic_stack 0
		.amdhsa_enable_private_segment 0
		.amdhsa_system_sgpr_workgroup_id_x 1
		.amdhsa_system_sgpr_workgroup_id_y 1
		.amdhsa_system_sgpr_workgroup_id_z 1
		.amdhsa_system_sgpr_workgroup_info 0
		.amdhsa_system_vgpr_workitem_id 2
		.amdhsa_next_free_vgpr 61
		.amdhsa_next_free_sgpr 32
		.amdhsa_accum_offset 64
		.amdhsa_reserve_vcc 1
		.amdhsa_float_round_mode_32 0
		.amdhsa_float_round_mode_16_64 0
		.amdhsa_float_denorm_mode_32 3
		.amdhsa_float_denorm_mode_16_64 3
		.amdhsa_dx10_clamp 1
		.amdhsa_ieee_mode 1
		.amdhsa_fp16_overflow 0
		.amdhsa_tg_split 0
		.amdhsa_exception_fp_ieee_invalid_op 0
		.amdhsa_exception_fp_denorm_src 0
		.amdhsa_exception_fp_ieee_div_zero 0
		.amdhsa_exception_fp_ieee_overflow 0
		.amdhsa_exception_fp_ieee_underflow 0
		.amdhsa_exception_fp_ieee_inexact 0
		.amdhsa_exception_int_div_zero 0
	.end_amdhsa_kernel
	.section	.text._ZL13mul_mat_vec_qIL9ggml_type41ELi1ELb0ELb1EEvPKvS2_PKi31ggml_cuda_mm_fusion_args_devicePfj15HIP_vector_typeIjLj3EEjjjS8_jjjS8_jjjj,"axG",@progbits,_ZL13mul_mat_vec_qIL9ggml_type41ELi1ELb0ELb1EEvPKvS2_PKi31ggml_cuda_mm_fusion_args_devicePfj15HIP_vector_typeIjLj3EEjjjS8_jjjS8_jjjj,comdat
.Lfunc_end2:
	.size	_ZL13mul_mat_vec_qIL9ggml_type41ELi1ELb0ELb1EEvPKvS2_PKi31ggml_cuda_mm_fusion_args_devicePfj15HIP_vector_typeIjLj3EEjjjS8_jjjS8_jjjj, .Lfunc_end2-_ZL13mul_mat_vec_qIL9ggml_type41ELi1ELb0ELb1EEvPKvS2_PKi31ggml_cuda_mm_fusion_args_devicePfj15HIP_vector_typeIjLj3EEjjjS8_jjjS8_jjjj
                                        ; -- End function
	.section	.AMDGPU.csdata,"",@progbits
; Kernel info:
; codeLenInByte = 2496
; NumSgprs: 38
; NumVgprs: 61
; NumAgprs: 0
; TotalNumVgprs: 61
; ScratchSize: 0
; MemoryBound: 0
; FloatMode: 240
; IeeeMode: 1
; LDSByteSize: 1536 bytes/workgroup (compile time only)
; SGPRBlocks: 4
; VGPRBlocks: 7
; NumSGPRsForWavesPerEU: 38
; NumVGPRsForWavesPerEU: 61
; AccumOffset: 64
; Occupancy: 8
; WaveLimiterHint : 0
; COMPUTE_PGM_RSRC2:SCRATCH_EN: 0
; COMPUTE_PGM_RSRC2:USER_SGPR: 4
; COMPUTE_PGM_RSRC2:TRAP_HANDLER: 0
; COMPUTE_PGM_RSRC2:TGID_X_EN: 1
; COMPUTE_PGM_RSRC2:TGID_Y_EN: 1
; COMPUTE_PGM_RSRC2:TGID_Z_EN: 1
; COMPUTE_PGM_RSRC2:TIDIG_COMP_CNT: 2
; COMPUTE_PGM_RSRC3_GFX90A:ACCUM_OFFSET: 15
; COMPUTE_PGM_RSRC3_GFX90A:TG_SPLIT: 0
	.section	.text._ZL13mul_mat_vec_qIL9ggml_type41ELi1ELb1ELb0EEvPKvS2_PKi31ggml_cuda_mm_fusion_args_devicePfj15HIP_vector_typeIjLj3EEjjjS8_jjjS8_jjjj,"axG",@progbits,_ZL13mul_mat_vec_qIL9ggml_type41ELi1ELb1ELb0EEvPKvS2_PKi31ggml_cuda_mm_fusion_args_devicePfj15HIP_vector_typeIjLj3EEjjjS8_jjjS8_jjjj,comdat
	.globl	_ZL13mul_mat_vec_qIL9ggml_type41ELi1ELb1ELb0EEvPKvS2_PKi31ggml_cuda_mm_fusion_args_devicePfj15HIP_vector_typeIjLj3EEjjjS8_jjjS8_jjjj ; -- Begin function _ZL13mul_mat_vec_qIL9ggml_type41ELi1ELb1ELb0EEvPKvS2_PKi31ggml_cuda_mm_fusion_args_devicePfj15HIP_vector_typeIjLj3EEjjjS8_jjjS8_jjjj
	.p2align	8
	.type	_ZL13mul_mat_vec_qIL9ggml_type41ELi1ELb1ELb0EEvPKvS2_PKi31ggml_cuda_mm_fusion_args_devicePfj15HIP_vector_typeIjLj3EEjjjS8_jjjS8_jjjj,@function
_ZL13mul_mat_vec_qIL9ggml_type41ELi1ELb1ELb0EEvPKvS2_PKi31ggml_cuda_mm_fusion_args_devicePfj15HIP_vector_typeIjLj3EEjjjS8_jjjS8_jjjj: ; @_ZL13mul_mat_vec_qIL9ggml_type41ELi1ELb1ELb0EEvPKvS2_PKi31ggml_cuda_mm_fusion_args_devicePfj15HIP_vector_typeIjLj3EEjjjS8_jjjS8_jjjj
; %bb.0:
	s_load_dwordx8 s[16:23], s[0:1], 0x0
	s_load_dwordx4 s[36:39], s[0:1], 0x20
	s_load_dwordx4 s[8:11], s[0:1], 0x40
	;; [unrolled: 1-line block ×3, first 2 shown]
	s_mov_b32 s14, s3
	s_waitcnt lgkmcnt(0)
	s_cmp_lg_u64 s[20:21], 0
	s_cselect_b64 s[6:7], -1, 0
	s_cmp_eq_u64 s[20:21], 0
	s_mov_b64 s[12:13], 0
	s_cbranch_scc1 .LBB3_5
; %bb.1:
	s_mov_b32 s15, 0
	s_lshl_b64 s[28:29], s[14:15], 2
	s_add_u32 s20, s20, s28
	s_addc_u32 s21, s21, s29
	s_load_dword s5, s[20:21], 0x0
	s_load_dword s15, s[0:1], 0x50
	;; [unrolled: 1-line block ×3, first 2 shown]
	s_andn2_b64 vcc, exec, s[12:13]
	s_cbranch_vccnz .LBB3_3
.LBB3_2:
	s_load_dwordx2 s[12:13], s[0:1], 0x5c
	s_waitcnt lgkmcnt(0)
	s_mul_hi_u32 s3, s12, s14
	s_add_i32 s3, s14, s3
	s_lshr_b32 s5, s3, s13
.LBB3_3:
	s_andn2_b64 vcc, exec, s[6:7]
	s_cbranch_vccnz .LBB3_6
; %bb.4:
	s_mul_hi_u32 s3, s9, s14
	s_add_i32 s3, s14, s3
	s_lshr_b32 s3, s3, s10
	s_mul_i32 s3, s3, s11
	s_sub_i32 s34, s14, s3
	s_waitcnt lgkmcnt(0)
	s_mov_b32 s3, s5
	s_branch .LBB3_7
.LBB3_5:
                                        ; implicit-def: $sgpr5
	s_load_dword s15, s[0:1], 0x50
	s_load_dword s33, s[0:1], 0x78
	s_branch .LBB3_2
.LBB3_6:
	s_mov_b32 s3, s14
	s_mov_b32 s34, s14
.LBB3_7:
	s_load_dwordx4 s[28:31], s[0:1], 0x80
	v_bfe_u32 v16, v0, 10, 10
	v_and_b32_e32 v13, 0x3ff, v0
	s_cmp_lg_u64 s[22:23], 0
	v_or_b32_e32 v0, v16, v13
	s_cselect_b64 s[12:13], -1, 0
	v_cmp_eq_u32_e32 vcc, 0, v0
	s_mov_b32 s21, 0
	s_and_b64 s[40:41], vcc, s[12:13]
	v_mov_b32_e32 v14, 0
	s_mul_i32 s10, s3, s26
	v_lshlrev_b32_e32 v12, 2, v13
	v_mov_b32_e32 v15, 0
	s_and_saveexec_b64 s[6:7], s[40:41]
	s_cbranch_execz .LBB3_9
; %bb.8:
	s_waitcnt lgkmcnt(0)
	s_mul_i32 s20, s4, s30
	s_lshl_b64 s[40:41], s[20:21], 2
	s_add_u32 s3, s22, s40
	s_mov_b32 s11, s21
	s_addc_u32 s9, s23, s41
	s_lshl_b64 s[20:21], s[10:11], 2
	s_add_u32 s11, s3, s20
	s_addc_u32 s9, s9, s21
	s_ashr_i32 s3, s2, 31
	s_lshl_b64 s[20:21], s[2:3], 2
	s_add_u32 s20, s11, s20
	s_addc_u32 s21, s9, s21
	global_load_dword v15, v12, s[20:21]
.LBB3_9:
	s_or_b64 exec, exec, s[6:7]
	s_cmp_lg_u64 s[36:37], 0
	s_cselect_b64 s[20:21], -1, 0
	s_cmp_lg_u64 s[38:39], 0
	s_cselect_b64 s[6:7], -1, 0
	s_and_b64 s[22:23], s[6:7], s[20:21]
	s_and_b64 s[40:41], vcc, s[22:23]
	s_and_saveexec_b64 s[22:23], s[40:41]
	s_cbranch_execz .LBB3_11
; %bb.10:
	s_waitcnt lgkmcnt(0)
	s_mul_i32 s40, s4, s30
	s_mov_b32 s41, 0
	s_lshl_b64 s[42:43], s[40:41], 2
	s_add_u32 s3, s38, s42
	s_mov_b32 s11, s41
	s_addc_u32 s9, s39, s43
	s_lshl_b64 s[10:11], s[10:11], 2
	s_add_u32 s31, s3, s10
	s_addc_u32 s9, s9, s11
	s_ashr_i32 s3, s2, 31
	s_lshl_b64 s[10:11], s[2:3], 2
	s_add_u32 s10, s31, s10
	s_addc_u32 s11, s9, s11
	global_load_dword v14, v12, s[10:11]
.LBB3_11:
	s_or_b64 exec, exec, s[22:23]
	v_lshl_add_u32 v0, v16, 6, v13
	s_lshr_b32 s3, s8, 7
	v_lshrrev_b32_e32 v19, 2, v0
	v_cndmask_b32_e64 v1, 0, 1, s[20:21]
	v_cmp_gt_u32_e32 vcc, s3, v19
	v_mov_b32_e32 v18, 0
	v_cmp_ne_u32_e64 s[8:9], 1, v1
	v_mov_b32_e32 v17, 0
	s_and_saveexec_b64 s[10:11], vcc
	s_cbranch_execz .LBB3_17
; %bb.12:
	s_mul_hi_u32 s20, s27, s4
	s_add_i32 s20, s4, s20
	s_waitcnt lgkmcnt(0)
	s_lshr_b32 s20, s20, s33
	s_mul_i32 s5, s5, s24
	s_mul_i32 s20, s20, s28
	;; [unrolled: 1-line block ×4, first 2 shown]
	s_add_i32 s5, s20, s5
	s_add_i32 s5, s5, s15
	s_mul_hi_u32 s15, s21, 36
	s_mul_i32 s21, s21, 36
	v_lshrrev_b32_e32 v3, 2, v0
	v_mov_b32_e32 v0, s21
	v_mov_b32_e32 v1, s15
	s_movk_i32 s15, 0x90
	s_mul_i32 s22, s4, s29
	v_mad_u64_u32 v[0:1], s[20:21], v3, s15, v[0:1]
	v_and_b32_e32 v2, 3, v13
	v_mad_u64_u32 v[0:1], s[20:21], s22, 36, v[0:1]
	v_mad_u64_u32 v[0:1], s[20:21], v2, 36, v[0:1]
	v_mov_b32_e32 v9, 0
	v_lshl_add_u64 v[0:1], v[0:1], 0, s[18:19]
	v_lshlrev_b32_e32 v8, 2, v2
	v_lshl_add_u64 v[10:11], v[0:1], 0, 32
	s_mov_b64 s[18:19], 0
	v_mov_b32_e32 v20, 0xff
	v_mov_b32_e32 v21, 0x100
	;; [unrolled: 1-line block ×7, first 2 shown]
	s_mov_b64 s[20:21], 0x1200
	v_mov_b32_e32 v27, -1
	v_mov_b32_e32 v18, v9
	v_mov_b32_e32 v17, v9
	s_branch .LBB3_14
.LBB3_13:                               ;   in Loop: Header=BB3_14 Depth=1
	s_waitcnt vmcnt(2)
	v_and_b32_e32 v34, 1, v30
	v_cmp_eq_u32_e32 vcc, 0, v34
	v_and_b32_e32 v35, 2, v30
	v_and_b32_e32 v36, 4, v30
	v_cndmask_b32_e32 v34, 1, v20, vcc
	v_cmp_eq_u32_e32 vcc, 0, v35
	v_and_b32_e32 v37, 8, v30
	v_lshrrev_b32_e32 v32, 8, v30
	v_cndmask_b32_e32 v35, v21, v22, vcc
	v_cmp_eq_u32_e32 vcc, 0, v36
	v_or_b32_e32 v34, v34, v35
	v_and_b32_e32 v35, 16, v30
	v_cndmask_b32_e32 v36, v23, v24, vcc
	v_cmp_eq_u32_e32 vcc, 0, v37
	v_and_b32_e32 v39, 8, v32
	v_lshrrev_b32_e32 v31, 16, v30
	v_cndmask_b32_e32 v37, v25, v26, vcc
	v_or3_b32 v34, v34, v36, v37
	v_cmp_eq_u32_e32 vcc, 0, v35
	v_and_b32_e32 v36, 32, v30
	v_and_b32_e32 v37, 64, v30
	v_cndmask_b32_e32 v35, 1, v20, vcc
	v_cmp_eq_u32_e32 vcc, 0, v36
	v_and_b32_e32 v40, 8, v31
	v_lshrrev_b32_e32 v33, 24, v30
	v_cndmask_b32_e32 v36, v21, v22, vcc
	v_cmp_eq_u32_e32 vcc, 0, v37
	v_add_u32_e32 v19, 32, v19
	v_lshl_add_u64 v[10:11], v[10:11], 0, s[20:21]
	v_cndmask_b32_e32 v37, v23, v24, vcc
	v_cmp_gt_i16_sdwa vcc, sext(v30), v27 src0_sel:BYTE_0 src1_sel:DWORD
	s_nop 1
	v_cndmask_b32_e32 v38, v25, v26, vcc
	v_or_b32_e32 v36, v36, v38
	v_or3_b32 v35, v36, v35, v37
	v_bfe_u32 v36, v30, 8, 1
	v_cmp_eq_u32_e32 vcc, 0, v36
	v_and_b32_e32 v37, 2, v32
	v_and_b32_e32 v38, 4, v32
	v_cndmask_b32_e32 v36, 1, v20, vcc
	v_cmp_eq_u32_e32 vcc, 0, v37
	s_nop 1
	v_cndmask_b32_e32 v37, v21, v22, vcc
	v_cmp_eq_u32_e32 vcc, 0, v38
	v_or_b32_e32 v36, v36, v37
	v_and_b32_e32 v37, 16, v32
	v_cndmask_b32_e32 v38, v23, v24, vcc
	v_cmp_eq_u32_e32 vcc, 0, v39
	s_nop 1
	v_cndmask_b32_e32 v39, v25, v26, vcc
	v_or3_b32 v36, v36, v38, v39
	v_cmp_eq_u32_e32 vcc, 0, v37
	v_and_b32_e32 v38, 32, v32
	v_and_b32_e32 v39, 64, v32
	v_cndmask_b32_e32 v37, 1, v20, vcc
	v_cmp_eq_u32_e32 vcc, 0, v38
	s_nop 1
	v_cndmask_b32_e32 v38, v21, v22, vcc
	v_cmp_eq_u32_e32 vcc, 0, v39
	s_nop 1
	v_cndmask_b32_e32 v39, v23, v24, vcc
	v_cmp_gt_i16_sdwa vcc, sext(v32), v27 src0_sel:BYTE_0 src1_sel:DWORD
	s_nop 1
	v_cndmask_b32_e32 v32, v25, v26, vcc
	v_or_b32_e32 v32, v38, v32
	v_or3_b32 v32, v32, v37, v39
	v_bfe_u32 v37, v30, 16, 1
	v_cmp_eq_u32_e32 vcc, 0, v37
	v_and_b32_e32 v38, 2, v31
	v_and_b32_e32 v39, 4, v31
	v_cndmask_b32_e32 v37, 1, v20, vcc
	v_cmp_eq_u32_e32 vcc, 0, v38
	v_bfe_u32 v30, v30, 24, 1
	s_nop 0
	v_cndmask_b32_e32 v38, v21, v22, vcc
	v_cmp_eq_u32_e32 vcc, 0, v39
	v_or_b32_e32 v37, v37, v38
	v_and_b32_e32 v38, 16, v31
	v_cndmask_b32_e32 v39, v23, v24, vcc
	v_cmp_eq_u32_e32 vcc, 0, v40
	s_nop 1
	v_cndmask_b32_e32 v40, v25, v26, vcc
	v_or3_b32 v37, v37, v39, v40
	v_cmp_eq_u32_e32 vcc, 0, v38
	v_and_b32_e32 v39, 32, v31
	v_and_b32_e32 v40, 64, v31
	v_cndmask_b32_e32 v38, 1, v20, vcc
	v_cmp_eq_u32_e32 vcc, 0, v39
	s_nop 1
	v_cndmask_b32_e32 v39, v21, v22, vcc
	v_cmp_eq_u32_e32 vcc, 0, v40
	s_nop 1
	v_cndmask_b32_e32 v40, v23, v24, vcc
	v_cmp_gt_i16_sdwa vcc, sext(v31), v27 src0_sel:BYTE_0 src1_sel:DWORD
	s_nop 1
	v_cndmask_b32_e32 v31, v25, v26, vcc
	v_or_b32_e32 v31, v39, v31
	v_or3_b32 v31, v31, v38, v40
	v_cmp_eq_u32_e32 vcc, 0, v30
	v_and_b32_e32 v38, 2, v33
	v_and_b32_e32 v39, 4, v33
	v_cndmask_b32_e32 v30, 1, v20, vcc
	v_cmp_eq_u32_e32 vcc, 0, v38
	v_and_b32_e32 v40, 8, v33
	s_nop 0
	v_cndmask_b32_e32 v38, v21, v22, vcc
	v_cmp_eq_u32_e32 vcc, 0, v39
	v_or_b32_e32 v30, v30, v38
	v_and_b32_e32 v38, 16, v33
	v_cndmask_b32_e32 v39, v23, v24, vcc
	v_cmp_eq_u32_e32 vcc, 0, v40
	s_nop 1
	v_cndmask_b32_e32 v40, v25, v26, vcc
	v_or3_b32 v30, v30, v39, v40
	v_cmp_eq_u32_e32 vcc, 0, v38
	v_and_b32_e32 v39, 32, v33
	v_and_b32_e32 v40, 64, v33
	v_cndmask_b32_e32 v38, 1, v20, vcc
	v_cmp_eq_u32_e32 vcc, 0, v39
	s_nop 1
	v_cndmask_b32_e32 v39, v21, v22, vcc
	v_cmp_eq_u32_e32 vcc, 0, v40
	s_nop 1
	v_cndmask_b32_e32 v40, v23, v24, vcc
	v_cmp_gt_i16_sdwa vcc, sext(v33), v27 src0_sel:BYTE_0 src1_sel:DWORD
	s_nop 1
	v_cndmask_b32_e32 v33, v25, v26, vcc
	v_or_b32_e32 v33, v39, v33
	v_or3_b32 v33, v33, v38, v40
	v_mov_b32_e32 v38, 0
	v_dot4c_i32_i8_e32 v38, v34, v5
	v_dot4c_i32_i8_e32 v38, v35, v6
	;; [unrolled: 1-line block ×3, first 2 shown]
	s_waitcnt vmcnt(1)
	v_dot4c_i32_i8_e32 v38, v32, v0
	v_dot4c_i32_i8_e32 v38, v37, v1
	;; [unrolled: 1-line block ×4, first 2 shown]
	s_waitcnt vmcnt(0)
	v_dot4c_i32_i8_e32 v38, v33, v29
	v_cvt_f32_f16_e32 v0, v28
	v_cmp_le_u32_e32 vcc, s3, v19
	s_or_b64 s[18:19], vcc, s[18:19]
	v_cvt_f32_i32_e32 v1, v38
	v_mul_f32_e32 v0, v0, v4
	v_fmac_f32_e32 v18, v0, v1
	s_andn2_b64 exec, exec, s[18:19]
	s_cbranch_execz .LBB3_16
.LBB3_14:                               ; =>This Inner Loop Header: Depth=1
	v_add_u32_e32 v31, s5, v19
	v_mad_i64_i32 v[32:33], s[22:23], v31, 18, s[16:17]
	v_lshl_add_u64 v[34:35], v[32:33], 0, v[8:9]
	global_load_dwordx4 v[4:7], v[10:11], off offset:-32
	global_load_ushort v28, v[32:33], off
	global_load_dword v30, v[34:35], off offset:2
	global_load_dwordx4 v[0:3], v[10:11], off offset:-16
	global_load_dword v29, v[10:11], off
	s_and_b64 vcc, exec, s[8:9]
	s_waitcnt vmcnt(4)
	v_cvt_f32_f16_e32 v4, v4
	s_cbranch_vccnz .LBB3_13
; %bb.15:                               ;   in Loop: Header=BB3_14 Depth=1
	v_mad_i64_i32 v[32:33], s[22:23], v31, 18, s[36:37]
	v_lshl_add_u64 v[34:35], v[32:33], 0, v[8:9]
	global_load_dword v31, v[34:35], off offset:2
	global_load_ushort v36, v[32:33], off
	s_waitcnt vmcnt(1)
	v_and_b32_e32 v35, 1, v31
	v_cmp_gt_i16_sdwa vcc, sext(v31), v27 src0_sel:BYTE_0 src1_sel:DWORD
	v_and_b32_e32 v37, 2, v31
	v_and_b32_e32 v38, 4, v31
	v_cndmask_b32_e32 v43, v25, v26, vcc
	v_cmp_eq_u32_e32 vcc, 0, v35
	v_and_b32_e32 v39, 8, v31
	v_and_b32_e32 v40, 16, v31
	v_cndmask_b32_e32 v35, 1, v20, vcc
	v_cmp_eq_u32_e32 vcc, 0, v37
	;; [unrolled: 4-line block ×3, first 2 shown]
	v_bfe_u32 v44, v31, 8, 1
	v_lshrrev_b32_e32 v33, 8, v31
	v_cndmask_b32_e32 v38, v23, v24, vcc
	v_cmp_eq_u32_e32 vcc, 0, v39
	v_bfe_u32 v45, v31, 16, 1
	v_lshrrev_b32_e32 v32, 16, v31
	v_cndmask_b32_e32 v39, v25, v26, vcc
	v_cmp_eq_u32_e32 vcc, 0, v40
	v_and_b32_e32 v46, 2, v33
	v_and_b32_e32 v47, 4, v33
	v_cndmask_b32_e32 v40, 1, v20, vcc
	v_cmp_eq_u32_e32 vcc, 0, v41
	v_and_b32_e32 v48, 8, v33
	v_and_b32_e32 v49, 16, v33
	;; [unrolled: 4-line block ×4, first 2 shown]
	v_cndmask_b32_e32 v44, 1, v20, vcc
	v_cmp_gt_i16_sdwa vcc, sext(v33), v27 src0_sel:BYTE_0 src1_sel:DWORD
	v_and_b32_e32 v54, 8, v32
	v_and_b32_e32 v55, 16, v32
	v_cndmask_b32_e32 v33, v25, v26, vcc
	v_cmp_eq_u32_e32 vcc, 0, v45
	v_and_b32_e32 v56, 32, v32
	v_and_b32_e32 v57, 64, v32
	v_cndmask_b32_e32 v45, 1, v20, vcc
	v_cmp_gt_i16_sdwa vcc, sext(v32), v27 src0_sel:BYTE_0 src1_sel:DWORD
	v_or_b32_e32 v35, v35, v37
	v_or_b32_e32 v37, v41, v43
	v_cndmask_b32_e32 v32, v25, v26, vcc
	v_cmp_eq_u32_e32 vcc, 0, v46
	v_lshrrev_b32_e32 v34, 24, v31
	v_bfe_u32 v31, v31, 24, 1
	v_cndmask_b32_e32 v41, v21, v22, vcc
	v_cmp_eq_u32_e32 vcc, 0, v47
	v_or3_b32 v37, v37, v40, v42
	v_and_b32_e32 v40, 2, v34
	v_cndmask_b32_e32 v43, v23, v24, vcc
	v_cmp_eq_u32_e32 vcc, 0, v48
	v_or3_b32 v35, v35, v38, v39
	v_or_b32_e32 v38, v44, v41
	v_cndmask_b32_e32 v46, v25, v26, vcc
	v_cmp_eq_u32_e32 vcc, 0, v49
	v_and_b32_e32 v41, 4, v34
	v_and_b32_e32 v42, 8, v34
	v_cndmask_b32_e32 v47, 1, v20, vcc
	v_cmp_eq_u32_e32 vcc, 0, v50
	v_or3_b32 v38, v38, v43, v46
	s_nop 0
	v_cndmask_b32_e32 v48, v21, v22, vcc
	v_cmp_eq_u32_e32 vcc, 0, v51
	v_or_b32_e32 v33, v48, v33
	s_nop 0
	v_cndmask_b32_e32 v49, v23, v24, vcc
	v_cmp_eq_u32_e32 vcc, 0, v52
	v_or3_b32 v33, v33, v47, v49
	s_nop 0
	v_cndmask_b32_e32 v50, v21, v22, vcc
	v_cmp_eq_u32_e32 vcc, 0, v53
	v_or_b32_e32 v39, v45, v50
	s_nop 0
	v_cndmask_b32_e32 v51, v23, v24, vcc
	v_cmp_eq_u32_e32 vcc, 0, v54
	s_nop 1
	v_cndmask_b32_e32 v52, v25, v26, vcc
	v_cmp_eq_u32_e32 vcc, 0, v55
	v_or3_b32 v39, v39, v51, v52
	s_nop 0
	v_cndmask_b32_e32 v53, 1, v20, vcc
	v_cmp_eq_u32_e32 vcc, 0, v56
	s_nop 1
	v_cndmask_b32_e32 v54, v21, v22, vcc
	v_cmp_eq_u32_e32 vcc, 0, v57
	v_or_b32_e32 v32, v54, v32
	s_nop 0
	v_cndmask_b32_e32 v55, v23, v24, vcc
	v_cmp_eq_u32_e32 vcc, 0, v31
	v_or3_b32 v32, v32, v53, v55
	s_nop 0
	v_cndmask_b32_e32 v31, 1, v20, vcc
	v_cmp_eq_u32_e32 vcc, 0, v40
	s_nop 1
	v_cndmask_b32_e32 v40, v21, v22, vcc
	v_cmp_eq_u32_e32 vcc, 0, v41
	v_or_b32_e32 v31, v31, v40
	v_and_b32_e32 v40, 16, v34
	v_cndmask_b32_e32 v41, v23, v24, vcc
	v_cmp_eq_u32_e32 vcc, 0, v42
	s_nop 1
	v_cndmask_b32_e32 v42, v25, v26, vcc
	v_or3_b32 v31, v31, v41, v42
	v_cmp_eq_u32_e32 vcc, 0, v40
	v_and_b32_e32 v41, 32, v34
	v_and_b32_e32 v42, 64, v34
	v_cndmask_b32_e32 v40, 1, v20, vcc
	v_cmp_eq_u32_e32 vcc, 0, v41
	s_nop 1
	v_cndmask_b32_e32 v41, v21, v22, vcc
	v_cmp_eq_u32_e32 vcc, 0, v42
	s_nop 1
	v_cndmask_b32_e32 v42, v23, v24, vcc
	v_cmp_gt_i16_sdwa vcc, sext(v34), v27 src0_sel:BYTE_0 src1_sel:DWORD
	s_nop 1
	v_cndmask_b32_e32 v34, v25, v26, vcc
	v_or_b32_e32 v34, v41, v34
	v_or3_b32 v34, v34, v40, v42
	v_mov_b32_e32 v40, 0
	v_dot4c_i32_i8_e32 v40, v35, v5
	v_dot4c_i32_i8_e32 v40, v37, v6
	;; [unrolled: 1-line block ×8, first 2 shown]
	s_waitcnt vmcnt(0)
	v_cvt_f32_f16_e32 v31, v36
	v_mul_f32_e32 v31, v4, v31
	v_cvt_f32_i32_e32 v32, v40
	v_fmac_f32_e32 v17, v31, v32
	s_branch .LBB3_13
.LBB3_16:
	s_or_b64 exec, exec, s[18:19]
.LBB3_17:
	s_or_b64 exec, exec, s[10:11]
	s_load_dword s3, s[0:1], 0x30
	v_cmp_eq_u32_e64 s[10:11], 0, v16
	v_cmp_ne_u32_e32 vcc, 0, v16
	s_and_saveexec_b64 s[16:17], vcc
	s_cbranch_execz .LBB3_20
; %bb.18:
	v_add_u32_e32 v0, -1, v16
	v_lshl_add_u32 v0, v0, 8, v12
	s_and_b64 vcc, exec, s[8:9]
	ds_write_b32 v0, v18
	s_cbranch_vccnz .LBB3_20
; %bb.19:
	ds_write_b32 v0, v17 offset:256
.LBB3_20:
	s_or_b64 exec, exec, s[16:17]
	s_waitcnt lgkmcnt(0)
	s_barrier
	s_and_saveexec_b64 s[16:17], s[10:11]
	s_cbranch_execz .LBB3_49
; %bb.21:
	ds_read_b32 v0, v12
	s_and_b64 vcc, exec, s[8:9]
	s_cbranch_vccnz .LBB3_23
; %bb.22:
	ds_read_b32 v1, v12 offset:256
	s_waitcnt lgkmcnt(0)
	v_add_f32_e32 v17, v17, v1
.LBB3_23:
	s_waitcnt lgkmcnt(0)
	v_add_f32_e32 v1, v18, v0
	v_mbcnt_lo_u32_b32 v0, -1, 0
	v_mbcnt_hi_u32_b32 v4, -1, v0
	v_and_b32_e32 v0, 64, v4
	v_add_u32_e32 v7, 64, v0
	v_xor_b32_e32 v0, 32, v4
	v_cmp_lt_i32_e32 vcc, v0, v7
	v_xor_b32_e32 v3, 16, v4
	v_xor_b32_e32 v5, 8, v4
	v_cndmask_b32_e32 v0, v4, v0, vcc
	v_lshlrev_b32_e32 v0, 2, v0
	ds_bpermute_b32 v2, v0, v1
	v_cmp_lt_i32_e32 vcc, v3, v7
	v_xor_b32_e32 v6, 4, v4
	v_xor_b32_e32 v8, 2, v4
	v_xor_b32_e32 v9, 1, v4
	s_waitcnt lgkmcnt(0)
	v_add_f32_e32 v2, v1, v2
	v_cndmask_b32_e32 v1, v4, v3, vcc
	v_lshlrev_b32_e32 v1, 2, v1
	ds_bpermute_b32 v3, v1, v2
	v_cmp_lt_i32_e32 vcc, v5, v7
	s_waitcnt lgkmcnt(0)
	v_add_f32_e32 v2, v2, v3
	v_cndmask_b32_e32 v3, v4, v5, vcc
	v_lshlrev_b32_e32 v3, 2, v3
	ds_bpermute_b32 v5, v3, v2
	v_cmp_lt_i32_e32 vcc, v6, v7
	s_waitcnt lgkmcnt(0)
	v_add_f32_e32 v2, v2, v5
	v_cndmask_b32_e32 v5, v4, v6, vcc
	v_lshlrev_b32_e32 v5, 2, v5
	ds_bpermute_b32 v6, v5, v2
	v_cmp_lt_i32_e32 vcc, v8, v7
	s_waitcnt lgkmcnt(0)
	v_add_f32_e32 v2, v2, v6
	v_cndmask_b32_e32 v6, v4, v8, vcc
	v_lshlrev_b32_e32 v6, 2, v6
	ds_bpermute_b32 v8, v6, v2
	v_cmp_lt_i32_e32 vcc, v9, v7
	s_waitcnt lgkmcnt(0)
	v_add_f32_e32 v2, v2, v8
	v_cndmask_b32_e32 v4, v4, v9, vcc
	v_lshlrev_b32_e32 v7, 2, v4
	ds_bpermute_b32 v4, v7, v2
	s_and_b64 vcc, exec, s[8:9]
	s_cbranch_vccnz .LBB3_25
; %bb.24:
	ds_bpermute_b32 v0, v0, v17
	s_waitcnt lgkmcnt(0)
	v_add_f32_e32 v0, v17, v0
	ds_bpermute_b32 v1, v1, v0
	s_waitcnt lgkmcnt(0)
	v_add_f32_e32 v0, v0, v1
	;; [unrolled: 3-line block ×6, first 2 shown]
.LBB3_25:
	v_cmp_eq_u32_e32 vcc, 0, v13
	s_and_b64 exec, exec, vcc
	s_cbranch_execz .LBB3_49
; %bb.26:
	s_waitcnt lgkmcnt(0)
	v_add_f32_e32 v0, v2, v4
	s_waitcnt vmcnt(0)
	v_add_f32_e32 v1, v15, v0
	s_and_b64 vcc, exec, s[8:9]
	v_cndmask_b32_e64 v0, v0, v1, s[12:13]
	s_cbranch_vccnz .LBB3_48
; %bb.27:
	v_add_f32_e32 v1, v14, v17
	v_cndmask_b32_e64 v1, v17, v1, s[6:7]
	s_cmp_lt_i32 s3, 2
	s_mov_b64 s[6:7], 0
	s_cbranch_scc1 .LBB3_31
; %bb.28:
	s_cmp_gt_i32 s3, 2
	s_cbranch_scc0 .LBB3_32
; %bb.29:
	s_cmp_eq_u32 s3, 3
	s_cbranch_scc0 .LBB3_33
; %bb.30:
	v_max_f32_e32 v2, v1, v1
	v_min_f32_e32 v4, 0x40e00000, v2
	v_mul_f32_e32 v3, 0xbfd9db23, v4
	s_mov_b32 s5, 0x3fb8aa3b
	v_mul_f32_e32 v2, 0x3fb8aa3b, v3
	v_fma_f32 v5, v3, s5, -v2
	v_rndne_f32_e32 v6, v2
	v_fmamk_f32 v5, v3, 0x32a5705f, v5
	v_sub_f32_e32 v2, v2, v6
	v_add_f32_e32 v2, v2, v5
	v_exp_f32_e32 v5, v2
	v_cvt_i32_f32_e32 v6, v6
	s_mov_b32 s5, 0xc2ce8ed0
	v_max_f32_e32 v2, v0, v0
	v_cmp_ngt_f32_e32 vcc, s5, v3
	v_ldexp_f32 v5, v5, v6
	s_mov_b32 s5, 0x42b17218
	v_min_f32_e32 v2, 0x40e00000, v2
	v_cndmask_b32_e32 v5, 0, v5, vcc
	v_mov_b32_e32 v6, 0x7f800000
	v_cmp_nlt_f32_e32 vcc, s5, v3
	v_max_f32_e32 v2, 0xc0e00000, v2
	s_nop 0
	v_cndmask_b32_e32 v3, v6, v5, vcc
	v_pk_add_f32 v[2:3], v[2:3], 1.0 op_sel_hi:[1,0]
	s_nop 0
	v_div_scale_f32 v5, s[8:9], v3, v3, v4
	v_rcp_f32_e32 v6, v5
	s_mov_b64 s[8:9], 0
	v_fma_f32 v7, -v5, v6, 1.0
	v_fmac_f32_e32 v6, v7, v6
	v_div_scale_f32 v7, vcc, v4, v3, v4
	v_mul_f32_e32 v8, v7, v6
	v_fma_f32 v9, -v5, v8, v7
	v_fmac_f32_e32 v8, v9, v6
	v_fma_f32 v5, -v5, v8, v7
	v_div_fmas_f32 v5, v5, v6, v8
	v_div_fixup_f32 v3, v5, v3, v4
	v_mul_f32_e32 v2, v2, v3
	s_branch .LBB3_34
.LBB3_31:
                                        ; implicit-def: $vgpr2
	s_mov_b64 s[8:9], 0
	s_cbranch_execnz .LBB3_38
	s_branch .LBB3_39
.LBB3_32:
	s_mov_b64 s[10:11], -1
	s_mov_b64 s[8:9], 0
                                        ; implicit-def: $vgpr2
	s_branch .LBB3_35
.LBB3_33:
	s_mov_b64 s[8:9], -1
                                        ; implicit-def: $vgpr2
.LBB3_34:
	s_mov_b64 s[10:11], 0
.LBB3_35:
	s_and_b64 vcc, exec, s[10:11]
	s_cbranch_vccz .LBB3_37
; %bb.36:
	v_mul_f32_e32 v2, 0xbfb8aa3b, v1
	s_mov_b32 s5, 0xbfb8aa3b
	v_rndne_f32_e32 v3, v2
	v_sub_f32_e32 v4, v2, v3
	v_fma_f32 v2, v1, s5, -v2
	v_fmamk_f32 v2, v1, 0xb2a5705f, v2
	v_add_f32_e32 v2, v4, v2
	v_exp_f32_e32 v2, v2
	v_cvt_i32_f32_e32 v3, v3
	s_mov_b32 s5, 0x42ce8ed0
	v_cmp_nlt_f32_e32 vcc, s5, v1
	s_mov_b32 s5, 0xc2b17218
	v_ldexp_f32 v2, v2, v3
	v_cndmask_b32_e32 v2, 0, v2, vcc
	v_mov_b32_e32 v3, 0x7f800000
	v_cmp_ngt_f32_e32 vcc, s5, v1
	s_nop 1
	v_cndmask_b32_e32 v2, v3, v2, vcc
	v_add_f32_e32 v2, 1.0, v2
	v_div_scale_f32 v3, s[10:11], v2, v2, v1
	v_rcp_f32_e32 v4, v3
	s_nop 0
	v_fma_f32 v5, -v3, v4, 1.0
	v_fmac_f32_e32 v4, v5, v4
	v_div_scale_f32 v5, vcc, v1, v2, v1
	v_mul_f32_e32 v6, v5, v4
	v_fma_f32 v7, -v3, v6, v5
	v_fmac_f32_e32 v6, v7, v4
	v_fma_f32 v3, -v3, v6, v5
	v_div_fmas_f32 v3, v3, v4, v6
	v_div_fixup_f32 v2, v3, v2, v1
	v_mul_f32_e32 v2, v0, v2
.LBB3_37:
	s_branch .LBB3_39
.LBB3_38:
	s_cmp_lg_u32 s3, 1
	s_mov_b64 s[6:7], -1
	s_cselect_b64 s[8:9], -1, 0
                                        ; implicit-def: $vgpr2
.LBB3_39:
	s_andn2_b64 vcc, exec, s[8:9]
	s_cbranch_vccz .LBB3_41
; %bb.40:
	s_andn2_b64 vcc, exec, s[6:7]
	s_cbranch_vccz .LBB3_42
	s_branch .LBB3_47
.LBB3_41:
	v_mul_f32_e32 v2, v0, v1
	s_cbranch_execnz .LBB3_47
.LBB3_42:
	v_mul_f32_e32 v3, 0x3d372713, v1
	v_mul_f32_e32 v2, 0x3f4c422a, v1
	v_fma_f32 v3, v1, v3, 1.0
	v_mul_f32_e32 v2, v2, v3
	s_mov_b32 s3, 0x3f200000
	v_cmp_nlt_f32_e64 s[6:7], |v2|, s3
                                        ; implicit-def: $vgpr3
	s_and_saveexec_b64 s[8:9], s[6:7]
	s_xor_b64 s[6:7], exec, s[8:9]
	s_cbranch_execz .LBB3_44
; %bb.43:
	v_add_f32_e64 v3, |v2|, |v2|
	v_mul_f32_e32 v4, 0x3fb8aa3b, v3
	s_mov_b32 s3, 0x3fb8aa3b
	v_rndne_f32_e32 v5, v4
	v_sub_f32_e32 v6, v4, v5
	v_fma_f32 v4, v3, s3, -v4
	v_fmamk_f32 v4, v3, 0x32a5705f, v4
	v_add_f32_e32 v4, v6, v4
	v_exp_f32_e32 v4, v4
	v_cvt_i32_f32_e32 v5, v5
	s_mov_b32 s3, 0xc2ce8ed0
	v_cmp_ngt_f32_e32 vcc, s3, v3
	s_mov_b32 s3, 0x42b17218
	v_ldexp_f32 v4, v4, v5
	v_cndmask_b32_e32 v4, 0, v4, vcc
	v_mov_b32_e32 v5, 0x7f800000
	v_cmp_nlt_f32_e32 vcc, s3, v3
	s_nop 1
	v_cndmask_b32_e32 v3, v5, v4, vcc
	v_add_f32_e32 v3, 1.0, v3
	v_rcp_f32_e32 v3, v3
	s_nop 0
	v_fma_f32 v3, v3, -2.0, 1.0
.LBB3_44:
	s_andn2_saveexec_b64 s[6:7], s[6:7]
; %bb.45:
	v_mul_f32_e32 v3, v2, v2
	v_mov_b32_e32 v4, 0x3ca908c9
	v_fmac_f32_e32 v4, 0xbbbac73d, v3
	v_fmaak_f32 v4, v3, v4, 0xbd5c1c4e
	v_fmaak_f32 v4, v3, v4, 0x3e088382
	;; [unrolled: 1-line block ×3, first 2 shown]
	v_mul_f32_e64 v4, |v2|, v4
	v_fma_f32 v3, v3, v4, |v2|
; %bb.46:
	s_or_b64 exec, exec, s[6:7]
	s_brev_b32 s3, -2
	v_bfi_b32 v2, s3, v3, v2
	v_mul_f32_e32 v1, 0.5, v1
	v_add_f32_e32 v2, 1.0, v2
	v_mul_f32_e32 v1, v1, v2
	v_mul_f32_e32 v2, v0, v1
.LBB3_47:
	v_mov_b32_e32 v0, v2
.LBB3_48:
	s_load_dwordx2 s[0:1], s[0:1], 0x38
	s_mul_i32 s3, s14, s26
	s_mul_i32 s4, s4, s30
	s_add_i32 s2, s3, s2
	s_add_i32 s2, s2, s4
	s_mov_b32 s3, 0
	s_lshl_b64 s[2:3], s[2:3], 2
	s_waitcnt lgkmcnt(0)
	s_add_u32 s0, s0, s2
	s_addc_u32 s1, s1, s3
	global_store_dword v12, v0, s[0:1]
.LBB3_49:
	s_endpgm
	.section	.rodata,"a",@progbits
	.p2align	6, 0x0
	.amdhsa_kernel _ZL13mul_mat_vec_qIL9ggml_type41ELi1ELb1ELb0EEvPKvS2_PKi31ggml_cuda_mm_fusion_args_devicePfj15HIP_vector_typeIjLj3EEjjjS8_jjjS8_jjjj
		.amdhsa_group_segment_fixed_size 512
		.amdhsa_private_segment_fixed_size 0
		.amdhsa_kernarg_size 144
		.amdhsa_user_sgpr_count 2
		.amdhsa_user_sgpr_dispatch_ptr 0
		.amdhsa_user_sgpr_queue_ptr 0
		.amdhsa_user_sgpr_kernarg_segment_ptr 1
		.amdhsa_user_sgpr_dispatch_id 0
		.amdhsa_user_sgpr_kernarg_preload_length 0
		.amdhsa_user_sgpr_kernarg_preload_offset 0
		.amdhsa_user_sgpr_private_segment_size 0
		.amdhsa_uses_dynamic_stack 0
		.amdhsa_enable_private_segment 0
		.amdhsa_system_sgpr_workgroup_id_x 1
		.amdhsa_system_sgpr_workgroup_id_y 1
		.amdhsa_system_sgpr_workgroup_id_z 1
		.amdhsa_system_sgpr_workgroup_info 0
		.amdhsa_system_vgpr_workitem_id 1
		.amdhsa_next_free_vgpr 58
		.amdhsa_next_free_sgpr 44
		.amdhsa_accum_offset 60
		.amdhsa_reserve_vcc 1
		.amdhsa_float_round_mode_32 0
		.amdhsa_float_round_mode_16_64 0
		.amdhsa_float_denorm_mode_32 3
		.amdhsa_float_denorm_mode_16_64 3
		.amdhsa_dx10_clamp 1
		.amdhsa_ieee_mode 1
		.amdhsa_fp16_overflow 0
		.amdhsa_tg_split 0
		.amdhsa_exception_fp_ieee_invalid_op 0
		.amdhsa_exception_fp_denorm_src 0
		.amdhsa_exception_fp_ieee_div_zero 0
		.amdhsa_exception_fp_ieee_overflow 0
		.amdhsa_exception_fp_ieee_underflow 0
		.amdhsa_exception_fp_ieee_inexact 0
		.amdhsa_exception_int_div_zero 0
	.end_amdhsa_kernel
	.section	.text._ZL13mul_mat_vec_qIL9ggml_type41ELi1ELb1ELb0EEvPKvS2_PKi31ggml_cuda_mm_fusion_args_devicePfj15HIP_vector_typeIjLj3EEjjjS8_jjjS8_jjjj,"axG",@progbits,_ZL13mul_mat_vec_qIL9ggml_type41ELi1ELb1ELb0EEvPKvS2_PKi31ggml_cuda_mm_fusion_args_devicePfj15HIP_vector_typeIjLj3EEjjjS8_jjjS8_jjjj,comdat
.Lfunc_end3:
	.size	_ZL13mul_mat_vec_qIL9ggml_type41ELi1ELb1ELb0EEvPKvS2_PKi31ggml_cuda_mm_fusion_args_devicePfj15HIP_vector_typeIjLj3EEjjjS8_jjjS8_jjjj, .Lfunc_end3-_ZL13mul_mat_vec_qIL9ggml_type41ELi1ELb1ELb0EEvPKvS2_PKi31ggml_cuda_mm_fusion_args_devicePfj15HIP_vector_typeIjLj3EEjjjS8_jjjS8_jjjj
                                        ; -- End function
	.section	.AMDGPU.csdata,"",@progbits
; Kernel info:
; codeLenInByte = 3468
; NumSgprs: 50
; NumVgprs: 58
; NumAgprs: 0
; TotalNumVgprs: 58
; ScratchSize: 0
; MemoryBound: 0
; FloatMode: 240
; IeeeMode: 1
; LDSByteSize: 512 bytes/workgroup (compile time only)
; SGPRBlocks: 6
; VGPRBlocks: 7
; NumSGPRsForWavesPerEU: 50
; NumVGPRsForWavesPerEU: 58
; AccumOffset: 60
; Occupancy: 8
; WaveLimiterHint : 0
; COMPUTE_PGM_RSRC2:SCRATCH_EN: 0
; COMPUTE_PGM_RSRC2:USER_SGPR: 2
; COMPUTE_PGM_RSRC2:TRAP_HANDLER: 0
; COMPUTE_PGM_RSRC2:TGID_X_EN: 1
; COMPUTE_PGM_RSRC2:TGID_Y_EN: 1
; COMPUTE_PGM_RSRC2:TGID_Z_EN: 1
; COMPUTE_PGM_RSRC2:TIDIG_COMP_CNT: 1
; COMPUTE_PGM_RSRC3_GFX90A:ACCUM_OFFSET: 14
; COMPUTE_PGM_RSRC3_GFX90A:TG_SPLIT: 0
	.section	.text._ZL13mul_mat_vec_qIL9ggml_type41ELi1ELb0ELb0EEvPKvS2_PKi31ggml_cuda_mm_fusion_args_devicePfj15HIP_vector_typeIjLj3EEjjjS8_jjjS8_jjjj,"axG",@progbits,_ZL13mul_mat_vec_qIL9ggml_type41ELi1ELb0ELb0EEvPKvS2_PKi31ggml_cuda_mm_fusion_args_devicePfj15HIP_vector_typeIjLj3EEjjjS8_jjjS8_jjjj,comdat
	.globl	_ZL13mul_mat_vec_qIL9ggml_type41ELi1ELb0ELb0EEvPKvS2_PKi31ggml_cuda_mm_fusion_args_devicePfj15HIP_vector_typeIjLj3EEjjjS8_jjjS8_jjjj ; -- Begin function _ZL13mul_mat_vec_qIL9ggml_type41ELi1ELb0ELb0EEvPKvS2_PKi31ggml_cuda_mm_fusion_args_devicePfj15HIP_vector_typeIjLj3EEjjjS8_jjjS8_jjjj
	.p2align	8
	.type	_ZL13mul_mat_vec_qIL9ggml_type41ELi1ELb0ELb0EEvPKvS2_PKi31ggml_cuda_mm_fusion_args_devicePfj15HIP_vector_typeIjLj3EEjjjS8_jjjS8_jjjj,@function
_ZL13mul_mat_vec_qIL9ggml_type41ELi1ELb0ELb0EEvPKvS2_PKi31ggml_cuda_mm_fusion_args_devicePfj15HIP_vector_typeIjLj3EEjjjS8_jjjS8_jjjj: ; @_ZL13mul_mat_vec_qIL9ggml_type41ELi1ELb0ELb0EEvPKvS2_PKi31ggml_cuda_mm_fusion_args_devicePfj15HIP_vector_typeIjLj3EEjjjS8_jjjS8_jjjj
; %bb.0:
	s_load_dwordx2 s[8:9], s[0:1], 0x10
	s_load_dwordx4 s[16:19], s[0:1], 0x40
	s_mov_b32 s20, s3
	s_mov_b64 s[12:13], 0
	s_waitcnt lgkmcnt(0)
	s_cmp_lg_u64 s[8:9], 0
	s_cselect_b64 s[6:7], -1, 0
	s_cmp_eq_u64 s[8:9], 0
	s_cbranch_scc1 .LBB4_5
; %bb.1:
	s_mov_b32 s21, 0
	s_lshl_b64 s[10:11], s[20:21], 2
	s_add_u32 s8, s8, s10
	s_addc_u32 s9, s9, s11
	s_load_dword s5, s[8:9], 0x0
	s_nop 0
	s_load_dwordx4 s[8:11], s[0:1], 0x68
	s_load_dword s21, s[0:1], 0x50
	s_andn2_b64 vcc, exec, s[12:13]
	s_cbranch_vccnz .LBB4_3
.LBB4_2:
	s_load_dwordx2 s[12:13], s[0:1], 0x5c
	s_waitcnt lgkmcnt(0)
	s_mul_hi_u32 s3, s12, s20
	s_add_i32 s3, s20, s3
	s_lshr_b32 s5, s3, s13
.LBB4_3:
	s_load_dword s22, s[0:1], 0x78
	s_andn2_b64 vcc, exec, s[6:7]
	s_cbranch_vccnz .LBB4_6
; %bb.4:
	s_mul_hi_u32 s3, s17, s20
	s_add_i32 s3, s20, s3
	s_lshr_b32 s3, s3, s18
	s_mul_i32 s3, s3, s19
	s_sub_i32 s23, s20, s3
	s_branch .LBB4_7
.LBB4_5:
                                        ; implicit-def: $sgpr5
	s_load_dwordx4 s[8:11], s[0:1], 0x68
	s_load_dword s21, s[0:1], 0x50
	s_branch .LBB4_2
.LBB4_6:
	s_mov_b32 s23, s20
.LBB4_7:
	s_load_dwordx4 s[12:15], s[0:1], 0x80
	v_bfe_u32 v5, v0, 10, 10
	v_and_b32_e32 v4, 0x3ff, v0
	v_lshl_add_u32 v2, v5, 6, v4
	s_lshr_b32 s3, s16, 7
	v_lshrrev_b32_e32 v6, 2, v2
	v_cmp_gt_u32_e32 vcc, s3, v6
	v_mov_b32_e32 v7, 0
	s_and_saveexec_b64 s[6:7], vcc
	s_cbranch_execz .LBB4_11
; %bb.8:
	s_waitcnt lgkmcnt(0)
	s_mul_i32 s5, s5, s8
	s_mul_hi_u32 s8, s11, s4
	s_add_i32 s8, s4, s8
	s_lshr_b32 s8, s8, s22
	s_mul_i32 s8, s8, s12
	s_mul_i32 s9, s23, s9
	s_load_dwordx4 s[16:19], s[0:1], 0x0
	s_add_i32 s5, s8, s5
	s_mul_hi_u32 s8, s9, 36
	s_mul_i32 s9, s9, 36
	v_lshrrev_b32_e32 v8, 2, v2
	v_mov_b32_e32 v2, s9
	v_mov_b32_e32 v3, s8
	s_movk_i32 s8, 0x90
	s_mul_i32 s11, s4, s13
	v_mad_u64_u32 v[2:3], s[8:9], v8, s8, v[2:3]
	v_and_b32_e32 v7, 3, v4
	v_mad_u64_u32 v[2:3], s[8:9], s11, 36, v[2:3]
	v_mad_u64_u32 v[2:3], s[8:9], v7, 36, v[2:3]
	s_mul_i32 s15, s2, s21
	v_mov_b32_e32 v1, 0
	s_waitcnt lgkmcnt(0)
	v_lshl_add_u64 v[2:3], v[2:3], 0, s[18:19]
	v_lshlrev_b32_e32 v0, 2, v7
	s_add_i32 s5, s5, s15
	v_lshl_add_u64 v[2:3], v[2:3], 0, 32
	s_mov_b64 s[8:9], 0
	v_mov_b32_e32 v8, 0xff
	v_mov_b32_e32 v9, 0x100
	;; [unrolled: 1-line block ×7, first 2 shown]
	s_mov_b64 s[12:13], 0x1200
	v_mov_b32_e32 v15, -1
	v_mov_b32_e32 v7, v1
.LBB4_9:                                ; =>This Inner Loop Header: Depth=1
	v_add_u32_e32 v24, s5, v6
	v_mad_i64_i32 v[24:25], s[18:19], v24, 18, s[16:17]
	global_load_dword v28, v[2:3], off
	global_load_dwordx4 v[16:19], v[2:3], off offset:-32
	global_load_dwordx4 v[20:23], v[2:3], off offset:-16
	v_lshl_add_u64 v[26:27], v[24:25], 0, v[0:1]
	global_load_ushort v30, v[24:25], off
	global_load_dword v31, v[26:27], off offset:2
	v_mov_b32_e32 v29, 0
	v_add_u32_e32 v6, 32, v6
	v_lshl_add_u64 v[2:3], v[2:3], 0, s[12:13]
	s_waitcnt vmcnt(3)
	v_cvt_f32_f16_e32 v16, v16
	s_waitcnt vmcnt(1)
	v_cvt_f32_f16_e32 v24, v30
	s_waitcnt vmcnt(0)
	v_and_b32_e32 v30, 1, v31
	v_cmp_gt_i16_sdwa vcc, sext(v31), v15 src0_sel:BYTE_0 src1_sel:DWORD
	v_and_b32_e32 v32, 2, v31
	v_and_b32_e32 v33, 4, v31
	v_cndmask_b32_e32 v38, v13, v14, vcc
	v_cmp_eq_u32_e32 vcc, 0, v30
	v_and_b32_e32 v34, 8, v31
	v_and_b32_e32 v35, 16, v31
	v_cndmask_b32_e32 v30, 1, v8, vcc
	v_cmp_eq_u32_e32 vcc, 0, v32
	;; [unrolled: 4-line block ×3, first 2 shown]
	v_bfe_u32 v39, v31, 8, 1
	v_lshrrev_b32_e32 v26, 8, v31
	v_cndmask_b32_e32 v33, v11, v12, vcc
	v_cmp_eq_u32_e32 vcc, 0, v34
	v_bfe_u32 v40, v31, 16, 1
	v_lshrrev_b32_e32 v25, 16, v31
	v_cndmask_b32_e32 v34, v13, v14, vcc
	v_cmp_eq_u32_e32 vcc, 0, v35
	v_and_b32_e32 v41, 2, v26
	v_and_b32_e32 v42, 4, v26
	v_cndmask_b32_e32 v35, 1, v8, vcc
	v_cmp_eq_u32_e32 vcc, 0, v36
	v_and_b32_e32 v43, 8, v26
	v_and_b32_e32 v44, 16, v26
	;; [unrolled: 4-line block ×3, first 2 shown]
	v_cndmask_b32_e32 v37, v11, v12, vcc
	v_cmp_eq_u32_e32 vcc, 0, v39
	v_lshrrev_b32_e32 v27, 24, v31
	v_bfe_u32 v31, v31, 24, 1
	v_cndmask_b32_e32 v39, 1, v8, vcc
	v_cmp_gt_i16_sdwa vcc, sext(v26), v15 src0_sel:BYTE_0 src1_sel:DWORD
	v_and_b32_e32 v47, 2, v25
	v_and_b32_e32 v48, 4, v25
	v_cndmask_b32_e32 v26, v13, v14, vcc
	v_cmp_eq_u32_e32 vcc, 0, v40
	v_and_b32_e32 v49, 8, v25
	v_and_b32_e32 v50, 16, v25
	v_cndmask_b32_e32 v40, 1, v8, vcc
	v_cmp_gt_i16_sdwa vcc, sext(v25), v15 src0_sel:BYTE_0 src1_sel:DWORD
	v_and_b32_e32 v51, 32, v25
	v_and_b32_e32 v52, 64, v25
	v_cndmask_b32_e32 v25, v13, v14, vcc
	v_cmp_eq_u32_e32 vcc, 0, v31
	v_and_b32_e32 v53, 2, v27
	v_and_b32_e32 v54, 4, v27
	v_cndmask_b32_e32 v31, 1, v8, vcc
	v_cmp_gt_i16_sdwa vcc, sext(v27), v15 src0_sel:BYTE_0 src1_sel:DWORD
	v_and_b32_e32 v55, 8, v27
	v_and_b32_e32 v56, 16, v27
	;; [unrolled: 1-line block ×4, first 2 shown]
	v_cndmask_b32_e32 v27, v13, v14, vcc
	v_cmp_eq_u32_e32 vcc, 0, v41
	v_or_b32_e32 v30, v30, v32
	v_or_b32_e32 v32, v36, v38
	v_cndmask_b32_e32 v36, v9, v10, vcc
	v_cmp_eq_u32_e32 vcc, 0, v42
	v_or3_b32 v30, v30, v33, v34
	v_or3_b32 v32, v32, v35, v37
	v_cndmask_b32_e32 v38, v11, v12, vcc
	v_cmp_eq_u32_e32 vcc, 0, v43
	v_or_b32_e32 v33, v39, v36
	v_dot4c_i32_i8_e32 v29, v30, v17
	v_cndmask_b32_e32 v41, v13, v14, vcc
	v_cmp_eq_u32_e32 vcc, 0, v44
	v_or3_b32 v33, v33, v38, v41
	v_dot4c_i32_i8_e32 v29, v32, v18
	v_cndmask_b32_e32 v42, 1, v8, vcc
	v_cmp_eq_u32_e32 vcc, 0, v45
	v_dot4c_i32_i8_e32 v29, v33, v19
	v_mul_f32_e32 v16, v24, v16
	v_cndmask_b32_e32 v43, v9, v10, vcc
	v_cmp_eq_u32_e32 vcc, 0, v46
	v_or_b32_e32 v26, v43, v26
	s_nop 0
	v_cndmask_b32_e32 v44, v11, v12, vcc
	v_cmp_eq_u32_e32 vcc, 0, v47
	v_or3_b32 v26, v26, v42, v44
	v_dot4c_i32_i8_e32 v29, v26, v20
	v_cndmask_b32_e32 v45, v9, v10, vcc
	v_cmp_eq_u32_e32 vcc, 0, v48
	v_or_b32_e32 v34, v40, v45
	s_nop 0
	v_cndmask_b32_e32 v46, v11, v12, vcc
	v_cmp_eq_u32_e32 vcc, 0, v49
	s_nop 1
	v_cndmask_b32_e32 v47, v13, v14, vcc
	v_cmp_eq_u32_e32 vcc, 0, v50
	v_or3_b32 v34, v34, v46, v47
	v_dot4c_i32_i8_e32 v29, v34, v21
	v_cndmask_b32_e32 v48, 1, v8, vcc
	v_cmp_eq_u32_e32 vcc, 0, v51
	s_nop 1
	v_cndmask_b32_e32 v49, v9, v10, vcc
	v_cmp_eq_u32_e32 vcc, 0, v52
	v_or_b32_e32 v25, v49, v25
	s_nop 0
	v_cndmask_b32_e32 v50, v11, v12, vcc
	v_cmp_eq_u32_e32 vcc, 0, v53
	v_or3_b32 v25, v25, v48, v50
	v_dot4c_i32_i8_e32 v29, v25, v22
	v_cndmask_b32_e32 v51, v9, v10, vcc
	v_cmp_eq_u32_e32 vcc, 0, v54
	v_or_b32_e32 v31, v31, v51
	s_nop 0
	v_cndmask_b32_e32 v52, v11, v12, vcc
	v_cmp_eq_u32_e32 vcc, 0, v55
	s_nop 1
	v_cndmask_b32_e32 v53, v13, v14, vcc
	v_cmp_eq_u32_e32 vcc, 0, v56
	v_or3_b32 v31, v31, v52, v53
	v_dot4c_i32_i8_e32 v29, v31, v23
	v_cndmask_b32_e32 v54, 1, v8, vcc
	v_cmp_eq_u32_e32 vcc, 0, v57
	s_nop 1
	v_cndmask_b32_e32 v55, v9, v10, vcc
	v_cmp_eq_u32_e32 vcc, 0, v58
	v_or_b32_e32 v27, v55, v27
	s_nop 0
	v_cndmask_b32_e32 v56, v11, v12, vcc
	v_or3_b32 v27, v27, v54, v56
	v_dot4c_i32_i8_e32 v29, v27, v28
	v_cmp_le_u32_e32 vcc, s3, v6
	s_or_b64 s[8:9], vcc, s[8:9]
	s_nop 0
	v_cvt_f32_i32_e32 v17, v29
	v_fmac_f32_e32 v7, v16, v17
	s_andn2_b64 exec, exec, s[8:9]
	s_cbranch_execnz .LBB4_9
; %bb.10:
	s_or_b64 exec, exec, s[8:9]
.LBB4_11:
	s_or_b64 exec, exec, s[6:7]
	v_cmp_eq_u32_e32 vcc, 0, v5
	v_cmp_ne_u32_e64 s[6:7], 0, v5
	v_lshlrev_b32_e32 v0, 2, v4
	s_waitcnt lgkmcnt(0)
	s_and_saveexec_b64 s[8:9], s[6:7]
	s_cbranch_execz .LBB4_13
; %bb.12:
	v_lshlrev_b32_e32 v1, 8, v5
	s_movk_i32 s3, 0xff00
	v_add3_u32 v1, v1, v0, s3
	ds_write_b32 v1, v7
.LBB4_13:
	s_or_b64 exec, exec, s[8:9]
	s_waitcnt lgkmcnt(0)
	s_barrier
	s_and_saveexec_b64 s[6:7], vcc
	s_cbranch_execz .LBB4_16
; %bb.14:
	v_mbcnt_lo_u32_b32 v1, -1, 0
	ds_read_b32 v0, v0
	v_mbcnt_hi_u32_b32 v1, -1, v1
	v_and_b32_e32 v2, 64, v1
	v_add_u32_e32 v2, 64, v2
	v_xor_b32_e32 v3, 32, v1
	v_cmp_lt_i32_e32 vcc, v3, v2
	s_waitcnt lgkmcnt(0)
	v_add_f32_e32 v0, v7, v0
	s_mov_b32 s3, 0
	v_cndmask_b32_e32 v3, v1, v3, vcc
	v_lshlrev_b32_e32 v3, 2, v3
	ds_bpermute_b32 v3, v3, v0
	s_waitcnt lgkmcnt(0)
	v_add_f32_e32 v0, v0, v3
	v_xor_b32_e32 v3, 16, v1
	v_cmp_lt_i32_e32 vcc, v3, v2
	s_nop 1
	v_cndmask_b32_e32 v3, v1, v3, vcc
	v_lshlrev_b32_e32 v3, 2, v3
	ds_bpermute_b32 v3, v3, v0
	s_waitcnt lgkmcnt(0)
	v_add_f32_e32 v0, v0, v3
	v_xor_b32_e32 v3, 8, v1
	v_cmp_lt_i32_e32 vcc, v3, v2
	s_nop 1
	;; [unrolled: 8-line block ×5, first 2 shown]
	v_cndmask_b32_e32 v1, v1, v3, vcc
	v_lshlrev_b32_e32 v1, 2, v1
	ds_bpermute_b32 v1, v1, v0
	v_cmp_eq_u32_e32 vcc, 0, v4
	s_and_b64 exec, exec, vcc
	s_cbranch_execz .LBB4_16
; %bb.15:
	s_load_dwordx2 s[0:1], s[0:1], 0x38
	s_mul_i32 s5, s20, s10
	s_mul_i32 s4, s4, s14
	s_add_i32 s2, s5, s2
	s_add_i32 s2, s2, s4
	s_lshl_b64 s[2:3], s[2:3], 2
	s_waitcnt lgkmcnt(0)
	s_add_u32 s0, s0, s2
	s_addc_u32 s1, s1, s3
	v_mov_b32_e32 v2, 0
	v_add_f32_e32 v0, v0, v1
	global_store_dword v2, v0, s[0:1]
.LBB4_16:
	s_endpgm
	.section	.rodata,"a",@progbits
	.p2align	6, 0x0
	.amdhsa_kernel _ZL13mul_mat_vec_qIL9ggml_type41ELi1ELb0ELb0EEvPKvS2_PKi31ggml_cuda_mm_fusion_args_devicePfj15HIP_vector_typeIjLj3EEjjjS8_jjjS8_jjjj
		.amdhsa_group_segment_fixed_size 256
		.amdhsa_private_segment_fixed_size 0
		.amdhsa_kernarg_size 144
		.amdhsa_user_sgpr_count 2
		.amdhsa_user_sgpr_dispatch_ptr 0
		.amdhsa_user_sgpr_queue_ptr 0
		.amdhsa_user_sgpr_kernarg_segment_ptr 1
		.amdhsa_user_sgpr_dispatch_id 0
		.amdhsa_user_sgpr_kernarg_preload_length 0
		.amdhsa_user_sgpr_kernarg_preload_offset 0
		.amdhsa_user_sgpr_private_segment_size 0
		.amdhsa_uses_dynamic_stack 0
		.amdhsa_enable_private_segment 0
		.amdhsa_system_sgpr_workgroup_id_x 1
		.amdhsa_system_sgpr_workgroup_id_y 1
		.amdhsa_system_sgpr_workgroup_id_z 1
		.amdhsa_system_sgpr_workgroup_info 0
		.amdhsa_system_vgpr_workitem_id 1
		.amdhsa_next_free_vgpr 59
		.amdhsa_next_free_sgpr 24
		.amdhsa_accum_offset 60
		.amdhsa_reserve_vcc 1
		.amdhsa_float_round_mode_32 0
		.amdhsa_float_round_mode_16_64 0
		.amdhsa_float_denorm_mode_32 3
		.amdhsa_float_denorm_mode_16_64 3
		.amdhsa_dx10_clamp 1
		.amdhsa_ieee_mode 1
		.amdhsa_fp16_overflow 0
		.amdhsa_tg_split 0
		.amdhsa_exception_fp_ieee_invalid_op 0
		.amdhsa_exception_fp_denorm_src 0
		.amdhsa_exception_fp_ieee_div_zero 0
		.amdhsa_exception_fp_ieee_overflow 0
		.amdhsa_exception_fp_ieee_underflow 0
		.amdhsa_exception_fp_ieee_inexact 0
		.amdhsa_exception_int_div_zero 0
	.end_amdhsa_kernel
	.section	.text._ZL13mul_mat_vec_qIL9ggml_type41ELi1ELb0ELb0EEvPKvS2_PKi31ggml_cuda_mm_fusion_args_devicePfj15HIP_vector_typeIjLj3EEjjjS8_jjjS8_jjjj,"axG",@progbits,_ZL13mul_mat_vec_qIL9ggml_type41ELi1ELb0ELb0EEvPKvS2_PKi31ggml_cuda_mm_fusion_args_devicePfj15HIP_vector_typeIjLj3EEjjjS8_jjjS8_jjjj,comdat
.Lfunc_end4:
	.size	_ZL13mul_mat_vec_qIL9ggml_type41ELi1ELb0ELb0EEvPKvS2_PKi31ggml_cuda_mm_fusion_args_devicePfj15HIP_vector_typeIjLj3EEjjjS8_jjjS8_jjjj, .Lfunc_end4-_ZL13mul_mat_vec_qIL9ggml_type41ELi1ELb0ELb0EEvPKvS2_PKi31ggml_cuda_mm_fusion_args_devicePfj15HIP_vector_typeIjLj3EEjjjS8_jjjS8_jjjj
                                        ; -- End function
	.section	.AMDGPU.csdata,"",@progbits
; Kernel info:
; codeLenInByte = 1548
; NumSgprs: 30
; NumVgprs: 59
; NumAgprs: 0
; TotalNumVgprs: 59
; ScratchSize: 0
; MemoryBound: 0
; FloatMode: 240
; IeeeMode: 1
; LDSByteSize: 256 bytes/workgroup (compile time only)
; SGPRBlocks: 3
; VGPRBlocks: 7
; NumSGPRsForWavesPerEU: 30
; NumVGPRsForWavesPerEU: 59
; AccumOffset: 60
; Occupancy: 8
; WaveLimiterHint : 0
; COMPUTE_PGM_RSRC2:SCRATCH_EN: 0
; COMPUTE_PGM_RSRC2:USER_SGPR: 2
; COMPUTE_PGM_RSRC2:TRAP_HANDLER: 0
; COMPUTE_PGM_RSRC2:TGID_X_EN: 1
; COMPUTE_PGM_RSRC2:TGID_Y_EN: 1
; COMPUTE_PGM_RSRC2:TGID_Z_EN: 1
; COMPUTE_PGM_RSRC2:TIDIG_COMP_CNT: 1
; COMPUTE_PGM_RSRC3_GFX90A:ACCUM_OFFSET: 14
; COMPUTE_PGM_RSRC3_GFX90A:TG_SPLIT: 0
	.section	.text._ZL13mul_mat_vec_qIL9ggml_type41ELi2ELb0ELb0EEvPKvS2_PKi31ggml_cuda_mm_fusion_args_devicePfj15HIP_vector_typeIjLj3EEjjjS8_jjjS8_jjjj,"axG",@progbits,_ZL13mul_mat_vec_qIL9ggml_type41ELi2ELb0ELb0EEvPKvS2_PKi31ggml_cuda_mm_fusion_args_devicePfj15HIP_vector_typeIjLj3EEjjjS8_jjjS8_jjjj,comdat
	.globl	_ZL13mul_mat_vec_qIL9ggml_type41ELi2ELb0ELb0EEvPKvS2_PKi31ggml_cuda_mm_fusion_args_devicePfj15HIP_vector_typeIjLj3EEjjjS8_jjjS8_jjjj ; -- Begin function _ZL13mul_mat_vec_qIL9ggml_type41ELi2ELb0ELb0EEvPKvS2_PKi31ggml_cuda_mm_fusion_args_devicePfj15HIP_vector_typeIjLj3EEjjjS8_jjjS8_jjjj
	.p2align	8
	.type	_ZL13mul_mat_vec_qIL9ggml_type41ELi2ELb0ELb0EEvPKvS2_PKi31ggml_cuda_mm_fusion_args_devicePfj15HIP_vector_typeIjLj3EEjjjS8_jjjS8_jjjj,@function
_ZL13mul_mat_vec_qIL9ggml_type41ELi2ELb0ELb0EEvPKvS2_PKi31ggml_cuda_mm_fusion_args_devicePfj15HIP_vector_typeIjLj3EEjjjS8_jjjS8_jjjj: ; @_ZL13mul_mat_vec_qIL9ggml_type41ELi2ELb0ELb0EEvPKvS2_PKi31ggml_cuda_mm_fusion_args_devicePfj15HIP_vector_typeIjLj3EEjjjS8_jjjS8_jjjj
; %bb.0:
	s_load_dwordx2 s[20:21], s[0:1], 0x4
	s_load_dword s7, s[2:3], 0x40
	s_load_dwordx4 s[8:11], s[2:3], 0x50
	s_load_dword s27, s[2:3], 0x60
	s_load_dwordx4 s[12:15], s[2:3], 0x68
	;; [unrolled: 2-line block ×3, first 2 shown]
	s_waitcnt lgkmcnt(0)
	s_lshr_b32 s0, s20, 16
	v_bfe_u32 v28, v0, 10, 10
	v_and_b32_e32 v26, 0x3ff, v0
	s_mul_i32 s0, s0, s21
	v_mul_u32_u24_e32 v1, s21, v28
	v_mad_u32_u24 v1, s0, v26, v1
	v_bfe_u32 v0, v0, 20, 10
	v_lshl_add_u32 v5, v28, 6, v26
	v_add_lshl_u32 v4, v1, v0, 4
	s_lshr_b32 s7, s7, 7
	v_mov_b32_e32 v0, 0
	v_lshrrev_b32_e32 v29, 2, v5
	v_add_u32_e32 v27, 0x400, v4
	s_lshl_b32 s4, s4, 1
	v_mov_b32_e32 v1, v0
	v_mov_b32_e32 v2, v0
	;; [unrolled: 1-line block ×3, first 2 shown]
	v_cmp_gt_u32_e32 vcc, s7, v29
	ds_write_b128 v4, v[0:3] offset:1024
	s_and_saveexec_b64 s[24:25], vcc
	s_cbranch_execz .LBB5_4
; %bb.1:
	s_mul_hi_u32 s0, s11, s5
	s_add_i32 s0, s5, s0
	s_lshr_b32 s0, s0, s27
	s_load_dwordx4 s[20:23], s[2:3], 0x0
	s_mul_i32 s11, s0, s12
	s_mul_hi_u32 s0, s15, s6
	s_add_i32 s0, s6, s0
	s_lshr_b32 s0, s0, s26
	s_mul_i32 s15, s0, s16
	s_mul_i32 s16, s6, s17
	;; [unrolled: 1-line block ×3, first 2 shown]
	s_mul_hi_u32 s0, s16, 36
	s_waitcnt lgkmcnt(0)
	s_add_u32 s12, s22, s1
	s_addc_u32 s17, s23, s0
	s_mul_i32 s0, s5, s13
	s_mul_hi_u32 s1, s0, 36
	s_mul_i32 s0, s0, 36
	s_add_u32 s12, s12, s0
	s_addc_u32 s13, s17, s1
	v_and_b32_e32 v2, 3, v26
	v_mad_u64_u32 v[22:23], s[12:13], v2, 36, s[12:13]
	s_mul_i32 s12, s4, s8
	s_add_i32 s15, s15, s11
	s_add_i32 s11, s15, s12
	;; [unrolled: 1-line block ×3, first 2 shown]
	s_mul_i32 s8, s8, s12
	s_add_i32 s15, s15, s8
	s_movk_i32 s8, 0x90
	v_mov_b64_e32 v[0:1], s[0:1]
	v_mad_u64_u32 v[0:1], s[0:1], v29, s8, v[0:1]
	v_mad_u64_u32 v[0:1], s[0:1], s16, 36, v[0:1]
	;; [unrolled: 1-line block ×3, first 2 shown]
	v_mov_b32_e32 v21, 0
	v_lshl_add_u64 v[0:1], v[0:1], 0, s[22:23]
	v_lshlrev_b32_e32 v20, 2, v2
	v_lshl_add_u32 v30, v29, 2, s9
	v_lshl_add_u64 v[24:25], v[0:1], 0, 16
	s_mov_b64 s[12:13], 0
	v_mov_b32_e32 v31, 0xff
	v_mov_b32_e32 v32, 0x100
	;; [unrolled: 1-line block ×7, first 2 shown]
	s_mov_b64 s[16:17], 0x1200
	v_mov_b32_e32 v38, -1
	v_mov_b32_e32 v0, v21
	v_mov_b32_e32 v1, v21
	;; [unrolled: 1-line block ×4, first 2 shown]
.LBB5_2:                                ; =>This Inner Loop Header: Depth=1
	v_add_u32_e32 v12, s11, v29
	v_add_u32_e32 v13, s15, v29
	v_mad_u64_u32 v[40:41], s[0:1], v30, 36, v[22:23]
	v_mad_i64_i32 v[42:43], s[0:1], v12, 18, s[20:21]
	v_mad_i64_i32 v[44:45], s[0:1], v13, 18, s[20:21]
	global_load_dword v39, v[24:25], off offset:16
	global_load_dwordx4 v[4:7], v[24:25], off
	global_load_dwordx4 v[8:11], v[24:25], off offset:-16
	global_load_dword v50, v[40:41], off offset:32
	global_load_dwordx4 v[12:15], v[40:41], off offset:16
	global_load_dwordx4 v[16:19], v[40:41], off
	v_lshl_add_u64 v[40:41], v[42:43], 0, v[20:21]
	v_lshl_add_u64 v[46:47], v[44:45], 0, v[20:21]
	global_load_ushort v51, v[42:43], off
	global_load_dword v52, v[40:41], off offset:2
	global_load_dword v53, v[46:47], off offset:2
	global_load_ushort v54, v[44:45], off
	v_mov_b32_e32 v48, 0
	v_mov_b32_e32 v49, 0
	;; [unrolled: 1-line block ×3, first 2 shown]
	v_add_u32_e32 v29, 32, v29
	v_add_u32_e32 v30, 0x80, v30
	v_lshl_add_u64 v[24:25], v[24:25], 0, s[16:17]
	s_waitcnt vmcnt(7)
	v_cvt_f32_f16_e32 v8, v8
	s_waitcnt vmcnt(2)
	v_and_b32_e32 v43, 1, v52
	v_and_b32_e32 v44, 2, v52
	v_cmp_eq_u32_e64 s[0:1], 0, v43
	v_and_b32_e32 v45, 4, v52
	v_and_b32_e32 v46, 8, v52
	v_cmp_gt_i16_sdwa vcc, sext(v52), v38 src0_sel:BYTE_0 src1_sel:DWORD
	v_cndmask_b32_e64 v43, 1, v31, s[0:1]
	v_cmp_eq_u32_e64 s[0:1], 0, v44
	v_and_b32_e32 v47, 16, v52
	v_cndmask_b32_e32 v57, v36, v37, vcc
	v_cmp_eq_u32_e32 vcc, 0, v46
	v_cndmask_b32_e64 v44, v32, v33, s[0:1]
	v_cmp_eq_u32_e64 s[0:1], 0, v45
	v_and_b32_e32 v55, 32, v52
	s_waitcnt vmcnt(1)
	v_and_b32_e32 v46, 1, v53
	v_cndmask_b32_e64 v45, v34, v35, s[0:1]
	v_or_b32_e32 v43, v43, v44
	v_cndmask_b32_e32 v44, v36, v37, vcc
	v_cmp_eq_u32_e64 s[0:1], 0, v47
	v_and_b32_e32 v56, 64, v52
	v_or3_b32 v43, v43, v45, v44
	v_and_b32_e32 v44, 2, v53
	v_cndmask_b32_e64 v47, 1, v31, s[0:1]
	v_cmp_eq_u32_e64 s[0:1], 0, v55
	v_cmp_eq_u32_e64 s[8:9], 0, v46
	v_and_b32_e32 v45, 4, v53
	v_cmp_eq_u32_e32 vcc, 0, v56
	v_and_b32_e32 v56, 8, v53
	v_cndmask_b32_e64 v55, v32, v33, s[0:1]
	v_cndmask_b32_e64 v46, 1, v31, s[8:9]
	v_cmp_eq_u32_e64 s[8:9], 0, v44
	v_or_b32_e32 v55, v55, v57
	v_cndmask_b32_e32 v57, v34, v35, vcc
	v_cmp_eq_u32_e32 vcc, 0, v56
	v_cndmask_b32_e64 v44, v32, v33, s[8:9]
	v_cmp_eq_u32_e64 s[8:9], 0, v45
	v_bfe_u32 v58, v52, 8, 1
	v_cmp_gt_i16_sdwa s[0:1], sext(v53), v38 src0_sel:BYTE_0 src1_sel:DWORD
	v_cndmask_b32_e64 v45, v34, v35, s[8:9]
	v_or_b32_e32 v44, v46, v44
	v_cndmask_b32_e32 v46, v36, v37, vcc
	v_or3_b32 v47, v55, v47, v57
	v_and_b32_e32 v55, 16, v53
	v_or3_b32 v44, v44, v45, v46
	v_cndmask_b32_e64 v45, v36, v37, s[0:1]
	v_cmp_eq_u32_e64 s[0:1], 0, v58
	v_and_b32_e32 v57, 32, v53
	v_and_b32_e32 v56, 64, v53
	v_cndmask_b32_e64 v58, 1, v31, s[0:1]
	v_cmp_eq_u32_e64 s[0:1], 0, v55
	v_cmp_eq_u32_e32 vcc, 0, v56
	v_lshrrev_b32_e32 v41, 8, v52
	v_cndmask_b32_e64 v55, 1, v31, s[0:1]
	v_cmp_eq_u32_e64 s[0:1], 0, v57
	v_bfe_u32 v59, v52, 16, 1
	v_lshrrev_b32_e32 v40, 16, v52
	v_cndmask_b32_e64 v57, v32, v33, s[0:1]
	v_or_b32_e32 v45, v57, v45
	v_cndmask_b32_e32 v57, v34, v35, vcc
	v_or3_b32 v45, v45, v55, v57
	v_and_b32_e32 v55, 2, v41
	v_and_b32_e32 v57, 8, v41
	v_cmp_eq_u32_e32 vcc, 0, v57
	v_and_b32_e32 v57, 4, v41
	v_cmp_eq_u32_e64 s[0:1], 0, v55
	v_lshrrev_b32_e32 v42, 24, v52
	v_bfe_u32 v52, v52, 24, 1
	v_cndmask_b32_e64 v55, v32, v33, s[0:1]
	v_cmp_eq_u32_e64 s[0:1], 0, v57
	v_or_b32_e32 v55, v58, v55
	v_cndmask_b32_e32 v58, v36, v37, vcc
	v_cndmask_b32_e64 v57, v34, v35, s[0:1]
	v_or3_b32 v55, v55, v57, v58
	v_and_b32_e32 v57, 16, v41
	v_cmp_eq_u32_e32 vcc, 0, v59
	v_and_b32_e32 v59, 64, v41
	v_cmp_gt_i16_sdwa s[0:1], sext(v41), v38 src0_sel:BYTE_0 src1_sel:DWORD
	v_and_b32_e32 v58, 32, v41
	v_bfe_u32 v46, v53, 8, 1
	v_cndmask_b32_e64 v41, v36, v37, s[0:1]
	v_cmp_eq_u32_e64 s[0:1], 0, v59
	v_cndmask_b32_e32 v59, 1, v31, vcc
	v_cmp_eq_u32_e32 vcc, 0, v57
	v_lshrrev_b32_e32 v61, 8, v53
	v_bfe_u32 v56, v53, 16, 1
	v_cndmask_b32_e32 v57, 1, v31, vcc
	v_cmp_eq_u32_e32 vcc, 0, v58
	v_lshrrev_b32_e32 v60, 16, v53
	v_lshrrev_b32_e32 v62, 24, v53
	v_cndmask_b32_e32 v58, v32, v33, vcc
	v_or_b32_e32 v41, v58, v41
	v_cndmask_b32_e64 v58, v34, v35, s[0:1]
	v_or3_b32 v57, v41, v57, v58
	v_and_b32_e32 v41, 2, v40
	v_and_b32_e32 v58, 8, v40
	v_cmp_eq_u32_e32 vcc, 0, v58
	v_and_b32_e32 v58, 4, v40
	v_cmp_eq_u32_e64 s[0:1], 0, v41
	v_bfe_u32 v53, v53, 24, 1
	v_dot4c_i32_i8_e32 v48, v43, v9
	v_cndmask_b32_e64 v41, v32, v33, s[0:1]
	v_cmp_eq_u32_e64 s[0:1], 0, v58
	v_or_b32_e32 v41, v59, v41
	v_cndmask_b32_e32 v59, v36, v37, vcc
	v_cndmask_b32_e64 v58, v34, v35, s[0:1]
	v_or3_b32 v58, v41, v58, v59
	v_and_b32_e32 v41, 16, v40
	v_cmp_eq_u32_e32 vcc, 0, v52
	v_and_b32_e32 v52, 64, v40
	v_cmp_gt_i16_sdwa s[0:1], sext(v40), v38 src0_sel:BYTE_0 src1_sel:DWORD
	v_and_b32_e32 v59, 32, v40
	v_dot4c_i32_i8_e32 v49, v44, v9
	v_cndmask_b32_e64 v40, v36, v37, s[0:1]
	v_cmp_eq_u32_e64 s[0:1], 0, v52
	v_cndmask_b32_e32 v52, 1, v31, vcc
	v_cmp_eq_u32_e32 vcc, 0, v41
	v_dot4c_i32_i8_e32 v63, v43, v17
	v_dot4c_i32_i8_e32 v48, v47, v10
	v_cndmask_b32_e32 v41, 1, v31, vcc
	v_cmp_eq_u32_e32 vcc, 0, v59
	v_dot4c_i32_i8_e32 v49, v45, v10
	v_dot4c_i32_i8_e32 v63, v47, v18
	v_cndmask_b32_e32 v59, v32, v33, vcc
	v_or_b32_e32 v40, v59, v40
	v_cndmask_b32_e64 v59, v34, v35, s[0:1]
	v_or3_b32 v59, v40, v41, v59
	v_and_b32_e32 v40, 2, v42
	v_and_b32_e32 v41, 8, v42
	v_cmp_eq_u32_e32 vcc, 0, v41
	v_and_b32_e32 v41, 4, v42
	v_cmp_eq_u32_e64 s[0:1], 0, v40
	v_dot4c_i32_i8_e32 v48, v55, v11
	v_dot4c_i32_i8_e32 v63, v55, v19
	v_cndmask_b32_e64 v40, v32, v33, s[0:1]
	v_cmp_eq_u32_e64 s[0:1], 0, v41
	v_or_b32_e32 v40, v52, v40
	v_cndmask_b32_e32 v52, v36, v37, vcc
	v_cndmask_b32_e64 v41, v34, v35, s[0:1]
	v_or3_b32 v52, v40, v41, v52
	v_and_b32_e32 v40, 16, v42
	v_cmp_eq_u32_e32 vcc, 0, v46
	v_and_b32_e32 v46, 64, v42
	v_cmp_gt_i16_sdwa s[0:1], sext(v42), v38 src0_sel:BYTE_0 src1_sel:DWORD
	v_and_b32_e32 v41, 32, v42
	v_dot4c_i32_i8_e32 v48, v57, v4
	v_cndmask_b32_e64 v42, v36, v37, s[0:1]
	v_cmp_eq_u32_e64 s[0:1], 0, v46
	v_cndmask_b32_e32 v46, 1, v31, vcc
	v_cmp_eq_u32_e32 vcc, 0, v40
	v_dot4c_i32_i8_e32 v63, v57, v12
	v_dot4c_i32_i8_e32 v48, v58, v5
	v_cndmask_b32_e32 v40, 1, v31, vcc
	v_cmp_eq_u32_e32 vcc, 0, v41
	v_dot4c_i32_i8_e32 v63, v58, v13
	v_dot4c_i32_i8_e32 v48, v59, v6
	v_cndmask_b32_e32 v41, v32, v33, vcc
	v_or_b32_e32 v41, v41, v42
	v_cndmask_b32_e64 v42, v34, v35, s[0:1]
	v_or3_b32 v42, v41, v40, v42
	v_and_b32_e32 v40, 2, v61
	v_and_b32_e32 v41, 8, v61
	v_cmp_eq_u32_e32 vcc, 0, v41
	v_and_b32_e32 v41, 4, v61
	v_cmp_eq_u32_e64 s[0:1], 0, v40
	v_dot4c_i32_i8_e32 v63, v59, v14
	v_dot4c_i32_i8_e32 v48, v52, v7
	v_cndmask_b32_e64 v40, v32, v33, s[0:1]
	v_cmp_eq_u32_e64 s[0:1], 0, v41
	v_or_b32_e32 v40, v46, v40
	v_cndmask_b32_e32 v46, v36, v37, vcc
	v_cndmask_b32_e64 v41, v34, v35, s[0:1]
	v_or3_b32 v46, v40, v41, v46
	v_and_b32_e32 v40, 16, v61
	v_cmp_eq_u32_e32 vcc, 0, v56
	v_and_b32_e32 v56, 64, v61
	v_cmp_gt_i16_sdwa s[0:1], sext(v61), v38 src0_sel:BYTE_0 src1_sel:DWORD
	v_and_b32_e32 v41, 32, v61
	v_dot4c_i32_i8_e32 v49, v46, v11
	v_cndmask_b32_e64 v61, v36, v37, s[0:1]
	v_cmp_eq_u32_e64 s[0:1], 0, v56
	v_cndmask_b32_e32 v56, 1, v31, vcc
	v_cmp_eq_u32_e32 vcc, 0, v40
	v_dot4c_i32_i8_e32 v63, v52, v15
	v_cvt_f32_f16_e32 v10, v16
	v_cndmask_b32_e32 v40, 1, v31, vcc
	v_cmp_eq_u32_e32 vcc, 0, v41
	v_dot4c_i32_i8_e32 v48, v42, v39
	v_dot4c_i32_i8_e32 v63, v42, v50
	v_cndmask_b32_e32 v41, v32, v33, vcc
	v_or_b32_e32 v41, v41, v61
	v_cndmask_b32_e64 v61, v34, v35, s[0:1]
	v_or3_b32 v61, v41, v40, v61
	v_and_b32_e32 v40, 2, v60
	v_and_b32_e32 v41, 8, v60
	v_cmp_eq_u32_e32 vcc, 0, v41
	v_and_b32_e32 v41, 4, v60
	v_cmp_eq_u32_e64 s[0:1], 0, v40
	v_dot4c_i32_i8_e32 v49, v61, v4
	v_cvt_f32_i32_e32 v4, v48
	v_cndmask_b32_e64 v40, v32, v33, s[0:1]
	v_cmp_eq_u32_e64 s[0:1], 0, v41
	v_or_b32_e32 v40, v56, v40
	v_cndmask_b32_e32 v56, v36, v37, vcc
	v_cndmask_b32_e64 v41, v34, v35, s[0:1]
	v_or3_b32 v56, v40, v41, v56
	v_and_b32_e32 v40, 16, v60
	v_cmp_eq_u32_e32 vcc, 0, v53
	v_and_b32_e32 v53, 64, v60
	v_cmp_gt_i16_sdwa s[0:1], sext(v60), v38 src0_sel:BYTE_0 src1_sel:DWORD
	v_and_b32_e32 v41, 32, v60
	v_dot4c_i32_i8_e32 v49, v56, v5
	v_cndmask_b32_e64 v60, v36, v37, s[0:1]
	v_cmp_eq_u32_e64 s[0:1], 0, v53
	v_cndmask_b32_e32 v53, 1, v31, vcc
	v_cmp_eq_u32_e32 vcc, 0, v40
	s_nop 1
	v_cndmask_b32_e32 v40, 1, v31, vcc
	v_cmp_eq_u32_e32 vcc, 0, v41
	s_nop 1
	v_cndmask_b32_e32 v41, v32, v33, vcc
	v_or_b32_e32 v41, v41, v60
	v_cndmask_b32_e64 v60, v34, v35, s[0:1]
	v_or3_b32 v60, v41, v40, v60
	v_and_b32_e32 v40, 2, v62
	v_and_b32_e32 v41, 8, v62
	v_cmp_eq_u32_e32 vcc, 0, v41
	v_and_b32_e32 v41, 4, v62
	v_cmp_eq_u32_e64 s[0:1], 0, v40
	v_dot4c_i32_i8_e32 v49, v60, v6
	v_cvt_f32_i32_e32 v6, v63
	v_cndmask_b32_e64 v40, v32, v33, s[0:1]
	v_cmp_eq_u32_e64 s[0:1], 0, v41
	v_or_b32_e32 v40, v53, v40
	v_cndmask_b32_e32 v53, v36, v37, vcc
	v_cndmask_b32_e64 v41, v34, v35, s[0:1]
	v_or3_b32 v53, v40, v41, v53
	v_and_b32_e32 v40, 16, v62
	v_and_b32_e32 v41, 32, v62
	v_cmp_gt_i16_sdwa vcc, sext(v62), v38 src0_sel:BYTE_0 src1_sel:DWORD
	v_and_b32_e32 v62, 64, v62
	v_cmp_eq_u32_e64 s[0:1], 0, v62
	v_cndmask_b32_e32 v62, v36, v37, vcc
	v_cmp_eq_u32_e32 vcc, 0, v40
	v_dot4c_i32_i8_e32 v49, v53, v7
	s_nop 0
	v_cndmask_b32_e32 v40, 1, v31, vcc
	v_cmp_eq_u32_e32 vcc, 0, v41
	s_nop 1
	v_cndmask_b32_e32 v41, v32, v33, vcc
	v_or_b32_e32 v41, v41, v62
	v_cndmask_b32_e64 v62, v34, v35, s[0:1]
	v_or3_b32 v62, v41, v40, v62
	v_cvt_f32_f16_e32 v40, v51
	v_mov_b32_e32 v51, 0
	v_dot4c_i32_i8_e32 v51, v44, v17
	v_dot4c_i32_i8_e32 v51, v45, v18
	;; [unrolled: 1-line block ×7, first 2 shown]
	s_waitcnt vmcnt(0)
	v_cvt_f32_f16_e32 v41, v54
	v_dot4c_i32_i8_e32 v49, v62, v39
	v_dot4c_i32_i8_e32 v51, v62, v50
	v_cmp_le_u32_e32 vcc, s7, v29
	v_pk_mul_f32 v[8:9], v[8:9], v[40:41] op_sel_hi:[0,1]
	v_cvt_f32_i32_e32 v5, v49
	v_cvt_f32_i32_e32 v7, v51
	v_pk_mul_f32 v[10:11], v[10:11], v[40:41] op_sel_hi:[0,1]
	s_or_b64 s[12:13], vcc, s[12:13]
	v_pk_fma_f32 v[0:1], v[8:9], v[4:5], v[0:1]
	v_pk_fma_f32 v[2:3], v[10:11], v[6:7], v[2:3]
	s_andn2_b64 exec, exec, s[12:13]
	s_cbranch_execnz .LBB5_2
; %bb.3:
	s_or_b64 exec, exec, s[12:13]
	ds_write_b128 v27, v[0:3]
.LBB5_4:
	s_or_b64 exec, exec, s[24:25]
	v_cmp_eq_u32_e32 vcc, 0, v28
	v_cmp_ne_u32_e64 s[0:1], 0, v28
	v_lshlrev_b32_e32 v4, 2, v26
	s_and_saveexec_b64 s[8:9], s[0:1]
	s_cbranch_execz .LBB5_6
; %bb.5:
	v_lshl_or_b32 v5, v28, 10, v4
	v_add_u32_e32 v5, 0xfffffc00, v5
	ds_write2st64_b32 v5, v0, v1 offset1:1
	ds_write2st64_b32 v5, v2, v3 offset0:2 offset1:3
.LBB5_6:
	s_or_b64 exec, exec, s[8:9]
	s_waitcnt lgkmcnt(0)
	s_barrier
	s_and_saveexec_b64 s[0:1], vcc
	s_cbranch_execz .LBB5_11
; %bb.7:
	v_mbcnt_lo_u32_b32 v0, -1, 0
	v_mbcnt_hi_u32_b32 v12, -1, v0
	ds_read2st64_b32 v[2:3], v4 offset1:1
	ds_read_b64 v[6:7], v27
	v_and_b32_e32 v0, 64, v12
	v_add_u32_e32 v13, 64, v0
	v_xor_b32_e32 v0, 32, v12
	v_cmp_lt_i32_e32 vcc, v0, v13
	s_waitcnt lgkmcnt(0)
	v_pk_add_f32 v[2:3], v[2:3], v[6:7]
	v_xor_b32_e32 v1, 16, v12
	v_cndmask_b32_e32 v0, v12, v0, vcc
	v_lshlrev_b32_e32 v0, 2, v0
	ds_bpermute_b32 v6, v0, v2
	ds_bpermute_b32 v7, v0, v3
	v_cmp_lt_i32_e32 vcc, v1, v13
	v_xor_b32_e32 v5, 2, v12
	s_load_dwordx2 s[0:1], s[2:3], 0x38
	v_cndmask_b32_e32 v1, v12, v1, vcc
	v_lshlrev_b32_e32 v1, 2, v1
	s_waitcnt lgkmcnt(0)
	v_pk_add_f32 v[6:7], v[2:3], v[6:7]
	ds_bpermute_b32 v8, v1, v6
	ds_bpermute_b32 v9, v1, v7
	v_xor_b32_e32 v2, 8, v12
	v_cmp_lt_i32_e32 vcc, v2, v13
	v_xor_b32_e32 v3, 4, v12
	s_mul_i32 s2, s5, s14
	v_cndmask_b32_e32 v2, v12, v2, vcc
	v_lshlrev_b32_e32 v2, 2, v2
	s_waitcnt lgkmcnt(0)
	v_pk_add_f32 v[6:7], v[6:7], v[8:9]
	ds_bpermute_b32 v8, v2, v6
	ds_bpermute_b32 v9, v2, v7
	v_cmp_lt_i32_e32 vcc, v3, v13
	s_mul_i32 s6, s6, s18
	s_add_i32 s2, s2, s4
	v_cndmask_b32_e32 v3, v12, v3, vcc
	v_lshlrev_b32_e32 v3, 2, v3
	s_waitcnt lgkmcnt(0)
	v_pk_add_f32 v[6:7], v[6:7], v[8:9]
	ds_bpermute_b32 v8, v3, v6
	ds_bpermute_b32 v9, v3, v7
	v_cmp_lt_i32_e32 vcc, v5, v13
	s_add_i32 s2, s2, s6
	s_mov_b32 s3, 0
	v_cndmask_b32_e32 v5, v12, v5, vcc
	v_lshlrev_b32_e32 v5, 2, v5
	s_waitcnt lgkmcnt(0)
	v_pk_add_f32 v[8:9], v[6:7], v[8:9]
	ds_bpermute_b32 v10, v5, v8
	ds_bpermute_b32 v11, v5, v9
	v_xor_b32_e32 v6, 1, v12
	v_cmp_lt_i32_e32 vcc, v6, v13
	s_lshl_b64 s[2:3], s[2:3], 2
	s_add_u32 s2, s0, s2
	v_cndmask_b32_e32 v6, v12, v6, vcc
	v_lshlrev_b32_e32 v6, 2, v6
	s_waitcnt lgkmcnt(0)
	v_pk_add_f32 v[8:9], v[8:9], v[10:11]
	ds_bpermute_b32 v10, v6, v8
	ds_bpermute_b32 v11, v6, v9
	v_or_b32_e32 v7, s4, v26
	s_addc_u32 s3, s1, s3
	v_cmp_gt_u32_e32 vcc, 2, v26
	v_cmp_gt_u32_e64 s[0:1], s10, v7
	s_and_b64 s[0:1], vcc, s[0:1]
	s_waitcnt lgkmcnt(0)
	v_pk_add_f32 v[8:9], v[8:9], v[10:11]
	ds_write_b64 v27, v[8:9]
	s_and_saveexec_b64 s[4:5], s[0:1]
	s_cbranch_execz .LBB5_9
; %bb.8:
	v_add_u32_e32 v7, v27, v4
	ds_read_b32 v7, v7
	s_waitcnt lgkmcnt(0)
	global_store_dword v4, v7, s[2:3]
.LBB5_9:
	s_or_b64 exec, exec, s[4:5]
	ds_read2st64_b32 v[8:9], v4 offset0:2 offset1:3
	ds_read_b64 v[10:11], v27 offset:8
	s_waitcnt lgkmcnt(0)
	v_pk_add_f32 v[8:9], v[8:9], v[10:11]
	ds_bpermute_b32 v10, v0, v8
	ds_bpermute_b32 v11, v0, v9
	s_waitcnt lgkmcnt(0)
	v_pk_add_f32 v[8:9], v[8:9], v[10:11]
	ds_bpermute_b32 v0, v1, v8
	ds_bpermute_b32 v1, v1, v9
	;; [unrolled: 4-line block ×6, first 2 shown]
	s_waitcnt lgkmcnt(0)
	v_pk_add_f32 v[0:1], v[0:1], v[2:3]
	ds_write_b64 v27, v[0:1] offset:8
	s_and_b64 exec, exec, s[0:1]
	s_cbranch_execz .LBB5_11
; %bb.10:
	v_lshl_add_u32 v0, v26, 2, v27
	ds_read_b32 v2, v0 offset:8
	v_add_u32_e32 v0, s10, v26
	v_mov_b32_e32 v1, 0
	v_lshl_add_u64 v[0:1], v[0:1], 2, s[2:3]
	s_waitcnt lgkmcnt(0)
	global_store_dword v[0:1], v2, off
.LBB5_11:
	s_endpgm
	.section	.rodata,"a",@progbits
	.p2align	6, 0x0
	.amdhsa_kernel _ZL13mul_mat_vec_qIL9ggml_type41ELi2ELb0ELb0EEvPKvS2_PKi31ggml_cuda_mm_fusion_args_devicePfj15HIP_vector_typeIjLj3EEjjjS8_jjjS8_jjjj
		.amdhsa_group_segment_fixed_size 3072
		.amdhsa_private_segment_fixed_size 0
		.amdhsa_kernarg_size 144
		.amdhsa_user_sgpr_count 4
		.amdhsa_user_sgpr_dispatch_ptr 1
		.amdhsa_user_sgpr_queue_ptr 0
		.amdhsa_user_sgpr_kernarg_segment_ptr 1
		.amdhsa_user_sgpr_dispatch_id 0
		.amdhsa_user_sgpr_kernarg_preload_length 0
		.amdhsa_user_sgpr_kernarg_preload_offset 0
		.amdhsa_user_sgpr_private_segment_size 0
		.amdhsa_uses_dynamic_stack 0
		.amdhsa_enable_private_segment 0
		.amdhsa_system_sgpr_workgroup_id_x 1
		.amdhsa_system_sgpr_workgroup_id_y 1
		.amdhsa_system_sgpr_workgroup_id_z 1
		.amdhsa_system_sgpr_workgroup_info 0
		.amdhsa_system_vgpr_workitem_id 2
		.amdhsa_next_free_vgpr 64
		.amdhsa_next_free_sgpr 28
		.amdhsa_accum_offset 64
		.amdhsa_reserve_vcc 1
		.amdhsa_float_round_mode_32 0
		.amdhsa_float_round_mode_16_64 0
		.amdhsa_float_denorm_mode_32 3
		.amdhsa_float_denorm_mode_16_64 3
		.amdhsa_dx10_clamp 1
		.amdhsa_ieee_mode 1
		.amdhsa_fp16_overflow 0
		.amdhsa_tg_split 0
		.amdhsa_exception_fp_ieee_invalid_op 0
		.amdhsa_exception_fp_denorm_src 0
		.amdhsa_exception_fp_ieee_div_zero 0
		.amdhsa_exception_fp_ieee_overflow 0
		.amdhsa_exception_fp_ieee_underflow 0
		.amdhsa_exception_fp_ieee_inexact 0
		.amdhsa_exception_int_div_zero 0
	.end_amdhsa_kernel
	.section	.text._ZL13mul_mat_vec_qIL9ggml_type41ELi2ELb0ELb0EEvPKvS2_PKi31ggml_cuda_mm_fusion_args_devicePfj15HIP_vector_typeIjLj3EEjjjS8_jjjS8_jjjj,"axG",@progbits,_ZL13mul_mat_vec_qIL9ggml_type41ELi2ELb0ELb0EEvPKvS2_PKi31ggml_cuda_mm_fusion_args_devicePfj15HIP_vector_typeIjLj3EEjjjS8_jjjS8_jjjj,comdat
.Lfunc_end5:
	.size	_ZL13mul_mat_vec_qIL9ggml_type41ELi2ELb0ELb0EEvPKvS2_PKi31ggml_cuda_mm_fusion_args_devicePfj15HIP_vector_typeIjLj3EEjjjS8_jjjS8_jjjj, .Lfunc_end5-_ZL13mul_mat_vec_qIL9ggml_type41ELi2ELb0ELb0EEvPKvS2_PKi31ggml_cuda_mm_fusion_args_devicePfj15HIP_vector_typeIjLj3EEjjjS8_jjjS8_jjjj
                                        ; -- End function
	.section	.AMDGPU.csdata,"",@progbits
; Kernel info:
; codeLenInByte = 2888
; NumSgprs: 34
; NumVgprs: 64
; NumAgprs: 0
; TotalNumVgprs: 64
; ScratchSize: 0
; MemoryBound: 0
; FloatMode: 240
; IeeeMode: 1
; LDSByteSize: 3072 bytes/workgroup (compile time only)
; SGPRBlocks: 4
; VGPRBlocks: 7
; NumSGPRsForWavesPerEU: 34
; NumVGPRsForWavesPerEU: 64
; AccumOffset: 64
; Occupancy: 8
; WaveLimiterHint : 0
; COMPUTE_PGM_RSRC2:SCRATCH_EN: 0
; COMPUTE_PGM_RSRC2:USER_SGPR: 4
; COMPUTE_PGM_RSRC2:TRAP_HANDLER: 0
; COMPUTE_PGM_RSRC2:TGID_X_EN: 1
; COMPUTE_PGM_RSRC2:TGID_Y_EN: 1
; COMPUTE_PGM_RSRC2:TGID_Z_EN: 1
; COMPUTE_PGM_RSRC2:TIDIG_COMP_CNT: 2
; COMPUTE_PGM_RSRC3_GFX90A:ACCUM_OFFSET: 15
; COMPUTE_PGM_RSRC3_GFX90A:TG_SPLIT: 0
	.section	.text._ZL13mul_mat_vec_qIL9ggml_type41ELi3ELb0ELb0EEvPKvS2_PKi31ggml_cuda_mm_fusion_args_devicePfj15HIP_vector_typeIjLj3EEjjjS8_jjjS8_jjjj,"axG",@progbits,_ZL13mul_mat_vec_qIL9ggml_type41ELi3ELb0ELb0EEvPKvS2_PKi31ggml_cuda_mm_fusion_args_devicePfj15HIP_vector_typeIjLj3EEjjjS8_jjjS8_jjjj,comdat
	.globl	_ZL13mul_mat_vec_qIL9ggml_type41ELi3ELb0ELb0EEvPKvS2_PKi31ggml_cuda_mm_fusion_args_devicePfj15HIP_vector_typeIjLj3EEjjjS8_jjjS8_jjjj ; -- Begin function _ZL13mul_mat_vec_qIL9ggml_type41ELi3ELb0ELb0EEvPKvS2_PKi31ggml_cuda_mm_fusion_args_devicePfj15HIP_vector_typeIjLj3EEjjjS8_jjjS8_jjjj
	.p2align	8
	.type	_ZL13mul_mat_vec_qIL9ggml_type41ELi3ELb0ELb0EEvPKvS2_PKi31ggml_cuda_mm_fusion_args_devicePfj15HIP_vector_typeIjLj3EEjjjS8_jjjS8_jjjj,@function
_ZL13mul_mat_vec_qIL9ggml_type41ELi3ELb0ELb0EEvPKvS2_PKi31ggml_cuda_mm_fusion_args_devicePfj15HIP_vector_typeIjLj3EEjjjS8_jjjS8_jjjj: ; @_ZL13mul_mat_vec_qIL9ggml_type41ELi3ELb0ELb0EEvPKvS2_PKi31ggml_cuda_mm_fusion_args_devicePfj15HIP_vector_typeIjLj3EEjjjS8_jjjS8_jjjj
; %bb.0:
	v_bfe_u32 v27, v0, 10, 10
	v_and_b32_e32 v26, 0x3ff, v0
	v_lshl_add_u32 v4, v27, 6, v26
	s_load_dword s20, s[0:1], 0x40
	s_load_dwordx4 s[8:11], s[0:1], 0x50
	s_load_dword s7, s[0:1], 0x60
	s_load_dwordx4 s[12:15], s[0:1], 0x68
	;; [unrolled: 2-line block ×3, first 2 shown]
	s_lshl_b32 s5, s2, 1
	s_waitcnt lgkmcnt(0)
	s_lshr_b32 s2, s20, 7
	v_mov_b32_e32 v0, 0
	v_lshrrev_b32_e32 v28, 2, v4
	v_mov_b32_e32 v1, v0
	v_mov_b32_e32 v2, v0
	;; [unrolled: 1-line block ×3, first 2 shown]
	v_cmp_gt_u32_e32 vcc, s2, v28
	v_mov_b32_e32 v13, v0
	v_mov_b32_e32 v12, v0
	scratch_store_dwordx2 off, v[0:1], off offset:16
	scratch_store_dwordx4 off, v[0:3], off
	s_and_saveexec_b64 s[24:25], vcc
	s_cbranch_execz .LBB6_4
; %bb.1:
	s_mul_hi_u32 s11, s11, s3
	s_add_i32 s11, s3, s11
	s_lshr_b32 s7, s11, s7
	s_load_dwordx4 s[20:23], s[0:1], 0x0
	s_mul_i32 s11, s7, s12
	s_mul_hi_u32 s7, s15, s4
	s_add_i32 s7, s4, s7
	s_lshr_b32 s6, s7, s6
	s_mul_i32 s15, s6, s16
	s_mul_i32 s16, s4, s17
	;; [unrolled: 1-line block ×3, first 2 shown]
	s_mul_hi_u32 s6, s16, 36
	s_waitcnt lgkmcnt(0)
	s_add_u32 s12, s22, s7
	s_addc_u32 s17, s23, s6
	s_mul_i32 s6, s3, s13
	s_mul_hi_u32 s7, s6, 36
	s_mul_i32 s6, s6, 36
	s_add_u32 s12, s12, s6
	s_addc_u32 s13, s17, s7
	v_and_b32_e32 v2, 3, v26
	v_mad_u64_u32 v[16:17], s[12:13], v2, 36, s[12:13]
	s_mul_i32 s12, s5, s8
	s_add_i32 s15, s15, s11
	s_add_i32 s11, s15, s12
	s_add_i32 s12, s5, 1
	s_mul_i32 s8, s8, s12
	v_lshlrev_b32_e32 v0, 2, v28
	s_add_i32 s15, s15, s8
	v_add_u32_e32 v29, s9, v0
	v_lshl_add_u32 v30, s9, 1, v0
	s_movk_i32 s8, 0x90
	v_mov_b64_e32 v[0:1], s[6:7]
	v_mad_u64_u32 v[0:1], s[6:7], v28, s8, v[0:1]
	v_mad_u64_u32 v[0:1], s[6:7], s16, 36, v[0:1]
	;; [unrolled: 1-line block ×3, first 2 shown]
	v_mov_b32_e32 v15, 0
	v_lshl_add_u64 v[0:1], v[0:1], 0, s[22:23]
	v_lshlrev_b32_e32 v14, 2, v2
	v_lshl_add_u64 v[18:19], v[0:1], 0, 16
	s_mov_b64 s[8:9], 0
	v_mov_b32_e32 v31, 0xff
	v_mov_b32_e32 v32, 0x100
	;; [unrolled: 1-line block ×7, first 2 shown]
	s_mov_b64 s[12:13], 0x1200
	v_mov_b32_e32 v38, -1
	v_mov_b32_e32 v0, v15
	v_mov_b32_e32 v1, v15
	;; [unrolled: 1-line block ×6, first 2 shown]
.LBB6_2:                                ; =>This Inner Loop Header: Depth=1
	v_add_u32_e32 v24, s11, v28
	v_add_u32_e32 v40, s15, v28
	v_mad_i64_i32 v[24:25], s[6:7], v24, 18, s[20:21]
	v_mad_u64_u32 v[20:21], s[6:7], v29, 36, v[16:17]
	v_mad_i64_i32 v[44:45], s[6:7], v40, 18, s[20:21]
	v_lshl_add_u64 v[46:47], v[24:25], 0, v[14:15]
	global_load_dwordx4 v[4:7], v[18:19], off
	global_load_dwordx4 v[8:11], v[18:19], off offset:-16
	global_load_dwordx4 v[40:43], v[20:21], off
	v_lshl_add_u64 v[48:49], v[44:45], 0, v[14:15]
	global_load_dword v55, v[46:47], off offset:2
	global_load_dword v56, v[48:49], off offset:2
	global_load_ushort v57, v[44:45], off
	v_mad_u64_u32 v[22:23], s[6:7], v30, 36, v[16:17]
	v_mov_b32_e32 v39, 0
	v_mov_b32_e32 v50, 0
	;; [unrolled: 1-line block ×6, first 2 shown]
	v_add_u32_e32 v28, 32, v28
	v_add_u32_e32 v29, 0x80, v29
	;; [unrolled: 1-line block ×3, first 2 shown]
	s_waitcnt vmcnt(2)
	v_and_b32_e32 v44, 1, v55
	v_and_b32_e32 v46, 2, v55
	v_cmp_eq_u32_e64 s[6:7], 0, v44
	v_and_b32_e32 v47, 4, v55
	v_and_b32_e32 v48, 8, v55
	v_cmp_gt_i16_sdwa vcc, sext(v55), v38 src0_sel:BYTE_0 src1_sel:DWORD
	v_cndmask_b32_e64 v44, 1, v31, s[6:7]
	v_cmp_eq_u32_e64 s[6:7], 0, v46
	v_and_b32_e32 v49, 16, v55
	v_cndmask_b32_e32 v60, v36, v37, vcc
	v_cmp_eq_u32_e32 vcc, 0, v48
	v_cndmask_b32_e64 v46, v32, v33, s[6:7]
	v_cmp_eq_u32_e64 s[6:7], 0, v47
	v_and_b32_e32 v58, 32, v55
	v_or_b32_e32 v44, v44, v46
	v_cndmask_b32_e64 v47, v34, v35, s[6:7]
	v_cndmask_b32_e32 v46, v36, v37, vcc
	v_cmp_eq_u32_e64 s[6:7], 0, v49
	v_and_b32_e32 v59, 64, v55
	v_or3_b32 v46, v44, v47, v46
	s_waitcnt vmcnt(1)
	v_and_b32_e32 v44, 1, v56
	v_cndmask_b32_e64 v49, 1, v31, s[6:7]
	v_cmp_eq_u32_e64 s[6:7], 0, v58
	v_and_b32_e32 v47, 2, v56
	v_cmp_eq_u32_e32 vcc, 0, v59
	v_cndmask_b32_e64 v58, v32, v33, s[6:7]
	v_cmp_eq_u32_e64 s[6:7], 0, v44
	v_and_b32_e32 v59, 4, v56
	v_or_b32_e32 v58, v58, v60
	v_cndmask_b32_e32 v60, v34, v35, vcc
	v_cndmask_b32_e64 v44, 1, v31, s[6:7]
	v_cmp_eq_u32_e64 s[6:7], 0, v47
	v_bfe_u32 v61, v55, 8, 1
	v_or3_b32 v49, v58, v49, v60
	v_and_b32_e32 v58, 8, v56
	v_cndmask_b32_e64 v47, v32, v33, s[6:7]
	v_cmp_eq_u32_e64 s[6:7], 0, v59
	v_and_b32_e32 v60, 16, v56
	v_cmp_eq_u32_e32 vcc, 0, v58
	v_cndmask_b32_e64 v59, v34, v35, s[6:7]
	v_cmp_eq_u32_e64 s[6:7], 0, v61
	v_and_b32_e32 v58, 32, v56
	v_or_b32_e32 v44, v44, v47
	v_cndmask_b32_e32 v47, v36, v37, vcc
	v_cndmask_b32_e64 v61, 1, v31, s[6:7]
	v_cmp_eq_u32_e64 s[6:7], 0, v60
	v_or3_b32 v47, v44, v59, v47
	v_and_b32_e32 v44, 64, v56
	v_cmp_gt_i16_sdwa vcc, sext(v56), v38 src0_sel:BYTE_0 src1_sel:DWORD
	v_cndmask_b32_e64 v60, 1, v31, s[6:7]
	v_cmp_eq_u32_e64 s[6:7], 0, v58
	v_cndmask_b32_e32 v59, v36, v37, vcc
	v_cmp_eq_u32_e32 vcc, 0, v44
	v_cndmask_b32_e64 v58, v32, v33, s[6:7]
	v_lshrrev_b32_e32 v45, 8, v55
	v_bfe_u32 v44, v56, 8, 1
	v_or_b32_e32 v58, v58, v59
	v_cndmask_b32_e32 v59, v34, v35, vcc
	v_or3_b32 v58, v58, v60, v59
	v_and_b32_e32 v59, 2, v45
	v_cmp_eq_u32_e32 vcc, 0, v44
	v_and_b32_e32 v44, 8, v45
	v_and_b32_e32 v60, 4, v45
	v_cmp_eq_u32_e64 s[6:7], 0, v44
	v_cndmask_b32_e32 v44, 1, v31, vcc
	v_cmp_eq_u32_e32 vcc, 0, v59
	v_lshrrev_b32_e32 v48, 8, v56
	v_dot4c_i32_i8_e32 v39, v46, v9
	v_cndmask_b32_e32 v59, v32, v33, vcc
	v_cmp_eq_u32_e32 vcc, 0, v60
	v_or_b32_e32 v59, v61, v59
	v_cndmask_b32_e64 v61, v36, v37, s[6:7]
	v_cndmask_b32_e32 v60, v34, v35, vcc
	v_or3_b32 v59, v59, v60, v61
	v_and_b32_e32 v60, 2, v48
	v_and_b32_e32 v61, 8, v48
	v_cmp_eq_u32_e32 vcc, 0, v61
	v_and_b32_e32 v61, 4, v48
	v_cmp_eq_u32_e64 s[6:7], 0, v60
	v_dot4c_i32_i8_e32 v50, v47, v9
	v_dot4c_i32_i8_e32 v39, v49, v10
	v_cndmask_b32_e64 v60, v32, v33, s[6:7]
	v_cmp_eq_u32_e64 s[6:7], 0, v61
	v_or_b32_e32 v44, v44, v60
	v_cndmask_b32_e32 v60, v36, v37, vcc
	v_cndmask_b32_e64 v61, v34, v35, s[6:7]
	v_or3_b32 v60, v44, v61, v60
	v_dot4c_i32_i8_e32 v50, v58, v10
	v_cvt_f32_f16_e32 v44, v8
	v_dot4c_i32_i8_e32 v39, v59, v11
	v_dot4c_i32_i8_e32 v50, v60, v11
	global_load_dwordx4 v[8:11], v[22:23], off
	v_dot4c_i32_i8_e32 v51, v46, v41
	v_dot4c_i32_i8_e32 v52, v47, v41
	v_dot4c_i32_i8_e32 v51, v49, v42
	v_dot4c_i32_i8_e32 v52, v58, v42
	v_dot4c_i32_i8_e32 v51, v59, v43
	v_dot4c_i32_i8_e32 v52, v60, v43
	global_load_dword v43, v[20:21], off offset:32
	v_bfe_u32 v41, v55, 24, 1
	v_cmp_gt_i16_sdwa vcc, sext(v45), v38 src0_sel:BYTE_0 src1_sel:DWORD
	v_cvt_f32_f16_e32 v40, v40
	s_waitcnt vmcnt(1)
	v_dot4c_i32_i8_e32 v53, v46, v9
	v_dot4c_i32_i8_e32 v54, v47, v9
	v_cvt_f32_f16_e32 v42, v8
	v_lshrrev_b32_e32 v8, 16, v55
	v_dot4c_i32_i8_e32 v53, v49, v10
	v_lshrrev_b32_e32 v9, 24, v55
	v_dot4c_i32_i8_e32 v54, v58, v10
	v_bfe_u32 v10, v55, 16, 1
	v_and_b32_e32 v55, 16, v45
	v_dot4c_i32_i8_e32 v53, v59, v11
	v_lshrrev_b32_e32 v46, 16, v56
	v_dot4c_i32_i8_e32 v54, v60, v11
	v_lshrrev_b32_e32 v11, 24, v56
	v_bfe_u32 v47, v56, 16, 1
	v_bfe_u32 v49, v56, 24, 1
	v_and_b32_e32 v56, 32, v45
	v_cmp_eq_u32_e64 s[6:7], 0, v55
	v_and_b32_e32 v58, 64, v45
	v_cndmask_b32_e32 v45, v36, v37, vcc
	v_cmp_eq_u32_e32 vcc, 0, v10
	v_cndmask_b32_e64 v55, 1, v31, s[6:7]
	v_cmp_eq_u32_e64 s[6:7], 0, v56
	v_cndmask_b32_e32 v10, 1, v31, vcc
	v_cmp_eq_u32_e32 vcc, 0, v58
	v_cndmask_b32_e64 v56, v32, v33, s[6:7]
	v_and_b32_e32 v58, 2, v8
	v_or_b32_e32 v45, v56, v45
	v_cndmask_b32_e32 v56, v34, v35, vcc
	v_or3_b32 v45, v45, v55, v56
	v_and_b32_e32 v55, 4, v8
	v_and_b32_e32 v56, 8, v8
	v_cmp_eq_u32_e64 s[6:7], 0, v58
	v_cmp_eq_u32_e32 vcc, 0, v56
	v_and_b32_e32 v56, 16, v8
	v_cndmask_b32_e64 v58, v32, v33, s[6:7]
	v_cmp_eq_u32_e64 s[6:7], 0, v55
	v_or_b32_e32 v10, v10, v58
	v_cndmask_b32_e32 v58, v36, v37, vcc
	v_cndmask_b32_e64 v55, v34, v35, s[6:7]
	v_or3_b32 v55, v10, v55, v58
	v_and_b32_e32 v10, 32, v8
	v_cmp_gt_i16_sdwa vcc, sext(v8), v38 src0_sel:BYTE_0 src1_sel:DWORD
	v_cmp_eq_u32_e64 s[6:7], 0, v56
	v_and_b32_e32 v58, 64, v8
	v_cndmask_b32_e32 v8, v36, v37, vcc
	v_cmp_eq_u32_e32 vcc, 0, v41
	v_cndmask_b32_e64 v56, 1, v31, s[6:7]
	v_cmp_eq_u32_e64 s[6:7], 0, v10
	v_cndmask_b32_e32 v41, 1, v31, vcc
	v_cmp_eq_u32_e32 vcc, 0, v58
	v_cndmask_b32_e64 v10, v32, v33, s[6:7]
	v_and_b32_e32 v58, 2, v9
	v_or_b32_e32 v8, v10, v8
	v_cndmask_b32_e32 v10, v34, v35, vcc
	v_or3_b32 v56, v8, v56, v10
	v_and_b32_e32 v8, 4, v9
	v_and_b32_e32 v10, 8, v9
	v_cmp_eq_u32_e64 s[6:7], 0, v58
	v_cmp_eq_u32_e32 vcc, 0, v10
	v_and_b32_e32 v10, 16, v9
	v_cndmask_b32_e64 v58, v32, v33, s[6:7]
	v_cmp_eq_u32_e64 s[6:7], 0, v8
	v_or_b32_e32 v41, v41, v58
	v_cndmask_b32_e32 v58, v36, v37, vcc
	v_cndmask_b32_e64 v8, v34, v35, s[6:7]
	v_or3_b32 v58, v41, v8, v58
	v_and_b32_e32 v8, 32, v9
	v_cmp_eq_u32_e64 s[6:7], 0, v10
	v_and_b32_e32 v41, 64, v9
	v_cmp_gt_i16_sdwa vcc, sext(v9), v38 src0_sel:BYTE_0 src1_sel:DWORD
	v_cndmask_b32_e64 v10, 1, v31, s[6:7]
	v_cmp_eq_u32_e64 s[6:7], 0, v8
	v_cndmask_b32_e32 v9, v36, v37, vcc
	v_cmp_eq_u32_e32 vcc, 0, v41
	v_cndmask_b32_e64 v8, v32, v33, s[6:7]
	v_and_b32_e32 v41, 16, v48
	v_or_b32_e32 v8, v8, v9
	v_cndmask_b32_e32 v9, v34, v35, vcc
	v_or3_b32 v59, v8, v10, v9
	v_and_b32_e32 v8, 32, v48
	v_cmp_gt_i16_sdwa vcc, sext(v48), v38 src0_sel:BYTE_0 src1_sel:DWORD
	v_cmp_eq_u32_e64 s[6:7], 0, v41
	v_and_b32_e32 v9, 64, v48
	v_cndmask_b32_e32 v10, v36, v37, vcc
	v_cmp_eq_u32_e32 vcc, 0, v47
	v_cndmask_b32_e64 v41, 1, v31, s[6:7]
	v_cmp_eq_u32_e64 s[6:7], 0, v8
	v_cndmask_b32_e32 v47, 1, v31, vcc
	v_cmp_eq_u32_e32 vcc, 0, v9
	v_cndmask_b32_e64 v8, v32, v33, s[6:7]
	v_and_b32_e32 v9, 2, v46
	v_or_b32_e32 v8, v8, v10
	v_cndmask_b32_e32 v10, v34, v35, vcc
	v_or3_b32 v41, v8, v41, v10
	v_and_b32_e32 v8, 4, v46
	v_and_b32_e32 v10, 8, v46
	v_cmp_eq_u32_e64 s[6:7], 0, v9
	v_cmp_eq_u32_e32 vcc, 0, v10
	v_and_b32_e32 v10, 16, v46
	v_cndmask_b32_e64 v9, v32, v33, s[6:7]
	v_cmp_eq_u32_e64 s[6:7], 0, v8
	v_or_b32_e32 v9, v47, v9
	v_cndmask_b32_e32 v47, v36, v37, vcc
	v_cndmask_b32_e64 v8, v34, v35, s[6:7]
	v_or3_b32 v47, v9, v8, v47
	v_and_b32_e32 v8, 32, v46
	v_cmp_gt_i16_sdwa vcc, sext(v46), v38 src0_sel:BYTE_0 src1_sel:DWORD
	v_cmp_eq_u32_e64 s[6:7], 0, v10
	v_and_b32_e32 v9, 64, v46
	v_cndmask_b32_e32 v46, v36, v37, vcc
	v_cmp_eq_u32_e32 vcc, 0, v49
	v_cndmask_b32_e64 v10, 1, v31, s[6:7]
	v_cmp_eq_u32_e64 s[6:7], 0, v8
	v_cndmask_b32_e32 v48, 1, v31, vcc
	v_cmp_eq_u32_e32 vcc, 0, v9
	v_cndmask_b32_e64 v8, v32, v33, s[6:7]
	v_and_b32_e32 v9, 2, v11
	v_or_b32_e32 v8, v8, v46
	v_cndmask_b32_e32 v46, v34, v35, vcc
	v_or3_b32 v46, v8, v10, v46
	v_and_b32_e32 v8, 4, v11
	v_and_b32_e32 v10, 8, v11
	v_cmp_eq_u32_e64 s[6:7], 0, v9
	v_cmp_eq_u32_e32 vcc, 0, v10
	v_and_b32_e32 v10, 16, v11
	v_cndmask_b32_e64 v9, v32, v33, s[6:7]
	v_cmp_eq_u32_e64 s[6:7], 0, v8
	v_or_b32_e32 v9, v48, v9
	v_cndmask_b32_e32 v48, v36, v37, vcc
	v_cndmask_b32_e64 v8, v34, v35, s[6:7]
	v_cmp_gt_i16_sdwa vcc, sext(v11), v38 src0_sel:BYTE_0 src1_sel:DWORD
	v_or3_b32 v48, v9, v8, v48
	v_and_b32_e32 v8, 32, v11
	v_and_b32_e32 v9, 64, v11
	v_cndmask_b32_e32 v11, v36, v37, vcc
	v_cmp_eq_u32_e32 vcc, 0, v10
	v_dot4c_i32_i8_e32 v39, v45, v4
	v_dot4c_i32_i8_e32 v50, v41, v4
	v_cndmask_b32_e32 v10, 1, v31, vcc
	v_cmp_eq_u32_e32 vcc, 0, v8
	v_dot4c_i32_i8_e32 v39, v55, v5
	v_dot4c_i32_i8_e32 v50, v47, v5
	v_cndmask_b32_e32 v8, v32, v33, vcc
	v_cmp_eq_u32_e32 vcc, 0, v9
	v_or_b32_e32 v8, v8, v11
	v_dot4c_i32_i8_e32 v39, v56, v6
	v_cndmask_b32_e32 v9, v34, v35, vcc
	v_or3_b32 v49, v8, v10, v9
	global_load_dwordx4 v[8:11], v[20:21], off offset:16
	global_load_dword v60, v[22:23], off offset:32
	global_load_ushort v61, v[24:25], off
	global_load_dword v4, v[18:19], off offset:16
	v_dot4c_i32_i8_e32 v50, v46, v6
	global_load_dwordx4 v[20:23], v[22:23], off offset:16
	v_dot4c_i32_i8_e32 v39, v58, v7
	v_dot4c_i32_i8_e32 v50, v48, v7
	v_cvt_f32_f16_e32 v25, v57
	v_cmp_le_u32_e32 vcc, s2, v28
	v_lshl_add_u64 v[18:19], v[18:19], 0, s[12:13]
	s_or_b64 s[8:9], vcc, s[8:9]
	s_waitcnt vmcnt(4)
	v_dot4c_i32_i8_e32 v51, v45, v8
	v_dot4c_i32_i8_e32 v52, v41, v8
	;; [unrolled: 1-line block ×5, first 2 shown]
	s_waitcnt vmcnt(0)
	v_dot4c_i32_i8_e32 v53, v45, v20
	v_dot4c_i32_i8_e32 v54, v41, v20
	;; [unrolled: 1-line block ×11, first 2 shown]
	v_cvt_f32_f16_e32 v24, v61
	v_dot4c_i32_i8_e32 v39, v59, v4
	v_dot4c_i32_i8_e32 v50, v49, v4
	v_dot4c_i32_i8_e32 v51, v59, v43
	v_dot4c_i32_i8_e32 v52, v49, v43
	v_dot4c_i32_i8_e32 v53, v59, v60
	v_dot4c_i32_i8_e32 v54, v49, v60
	v_cvt_f32_i32_e32 v5, v50
	v_cvt_f32_i32_e32 v4, v39
	;; [unrolled: 1-line block ×6, first 2 shown]
	v_pk_mul_f32 v[44:45], v[44:45], v[24:25] op_sel_hi:[0,1]
	v_pk_mul_f32 v[40:41], v[40:41], v[24:25] op_sel_hi:[0,1]
	;; [unrolled: 1-line block ×3, first 2 shown]
	v_pk_fma_f32 v[0:1], v[44:45], v[4:5], v[0:1]
	v_pk_fma_f32 v[2:3], v[40:41], v[6:7], v[2:3]
	;; [unrolled: 1-line block ×3, first 2 shown]
	s_andn2_b64 exec, exec, s[8:9]
	s_cbranch_execnz .LBB6_2
; %bb.3:
	s_or_b64 exec, exec, s[8:9]
	scratch_store_dwordx4 off, v[0:3], off
	scratch_store_dwordx2 off, v[12:13], off offset:16
.LBB6_4:
	s_or_b64 exec, exec, s[24:25]
	v_cmp_eq_u32_e32 vcc, 0, v27
	v_cmp_ne_u32_e64 s[6:7], 0, v27
	v_lshlrev_b32_e32 v4, 2, v26
	s_and_saveexec_b64 s[8:9], s[6:7]
	s_cbranch_execz .LBB6_6
; %bb.5:
	v_mul_u32_u24_e32 v5, 0x600, v27
	s_movk_i32 s2, 0xfa00
	v_add3_u32 v5, v5, v4, s2
	ds_write2st64_b32 v5, v0, v1 offset1:1
	ds_write2st64_b32 v5, v2, v3 offset0:2 offset1:3
	ds_write2st64_b32 v5, v12, v13 offset0:4 offset1:5
.LBB6_6:
	s_or_b64 exec, exec, s[8:9]
	s_waitcnt lgkmcnt(0)
	s_barrier
	s_and_saveexec_b64 s[6:7], vcc
	s_cbranch_execz .LBB6_13
; %bb.7:
	scratch_load_dwordx2 v[2:3], off, off
	v_mbcnt_lo_u32_b32 v0, -1, 0
	ds_read2st64_b32 v[6:7], v4 offset1:1
	v_mbcnt_hi_u32_b32 v12, -1, v0
	v_and_b32_e32 v0, 64, v12
	v_xor_b32_e32 v1, 32, v12
	v_add_u32_e32 v13, 64, v0
	v_cmp_lt_i32_e32 vcc, v1, v13
	v_xor_b32_e32 v5, 16, v12
	v_xor_b32_e32 v10, 8, v12
	v_cndmask_b32_e32 v0, v12, v1, vcc
	v_lshlrev_b32_e32 v0, 2, v0
	v_cmp_lt_i32_e32 vcc, v5, v13
	v_xor_b32_e32 v11, 4, v12
	v_xor_b32_e32 v14, 1, v12
	v_cndmask_b32_e32 v1, v12, v5, vcc
	v_lshlrev_b32_e32 v1, 2, v1
	v_cmp_lt_i32_e32 vcc, v10, v13
	v_xor_b32_e32 v5, 2, v12
	s_load_dwordx2 s[0:1], s[0:1], 0x38
	s_mul_i32 s2, s3, s14
	s_mul_i32 s4, s4, s18
	s_add_i32 s2, s2, s5
	s_mov_b32 s3, 0
	s_add_i32 s2, s2, s4
	s_lshl_b64 s[2:3], s[2:3], 2
	s_waitcnt lgkmcnt(0)
	s_add_u32 s2, s0, s2
	s_addc_u32 s3, s1, s3
	s_waitcnt vmcnt(0)
	v_pk_add_f32 v[2:3], v[6:7], v[2:3]
	ds_bpermute_b32 v6, v0, v2
	ds_bpermute_b32 v7, v0, v3
	s_waitcnt lgkmcnt(0)
	v_pk_add_f32 v[6:7], v[2:3], v[6:7]
	ds_bpermute_b32 v8, v1, v6
	ds_bpermute_b32 v9, v1, v7
	v_cndmask_b32_e32 v2, v12, v10, vcc
	v_lshlrev_b32_e32 v2, 2, v2
	v_cmp_lt_i32_e32 vcc, v11, v13
	s_waitcnt lgkmcnt(0)
	v_pk_add_f32 v[6:7], v[6:7], v[8:9]
	ds_bpermute_b32 v8, v2, v6
	ds_bpermute_b32 v9, v2, v7
	v_cndmask_b32_e32 v3, v12, v11, vcc
	v_lshlrev_b32_e32 v3, 2, v3
	v_cmp_lt_i32_e32 vcc, v5, v13
	;; [unrolled: 7-line block ×3, first 2 shown]
	s_waitcnt lgkmcnt(0)
	v_pk_add_f32 v[8:9], v[6:7], v[8:9]
	ds_bpermute_b32 v10, v5, v8
	ds_bpermute_b32 v11, v5, v9
	v_cndmask_b32_e32 v6, v12, v14, vcc
	v_lshlrev_b32_e32 v6, 2, v6
	v_or_b32_e32 v7, s5, v26
	v_cmp_gt_u32_e32 vcc, 2, v26
	s_waitcnt lgkmcnt(0)
	v_pk_add_f32 v[8:9], v[8:9], v[10:11]
	ds_bpermute_b32 v10, v6, v8
	ds_bpermute_b32 v11, v6, v9
	v_cmp_gt_u32_e64 s[0:1], s10, v7
	s_and_b64 s[0:1], vcc, s[0:1]
	s_waitcnt lgkmcnt(0)
	v_pk_add_f32 v[8:9], v[8:9], v[10:11]
	scratch_store_dwordx2 off, v[8:9], off
	s_and_saveexec_b64 s[4:5], s[0:1]
	s_cbranch_execz .LBB6_9
; %bb.8:
	scratch_load_dword v7, v4, off
	s_waitcnt vmcnt(0)
	global_store_dword v4, v7, s[2:3]
.LBB6_9:
	s_or_b64 exec, exec, s[4:5]
	scratch_load_dwordx2 v[8:9], off, off offset:8
	ds_read2st64_b32 v[10:11], v4 offset0:2 offset1:3
	s_waitcnt vmcnt(0) lgkmcnt(0)
	v_pk_add_f32 v[8:9], v[10:11], v[8:9]
	ds_bpermute_b32 v10, v0, v8
	ds_bpermute_b32 v11, v0, v9
	s_waitcnt lgkmcnt(0)
	v_pk_add_f32 v[8:9], v[8:9], v[10:11]
	ds_bpermute_b32 v10, v1, v8
	ds_bpermute_b32 v11, v1, v9
	s_waitcnt lgkmcnt(0)
	;; [unrolled: 4-line block ×6, first 2 shown]
	v_pk_add_f32 v[8:9], v[8:9], v[10:11]
	scratch_store_dwordx2 off, v[8:9], off offset:8
	s_and_saveexec_b64 s[4:5], s[0:1]
	s_cbranch_execz .LBB6_11
; %bb.10:
	scratch_load_dword v7, v4, off offset:8
	v_add_u32_e32 v8, s10, v26
	v_mov_b32_e32 v9, 0
	v_lshl_add_u64 v[8:9], v[8:9], 2, s[2:3]
	s_waitcnt vmcnt(0)
	global_store_dword v[8:9], v7, off
.LBB6_11:
	s_or_b64 exec, exec, s[4:5]
	scratch_load_dwordx2 v[8:9], off, off offset:16
	ds_read2st64_b32 v[10:11], v4 offset0:4 offset1:5
	s_waitcnt vmcnt(0) lgkmcnt(0)
	v_pk_add_f32 v[8:9], v[10:11], v[8:9]
	ds_bpermute_b32 v10, v0, v8
	ds_bpermute_b32 v11, v0, v9
	s_waitcnt lgkmcnt(0)
	v_pk_add_f32 v[8:9], v[8:9], v[10:11]
	ds_bpermute_b32 v0, v1, v8
	ds_bpermute_b32 v1, v1, v9
	s_waitcnt lgkmcnt(0)
	;; [unrolled: 4-line block ×6, first 2 shown]
	v_pk_add_f32 v[0:1], v[0:1], v[2:3]
	scratch_store_dwordx2 off, v[0:1], off offset:16
	s_and_b64 exec, exec, s[0:1]
	s_cbranch_execz .LBB6_13
; %bb.12:
	scratch_load_dword v2, v4, off offset:16
	v_lshl_or_b32 v0, s10, 1, v26
	v_mov_b32_e32 v1, 0
	v_lshl_add_u64 v[0:1], v[0:1], 2, s[2:3]
	s_waitcnt vmcnt(0)
	global_store_dword v[0:1], v2, off
.LBB6_13:
	s_endpgm
	.section	.rodata,"a",@progbits
	.p2align	6, 0x0
	.amdhsa_kernel _ZL13mul_mat_vec_qIL9ggml_type41ELi3ELb0ELb0EEvPKvS2_PKi31ggml_cuda_mm_fusion_args_devicePfj15HIP_vector_typeIjLj3EEjjjS8_jjjS8_jjjj
		.amdhsa_group_segment_fixed_size 1536
		.amdhsa_private_segment_fixed_size 32
		.amdhsa_kernarg_size 144
		.amdhsa_user_sgpr_count 2
		.amdhsa_user_sgpr_dispatch_ptr 0
		.amdhsa_user_sgpr_queue_ptr 0
		.amdhsa_user_sgpr_kernarg_segment_ptr 1
		.amdhsa_user_sgpr_dispatch_id 0
		.amdhsa_user_sgpr_kernarg_preload_length 0
		.amdhsa_user_sgpr_kernarg_preload_offset 0
		.amdhsa_user_sgpr_private_segment_size 0
		.amdhsa_uses_dynamic_stack 0
		.amdhsa_enable_private_segment 1
		.amdhsa_system_sgpr_workgroup_id_x 1
		.amdhsa_system_sgpr_workgroup_id_y 1
		.amdhsa_system_sgpr_workgroup_id_z 1
		.amdhsa_system_sgpr_workgroup_info 0
		.amdhsa_system_vgpr_workitem_id 1
		.amdhsa_next_free_vgpr 62
		.amdhsa_next_free_sgpr 26
		.amdhsa_accum_offset 64
		.amdhsa_reserve_vcc 1
		.amdhsa_float_round_mode_32 0
		.amdhsa_float_round_mode_16_64 0
		.amdhsa_float_denorm_mode_32 3
		.amdhsa_float_denorm_mode_16_64 3
		.amdhsa_dx10_clamp 1
		.amdhsa_ieee_mode 1
		.amdhsa_fp16_overflow 0
		.amdhsa_tg_split 0
		.amdhsa_exception_fp_ieee_invalid_op 0
		.amdhsa_exception_fp_denorm_src 0
		.amdhsa_exception_fp_ieee_div_zero 0
		.amdhsa_exception_fp_ieee_overflow 0
		.amdhsa_exception_fp_ieee_underflow 0
		.amdhsa_exception_fp_ieee_inexact 0
		.amdhsa_exception_int_div_zero 0
	.end_amdhsa_kernel
	.section	.text._ZL13mul_mat_vec_qIL9ggml_type41ELi3ELb0ELb0EEvPKvS2_PKi31ggml_cuda_mm_fusion_args_devicePfj15HIP_vector_typeIjLj3EEjjjS8_jjjS8_jjjj,"axG",@progbits,_ZL13mul_mat_vec_qIL9ggml_type41ELi3ELb0ELb0EEvPKvS2_PKi31ggml_cuda_mm_fusion_args_devicePfj15HIP_vector_typeIjLj3EEjjjS8_jjjS8_jjjj,comdat
.Lfunc_end6:
	.size	_ZL13mul_mat_vec_qIL9ggml_type41ELi3ELb0ELb0EEvPKvS2_PKi31ggml_cuda_mm_fusion_args_devicePfj15HIP_vector_typeIjLj3EEjjjS8_jjjS8_jjjj, .Lfunc_end6-_ZL13mul_mat_vec_qIL9ggml_type41ELi3ELb0ELb0EEvPKvS2_PKi31ggml_cuda_mm_fusion_args_devicePfj15HIP_vector_typeIjLj3EEjjjS8_jjjS8_jjjj
                                        ; -- End function
	.section	.AMDGPU.csdata,"",@progbits
; Kernel info:
; codeLenInByte = 3264
; NumSgprs: 32
; NumVgprs: 62
; NumAgprs: 0
; TotalNumVgprs: 62
; ScratchSize: 32
; MemoryBound: 0
; FloatMode: 240
; IeeeMode: 1
; LDSByteSize: 1536 bytes/workgroup (compile time only)
; SGPRBlocks: 3
; VGPRBlocks: 7
; NumSGPRsForWavesPerEU: 32
; NumVGPRsForWavesPerEU: 62
; AccumOffset: 64
; Occupancy: 8
; WaveLimiterHint : 0
; COMPUTE_PGM_RSRC2:SCRATCH_EN: 1
; COMPUTE_PGM_RSRC2:USER_SGPR: 2
; COMPUTE_PGM_RSRC2:TRAP_HANDLER: 0
; COMPUTE_PGM_RSRC2:TGID_X_EN: 1
; COMPUTE_PGM_RSRC2:TGID_Y_EN: 1
; COMPUTE_PGM_RSRC2:TGID_Z_EN: 1
; COMPUTE_PGM_RSRC2:TIDIG_COMP_CNT: 1
; COMPUTE_PGM_RSRC3_GFX90A:ACCUM_OFFSET: 15
; COMPUTE_PGM_RSRC3_GFX90A:TG_SPLIT: 0
	.section	.text._ZL13mul_mat_vec_qIL9ggml_type41ELi4ELb0ELb0EEvPKvS2_PKi31ggml_cuda_mm_fusion_args_devicePfj15HIP_vector_typeIjLj3EEjjjS8_jjjS8_jjjj,"axG",@progbits,_ZL13mul_mat_vec_qIL9ggml_type41ELi4ELb0ELb0EEvPKvS2_PKi31ggml_cuda_mm_fusion_args_devicePfj15HIP_vector_typeIjLj3EEjjjS8_jjjS8_jjjj,comdat
	.globl	_ZL13mul_mat_vec_qIL9ggml_type41ELi4ELb0ELb0EEvPKvS2_PKi31ggml_cuda_mm_fusion_args_devicePfj15HIP_vector_typeIjLj3EEjjjS8_jjjS8_jjjj ; -- Begin function _ZL13mul_mat_vec_qIL9ggml_type41ELi4ELb0ELb0EEvPKvS2_PKi31ggml_cuda_mm_fusion_args_devicePfj15HIP_vector_typeIjLj3EEjjjS8_jjjS8_jjjj
	.p2align	8
	.type	_ZL13mul_mat_vec_qIL9ggml_type41ELi4ELb0ELb0EEvPKvS2_PKi31ggml_cuda_mm_fusion_args_devicePfj15HIP_vector_typeIjLj3EEjjjS8_jjjS8_jjjj,@function
_ZL13mul_mat_vec_qIL9ggml_type41ELi4ELb0ELb0EEvPKvS2_PKi31ggml_cuda_mm_fusion_args_devicePfj15HIP_vector_typeIjLj3EEjjjS8_jjjS8_jjjj: ; @_ZL13mul_mat_vec_qIL9ggml_type41ELi4ELb0ELb0EEvPKvS2_PKi31ggml_cuda_mm_fusion_args_devicePfj15HIP_vector_typeIjLj3EEjjjS8_jjjS8_jjjj
; %bb.0:
	s_mov_b32 s20, 0
	v_bfe_u32 v17, v0, 10, 10
	v_and_b32_e32 v16, 0x3ff, v0
	s_mov_b32 s21, s20
	v_lshl_add_u32 v4, v17, 6, v16
	s_mov_b32 s22, s20
	s_mov_b32 s23, s20
	v_mov_b64_e32 v[0:1], s[20:21]
	s_load_dword s6, s[0:1], 0x40
	s_load_dwordx4 s[8:11], s[0:1], 0x50
	s_load_dword s25, s[0:1], 0x60
	s_load_dwordx4 s[12:15], s[0:1], 0x68
	s_load_dword s24, s[0:1], 0x78
	s_load_dwordx4 s[16:19], s[0:1], 0x80
	s_lshl_b32 s5, s2, 1
	s_waitcnt lgkmcnt(0)
	s_lshr_b32 s2, s6, 7
	v_mov_b64_e32 v[2:3], s[22:23]
	v_lshrrev_b32_e32 v28, 2, v4
	scratch_store_dwordx4 off, v[0:3], off offset:16
	scratch_store_dwordx4 off, v[0:3], off
	v_cmp_gt_u32_e32 vcc, s2, v28
	v_mov_b32_e32 v7, 0
	v_mov_b32_e32 v0, 0
	;; [unrolled: 1-line block ×8, first 2 shown]
	s_and_saveexec_b64 s[6:7], vcc
	s_cbranch_execz .LBB7_4
; %bb.1:
	s_mul_hi_u32 s11, s11, s3
	s_add_i32 s11, s3, s11
	s_load_dwordx4 s[20:23], s[0:1], 0x0
	s_lshr_b32 s11, s11, s25
	s_mul_i32 s11, s11, s12
	s_mul_hi_u32 s12, s15, s4
	s_add_i32 s12, s4, s12
	s_lshr_b32 s12, s12, s24
	s_mul_i32 s19, s4, s17
	s_mul_i32 s15, s12, s16
	;; [unrolled: 1-line block ×3, first 2 shown]
	s_mul_hi_u32 s12, s19, 36
	s_waitcnt lgkmcnt(0)
	s_add_u32 s16, s22, s16
	s_addc_u32 s17, s23, s12
	s_mul_i32 s12, s3, s13
	s_mul_hi_u32 s13, s12, 36
	s_mul_i32 s12, s12, 36
	s_add_u32 s16, s16, s12
	s_addc_u32 s17, s17, s13
	v_and_b32_e32 v2, 3, v16
	v_mad_u64_u32 v[20:21], s[16:17], v2, 36, s[16:17]
	s_mul_i32 s16, s5, s8
	s_add_i32 s15, s15, s11
	s_add_i32 s11, s15, s16
	;; [unrolled: 1-line block ×3, first 2 shown]
	v_lshlrev_b32_e32 v0, 2, v28
	s_mul_i32 s8, s8, s16
	v_mad_u64_u32 v[22:23], s[16:17], s9, 3, v[0:1]
	s_add_i32 s15, s15, s8
	v_add_u32_e32 v29, s9, v0
	v_lshl_add_u32 v23, s9, 1, v0
	s_movk_i32 s8, 0x90
	v_mov_b64_e32 v[0:1], s[12:13]
	v_mad_u64_u32 v[0:1], s[8:9], v28, s8, v[0:1]
	v_mad_u64_u32 v[0:1], s[8:9], s19, 36, v[0:1]
	;; [unrolled: 1-line block ×3, first 2 shown]
	v_mov_b32_e32 v19, 0
	v_lshl_add_u64 v[0:1], v[0:1], 0, s[22:23]
	v_lshlrev_b32_e32 v18, 2, v2
	v_lshl_add_u64 v[24:25], v[0:1], 0, 16
	s_mov_b64 s[8:9], 0
	v_mov_b32_e32 v30, 0xff
	v_mov_b32_e32 v31, 0x100
	;; [unrolled: 1-line block ×7, first 2 shown]
	s_mov_b64 s[12:13], 0x1200
	v_mov_b32_e32 v37, -1
	v_mov_b32_e32 v0, v19
	v_mov_b32_e32 v1, v19
	;; [unrolled: 1-line block ×8, first 2 shown]
.LBB7_2:                                ; =>This Inner Loop Header: Depth=1
	v_add_u32_e32 v26, s11, v28
	v_mad_i64_i32 v[26:27], s[16:17], v26, 18, s[20:21]
	global_load_dword v54, v[24:25], off offset:16
	global_load_dwordx4 v[8:11], v[24:25], off
	global_load_dwordx4 v[12:15], v[24:25], off offset:-16
	global_load_ushort v55, v[26:27], off
	v_lshl_add_u64 v[26:27], v[26:27], 0, v[18:19]
	global_load_dword v26, v[26:27], off offset:2
	v_mov_b32_e32 v56, 0
	v_lshl_add_u64 v[24:25], v[24:25], 0, s[12:13]
	s_waitcnt vmcnt(2)
	v_cvt_f32_f16_e32 v12, v12
	s_waitcnt vmcnt(0)
	v_and_b32_e32 v38, 1, v26
	v_cmp_eq_u32_e32 vcc, 0, v38
	v_and_b32_e32 v39, 2, v26
	v_and_b32_e32 v40, 4, v26
	v_cndmask_b32_e32 v38, 1, v30, vcc
	v_cmp_eq_u32_e32 vcc, 0, v39
	v_and_b32_e32 v42, 8, v26
	v_lshrrev_b32_e32 v41, 8, v26
	v_cndmask_b32_e32 v39, v31, v32, vcc
	v_cmp_eq_u32_e32 vcc, 0, v40
	v_or_b32_e32 v38, v38, v39
	v_and_b32_e32 v39, 16, v26
	v_cndmask_b32_e32 v40, v33, v34, vcc
	v_cmp_eq_u32_e32 vcc, 0, v42
	v_and_b32_e32 v44, 8, v41
	v_lshrrev_b32_e32 v27, 16, v26
	v_cndmask_b32_e32 v42, v35, v36, vcc
	v_or3_b32 v38, v38, v40, v42
	v_cmp_eq_u32_e32 vcc, 0, v39
	v_and_b32_e32 v40, 32, v26
	v_and_b32_e32 v42, 64, v26
	v_cndmask_b32_e32 v39, 1, v30, vcc
	v_cmp_eq_u32_e32 vcc, 0, v40
	v_and_b32_e32 v46, 8, v27
	v_lshrrev_b32_e32 v45, 24, v26
	v_cndmask_b32_e32 v40, v31, v32, vcc
	v_cmp_eq_u32_e32 vcc, 0, v42
	v_dot4c_i32_i8_e32 v56, v38, v13
	s_nop 0
	v_cndmask_b32_e32 v42, v33, v34, vcc
	v_cmp_gt_i16_sdwa vcc, sext(v26), v37 src0_sel:BYTE_0 src1_sel:DWORD
	s_nop 1
	v_cndmask_b32_e32 v43, v35, v36, vcc
	v_or_b32_e32 v40, v40, v43
	v_or3_b32 v39, v40, v39, v42
	v_bfe_u32 v40, v26, 8, 1
	v_cmp_eq_u32_e32 vcc, 0, v40
	v_and_b32_e32 v42, 2, v41
	v_and_b32_e32 v43, 4, v41
	v_cndmask_b32_e32 v40, 1, v30, vcc
	v_cmp_eq_u32_e32 vcc, 0, v42
	v_dot4c_i32_i8_e32 v56, v39, v14
	s_nop 0
	v_cndmask_b32_e32 v42, v31, v32, vcc
	v_cmp_eq_u32_e32 vcc, 0, v43
	v_or_b32_e32 v40, v40, v42
	v_and_b32_e32 v42, 16, v41
	v_cndmask_b32_e32 v43, v33, v34, vcc
	v_cmp_eq_u32_e32 vcc, 0, v44
	s_nop 1
	v_cndmask_b32_e32 v44, v35, v36, vcc
	v_or3_b32 v40, v40, v43, v44
	v_cmp_eq_u32_e32 vcc, 0, v42
	v_and_b32_e32 v43, 32, v41
	v_and_b32_e32 v44, 64, v41
	v_cndmask_b32_e32 v42, 1, v30, vcc
	v_cmp_eq_u32_e32 vcc, 0, v43
	v_dot4c_i32_i8_e32 v56, v40, v15
	s_nop 0
	v_cndmask_b32_e32 v43, v31, v32, vcc
	v_cmp_eq_u32_e32 vcc, 0, v44
	s_nop 1
	v_cndmask_b32_e32 v44, v33, v34, vcc
	v_cmp_gt_i16_sdwa vcc, sext(v41), v37 src0_sel:BYTE_0 src1_sel:DWORD
	s_nop 1
	v_cndmask_b32_e32 v41, v35, v36, vcc
	v_or_b32_e32 v41, v43, v41
	v_or3_b32 v41, v41, v42, v44
	v_bfe_u32 v42, v26, 16, 1
	v_cmp_eq_u32_e32 vcc, 0, v42
	v_and_b32_e32 v43, 2, v27
	v_and_b32_e32 v44, 4, v27
	v_cndmask_b32_e32 v42, 1, v30, vcc
	v_cmp_eq_u32_e32 vcc, 0, v43
	v_bfe_u32 v26, v26, 24, 1
	v_dot4c_i32_i8_e32 v56, v41, v8
	v_cndmask_b32_e32 v43, v31, v32, vcc
	v_cmp_eq_u32_e32 vcc, 0, v44
	v_or_b32_e32 v42, v42, v43
	v_and_b32_e32 v43, 16, v27
	v_cndmask_b32_e32 v44, v33, v34, vcc
	v_cmp_eq_u32_e32 vcc, 0, v46
	s_nop 1
	v_cndmask_b32_e32 v46, v35, v36, vcc
	v_or3_b32 v42, v42, v44, v46
	v_cmp_eq_u32_e32 vcc, 0, v43
	v_and_b32_e32 v44, 32, v27
	v_and_b32_e32 v46, 64, v27
	v_cndmask_b32_e32 v43, 1, v30, vcc
	v_cmp_eq_u32_e32 vcc, 0, v44
	v_dot4c_i32_i8_e32 v56, v42, v9
	s_nop 0
	v_cndmask_b32_e32 v44, v31, v32, vcc
	v_cmp_eq_u32_e32 vcc, 0, v46
	s_nop 1
	v_cndmask_b32_e32 v46, v33, v34, vcc
	v_cmp_gt_i16_sdwa vcc, sext(v27), v37 src0_sel:BYTE_0 src1_sel:DWORD
	s_nop 1
	v_cndmask_b32_e32 v27, v35, v36, vcc
	v_or_b32_e32 v27, v44, v27
	v_or3_b32 v43, v27, v43, v46
	v_cmp_eq_u32_e32 vcc, 0, v26
	v_and_b32_e32 v27, 2, v45
	v_and_b32_e32 v44, 4, v45
	v_cndmask_b32_e32 v26, 1, v30, vcc
	v_cmp_eq_u32_e32 vcc, 0, v27
	v_and_b32_e32 v46, 8, v45
	v_dot4c_i32_i8_e32 v56, v43, v10
	v_cndmask_b32_e32 v27, v31, v32, vcc
	v_cmp_eq_u32_e32 vcc, 0, v44
	v_or_b32_e32 v26, v26, v27
	v_and_b32_e32 v27, 32, v45
	v_cndmask_b32_e32 v44, v33, v34, vcc
	v_cmp_eq_u32_e32 vcc, 0, v46
	s_nop 1
	v_cndmask_b32_e32 v46, v35, v36, vcc
	v_or3_b32 v44, v26, v44, v46
	v_and_b32_e32 v26, 16, v45
	v_cmp_eq_u32_e32 vcc, 0, v26
	v_and_b32_e32 v46, 64, v45
	v_dot4c_i32_i8_e32 v56, v44, v11
	v_cndmask_b32_e32 v26, 1, v30, vcc
	v_cmp_eq_u32_e32 vcc, 0, v27
	s_nop 1
	v_cndmask_b32_e32 v27, v31, v32, vcc
	v_cmp_eq_u32_e32 vcc, 0, v46
	s_nop 1
	v_cndmask_b32_e32 v46, v33, v34, vcc
	v_cmp_gt_i16_sdwa vcc, sext(v45), v37 src0_sel:BYTE_0 src1_sel:DWORD
	s_nop 1
	v_cndmask_b32_e32 v45, v35, v36, vcc
	v_or_b32_e32 v27, v27, v45
	v_or3_b32 v45, v27, v26, v46
	v_add_u32_e32 v26, s15, v28
	v_mad_i64_i32 v[26:27], s[16:17], v26, 18, s[20:21]
	global_load_ushort v57, v[26:27], off
	v_lshl_add_u64 v[26:27], v[26:27], 0, v[18:19]
	global_load_dword v26, v[26:27], off offset:2
	v_dot4c_i32_i8_e32 v56, v45, v54
	v_add_u32_e32 v28, 32, v28
	s_waitcnt vmcnt(0)
	v_and_b32_e32 v46, 1, v26
	v_cmp_eq_u32_e32 vcc, 0, v46
	v_and_b32_e32 v47, 2, v26
	v_and_b32_e32 v48, 4, v26
	v_cndmask_b32_e32 v46, 1, v30, vcc
	v_cmp_eq_u32_e32 vcc, 0, v47
	v_and_b32_e32 v50, 8, v26
	v_lshrrev_b32_e32 v49, 8, v26
	v_cndmask_b32_e32 v47, v31, v32, vcc
	v_cmp_eq_u32_e32 vcc, 0, v48
	v_or_b32_e32 v46, v46, v47
	v_and_b32_e32 v47, 16, v26
	v_cndmask_b32_e32 v48, v33, v34, vcc
	v_cmp_eq_u32_e32 vcc, 0, v50
	v_and_b32_e32 v52, 8, v49
	v_lshrrev_b32_e32 v27, 16, v26
	v_cndmask_b32_e32 v50, v35, v36, vcc
	v_or3_b32 v46, v46, v48, v50
	v_cmp_eq_u32_e32 vcc, 0, v47
	v_and_b32_e32 v48, 32, v26
	v_and_b32_e32 v50, 64, v26
	v_cndmask_b32_e32 v47, 1, v30, vcc
	v_cmp_eq_u32_e32 vcc, 0, v48
	v_and_b32_e32 v58, 8, v27
	v_lshrrev_b32_e32 v53, 24, v26
	v_cndmask_b32_e32 v48, v31, v32, vcc
	v_cmp_eq_u32_e32 vcc, 0, v50
	s_nop 1
	v_cndmask_b32_e32 v50, v33, v34, vcc
	v_cmp_gt_i16_sdwa vcc, sext(v26), v37 src0_sel:BYTE_0 src1_sel:DWORD
	s_nop 1
	v_cndmask_b32_e32 v51, v35, v36, vcc
	v_or_b32_e32 v48, v48, v51
	v_or3_b32 v47, v48, v47, v50
	v_bfe_u32 v48, v26, 8, 1
	v_cmp_eq_u32_e32 vcc, 0, v48
	v_and_b32_e32 v50, 2, v49
	v_and_b32_e32 v51, 4, v49
	v_cndmask_b32_e32 v48, 1, v30, vcc
	v_cmp_eq_u32_e32 vcc, 0, v50
	s_nop 1
	v_cndmask_b32_e32 v50, v31, v32, vcc
	v_cmp_eq_u32_e32 vcc, 0, v51
	v_or_b32_e32 v48, v48, v50
	v_and_b32_e32 v50, 16, v49
	v_cndmask_b32_e32 v51, v33, v34, vcc
	v_cmp_eq_u32_e32 vcc, 0, v52
	s_nop 1
	v_cndmask_b32_e32 v52, v35, v36, vcc
	v_or3_b32 v48, v48, v51, v52
	v_cmp_eq_u32_e32 vcc, 0, v50
	v_and_b32_e32 v51, 32, v49
	v_and_b32_e32 v52, 64, v49
	v_cndmask_b32_e32 v50, 1, v30, vcc
	v_cmp_eq_u32_e32 vcc, 0, v51
	s_nop 1
	v_cndmask_b32_e32 v51, v31, v32, vcc
	v_cmp_eq_u32_e32 vcc, 0, v52
	s_nop 1
	v_cndmask_b32_e32 v52, v33, v34, vcc
	v_cmp_gt_i16_sdwa vcc, sext(v49), v37 src0_sel:BYTE_0 src1_sel:DWORD
	s_nop 1
	v_cndmask_b32_e32 v49, v35, v36, vcc
	v_or_b32_e32 v49, v51, v49
	v_or3_b32 v49, v49, v50, v52
	v_bfe_u32 v50, v26, 16, 1
	v_cmp_eq_u32_e32 vcc, 0, v50
	v_and_b32_e32 v51, 2, v27
	v_and_b32_e32 v52, 4, v27
	v_cndmask_b32_e32 v50, 1, v30, vcc
	v_cmp_eq_u32_e32 vcc, 0, v51
	v_bfe_u32 v26, v26, 24, 1
	s_nop 0
	v_cndmask_b32_e32 v51, v31, v32, vcc
	v_cmp_eq_u32_e32 vcc, 0, v52
	v_or_b32_e32 v50, v50, v51
	v_and_b32_e32 v51, 16, v27
	v_cndmask_b32_e32 v52, v33, v34, vcc
	v_cmp_eq_u32_e32 vcc, 0, v58
	s_nop 1
	v_cndmask_b32_e32 v58, v35, v36, vcc
	v_or3_b32 v50, v50, v52, v58
	v_cmp_eq_u32_e32 vcc, 0, v51
	v_and_b32_e32 v52, 32, v27
	v_and_b32_e32 v58, 64, v27
	v_cndmask_b32_e32 v51, 1, v30, vcc
	v_cmp_eq_u32_e32 vcc, 0, v52
	s_nop 1
	v_cndmask_b32_e32 v52, v31, v32, vcc
	v_cmp_eq_u32_e32 vcc, 0, v58
	s_nop 1
	v_cndmask_b32_e32 v58, v33, v34, vcc
	v_cmp_gt_i16_sdwa vcc, sext(v27), v37 src0_sel:BYTE_0 src1_sel:DWORD
	s_nop 1
	v_cndmask_b32_e32 v27, v35, v36, vcc
	v_or_b32_e32 v27, v52, v27
	v_or3_b32 v51, v27, v51, v58
	v_cmp_eq_u32_e32 vcc, 0, v26
	v_and_b32_e32 v27, 2, v53
	v_and_b32_e32 v52, 4, v53
	v_cndmask_b32_e32 v26, 1, v30, vcc
	v_cmp_eq_u32_e32 vcc, 0, v27
	v_and_b32_e32 v58, 8, v53
	s_nop 0
	v_cndmask_b32_e32 v27, v31, v32, vcc
	v_cmp_eq_u32_e32 vcc, 0, v52
	v_or_b32_e32 v26, v26, v27
	v_and_b32_e32 v27, 32, v53
	v_cndmask_b32_e32 v52, v33, v34, vcc
	v_cmp_eq_u32_e32 vcc, 0, v58
	s_nop 1
	v_cndmask_b32_e32 v58, v35, v36, vcc
	v_or3_b32 v52, v26, v52, v58
	v_and_b32_e32 v26, 16, v53
	v_cmp_eq_u32_e32 vcc, 0, v26
	v_and_b32_e32 v58, 64, v53
	s_nop 0
	v_cndmask_b32_e32 v26, 1, v30, vcc
	v_cmp_eq_u32_e32 vcc, 0, v27
	s_nop 1
	v_cndmask_b32_e32 v27, v31, v32, vcc
	v_cmp_eq_u32_e32 vcc, 0, v58
	s_nop 1
	v_cndmask_b32_e32 v58, v33, v34, vcc
	v_cmp_gt_i16_sdwa vcc, sext(v53), v37 src0_sel:BYTE_0 src1_sel:DWORD
	s_nop 1
	v_cndmask_b32_e32 v53, v35, v36, vcc
	v_or_b32_e32 v27, v27, v53
	v_or3_b32 v53, v27, v26, v58
	v_mov_b32_e32 v58, 0
	v_dot4c_i32_i8_e32 v58, v46, v13
	v_dot4c_i32_i8_e32 v58, v47, v14
	;; [unrolled: 1-line block ×8, first 2 shown]
	v_cvt_f32_f16_e32 v27, v57
	v_cvt_f32_f16_e32 v26, v55
	v_cvt_f32_i32_e32 v10, v56
	v_cvt_f32_i32_e32 v11, v58
	v_mad_u64_u32 v[54:55], s[16:17], v29, 36, v[20:21]
	v_pk_mul_f32 v[8:9], v[12:13], v[26:27] op_sel_hi:[0,1]
	v_pk_fma_f32 v[0:1], v[8:9], v[10:11], v[0:1]
	global_load_dword v56, v[54:55], off offset:32
	global_load_dwordx4 v[8:11], v[54:55], off offset:16
	global_load_dwordx4 v[12:15], v[54:55], off
	v_mov_b32_e32 v54, 0
	v_mov_b32_e32 v55, 0
	v_cmp_le_u32_e32 vcc, s2, v28
	v_add_u32_e32 v29, 0x80, v29
	s_or_b64 s[8:9], vcc, s[8:9]
	s_waitcnt vmcnt(0)
	v_dot4c_i32_i8_e32 v54, v38, v13
	v_dot4c_i32_i8_e32 v55, v46, v13
	;; [unrolled: 1-line block ×14, first 2 shown]
	v_cvt_f32_f16_e32 v12, v12
	v_dot4c_i32_i8_e32 v54, v45, v56
	v_dot4c_i32_i8_e32 v55, v53, v56
	v_pk_mul_f32 v[8:9], v[12:13], v[26:27] op_sel_hi:[0,1]
	s_nop 0
	v_cvt_f32_i32_e32 v10, v54
	v_cvt_f32_i32_e32 v11, v55
	v_mad_u64_u32 v[54:55], s[16:17], v23, 36, v[20:21]
	v_add_u32_e32 v23, 0x80, v23
	v_pk_fma_f32 v[2:3], v[8:9], v[10:11], v[2:3]
	global_load_dword v56, v[54:55], off offset:32
	global_load_dwordx4 v[8:11], v[54:55], off offset:16
	global_load_dwordx4 v[12:15], v[54:55], off
	v_mov_b32_e32 v54, 0
	v_mov_b32_e32 v55, 0
	s_waitcnt vmcnt(0)
	v_dot4c_i32_i8_e32 v54, v38, v13
	v_dot4c_i32_i8_e32 v55, v46, v13
	;; [unrolled: 1-line block ×14, first 2 shown]
	v_cvt_f32_f16_e32 v12, v12
	v_dot4c_i32_i8_e32 v54, v45, v56
	v_dot4c_i32_i8_e32 v55, v53, v56
	v_pk_mul_f32 v[8:9], v[12:13], v[26:27] op_sel_hi:[0,1]
	s_nop 0
	v_cvt_f32_i32_e32 v10, v54
	v_cvt_f32_i32_e32 v11, v55
	v_mad_u64_u32 v[54:55], s[16:17], v22, 36, v[20:21]
	v_add_u32_e32 v22, 0x80, v22
	v_pk_fma_f32 v[4:5], v[8:9], v[10:11], v[4:5]
	global_load_dword v56, v[54:55], off offset:32
	global_load_dwordx4 v[8:11], v[54:55], off offset:16
	global_load_dwordx4 v[12:15], v[54:55], off
	v_mov_b32_e32 v54, 0
	s_waitcnt vmcnt(0)
	v_dot4c_i32_i8_e32 v54, v38, v13
	v_mov_b32_e32 v38, 0
	v_dot4c_i32_i8_e32 v38, v46, v13
	v_dot4c_i32_i8_e32 v54, v39, v14
	;; [unrolled: 1-line block ×13, first 2 shown]
	v_cvt_f32_f16_e32 v12, v12
	v_dot4c_i32_i8_e32 v54, v45, v56
	v_dot4c_i32_i8_e32 v38, v53, v56
	v_pk_mul_f32 v[8:9], v[12:13], v[26:27] op_sel_hi:[0,1]
	s_nop 0
	v_cvt_f32_i32_e32 v10, v54
	v_cvt_f32_i32_e32 v11, v38
	v_pk_fma_f32 v[6:7], v[8:9], v[10:11], v[6:7]
	s_andn2_b64 exec, exec, s[8:9]
	s_cbranch_execnz .LBB7_2
; %bb.3:
	s_or_b64 exec, exec, s[8:9]
	scratch_store_dwordx4 off, v[0:3], off
	scratch_store_dwordx4 off, v[4:7], off offset:16
.LBB7_4:
	s_or_b64 exec, exec, s[6:7]
	v_cmp_eq_u32_e32 vcc, 0, v17
	v_cmp_ne_u32_e64 s[6:7], 0, v17
	v_lshlrev_b32_e32 v8, 2, v16
	s_and_saveexec_b64 s[8:9], s[6:7]
	s_cbranch_execz .LBB7_6
; %bb.5:
	v_lshlrev_b32_e32 v9, 11, v17
	s_movk_i32 s2, 0xf800
	v_add3_u32 v9, v9, v8, s2
	ds_write2st64_b32 v9, v0, v1 offset1:1
	ds_write2st64_b32 v9, v2, v3 offset0:2 offset1:3
	ds_write2st64_b32 v9, v4, v5 offset0:4 offset1:5
	ds_write2st64_b32 v9, v6, v7 offset0:6 offset1:7
.LBB7_6:
	s_or_b64 exec, exec, s[8:9]
	s_waitcnt lgkmcnt(0)
	s_barrier
	s_and_saveexec_b64 s[6:7], vcc
	s_cbranch_execz .LBB7_15
; %bb.7:
	scratch_load_dwordx2 v[2:3], off, off
	v_mbcnt_lo_u32_b32 v0, -1, 0
	ds_read2st64_b32 v[4:5], v8 offset1:1
	v_mbcnt_hi_u32_b32 v9, -1, v0
	v_and_b32_e32 v0, 64, v9
	v_xor_b32_e32 v1, 32, v9
	v_add_u32_e32 v12, 64, v0
	v_cmp_lt_i32_e32 vcc, v1, v12
	v_xor_b32_e32 v6, 16, v9
	v_xor_b32_e32 v10, 8, v9
	v_cndmask_b32_e32 v0, v9, v1, vcc
	v_lshlrev_b32_e32 v0, 2, v0
	v_cmp_lt_i32_e32 vcc, v6, v12
	v_xor_b32_e32 v11, 4, v9
	v_xor_b32_e32 v13, 2, v9
	v_cndmask_b32_e32 v1, v9, v6, vcc
	v_lshlrev_b32_e32 v1, 2, v1
	v_cmp_lt_i32_e32 vcc, v10, v12
	v_xor_b32_e32 v14, 1, v9
	s_load_dwordx2 s[0:1], s[0:1], 0x38
	s_mul_i32 s2, s3, s14
	s_mul_i32 s4, s4, s18
	s_add_i32 s2, s2, s5
	s_mov_b32 s3, 0
	s_add_i32 s2, s2, s4
	s_lshl_b64 s[2:3], s[2:3], 2
	s_waitcnt lgkmcnt(0)
	s_add_u32 s2, s0, s2
	s_addc_u32 s3, s1, s3
	s_waitcnt vmcnt(0)
	v_pk_add_f32 v[2:3], v[4:5], v[2:3]
	ds_bpermute_b32 v4, v0, v2
	ds_bpermute_b32 v5, v0, v3
	s_waitcnt lgkmcnt(0)
	v_pk_add_f32 v[4:5], v[2:3], v[4:5]
	ds_bpermute_b32 v6, v1, v4
	ds_bpermute_b32 v7, v1, v5
	v_cndmask_b32_e32 v2, v9, v10, vcc
	v_lshlrev_b32_e32 v2, 2, v2
	v_cmp_lt_i32_e32 vcc, v11, v12
	s_waitcnt lgkmcnt(0)
	v_pk_add_f32 v[4:5], v[4:5], v[6:7]
	ds_bpermute_b32 v6, v2, v4
	ds_bpermute_b32 v7, v2, v5
	v_cndmask_b32_e32 v3, v9, v11, vcc
	v_lshlrev_b32_e32 v3, 2, v3
	v_cmp_lt_i32_e32 vcc, v13, v12
	;; [unrolled: 7-line block ×3, first 2 shown]
	s_waitcnt lgkmcnt(0)
	v_pk_add_f32 v[6:7], v[6:7], v[10:11]
	ds_bpermute_b32 v10, v4, v6
	ds_bpermute_b32 v11, v4, v7
	v_cndmask_b32_e32 v5, v9, v14, vcc
	v_lshlrev_b32_e32 v5, 2, v5
	v_or_b32_e32 v9, s5, v16
	v_cmp_gt_u32_e32 vcc, 2, v16
	s_waitcnt lgkmcnt(0)
	v_pk_add_f32 v[6:7], v[6:7], v[10:11]
	ds_bpermute_b32 v10, v5, v6
	ds_bpermute_b32 v11, v5, v7
	v_cmp_gt_u32_e64 s[0:1], s10, v9
	s_and_b64 s[0:1], vcc, s[0:1]
	s_waitcnt lgkmcnt(0)
	v_pk_add_f32 v[6:7], v[6:7], v[10:11]
	scratch_store_dwordx2 off, v[6:7], off
	s_and_saveexec_b64 s[4:5], s[0:1]
	s_cbranch_execz .LBB7_9
; %bb.8:
	scratch_load_dword v6, v8, off
	s_waitcnt vmcnt(0)
	global_store_dword v8, v6, s[2:3]
.LBB7_9:
	s_or_b64 exec, exec, s[4:5]
	scratch_load_dwordx2 v[6:7], off, off offset:8
	ds_read2st64_b32 v[10:11], v8 offset0:2 offset1:3
	s_waitcnt vmcnt(0) lgkmcnt(0)
	v_pk_add_f32 v[6:7], v[10:11], v[6:7]
	ds_bpermute_b32 v10, v0, v6
	ds_bpermute_b32 v11, v0, v7
	s_waitcnt lgkmcnt(0)
	v_pk_add_f32 v[6:7], v[6:7], v[10:11]
	ds_bpermute_b32 v10, v1, v6
	ds_bpermute_b32 v11, v1, v7
	s_waitcnt lgkmcnt(0)
	;; [unrolled: 4-line block ×6, first 2 shown]
	v_pk_add_f32 v[6:7], v[6:7], v[10:11]
	scratch_store_dwordx2 off, v[6:7], off offset:8
	s_and_saveexec_b64 s[4:5], s[0:1]
	s_cbranch_execz .LBB7_11
; %bb.10:
	scratch_load_dword v9, v8, off offset:8
	v_add_u32_e32 v6, s10, v16
	v_mov_b32_e32 v7, 0
	v_lshl_add_u64 v[6:7], v[6:7], 2, s[2:3]
	s_waitcnt vmcnt(0)
	global_store_dword v[6:7], v9, off
.LBB7_11:
	s_or_b64 exec, exec, s[4:5]
	scratch_load_dwordx2 v[6:7], off, off offset:16
	ds_read2st64_b32 v[10:11], v8 offset0:4 offset1:5
	s_waitcnt vmcnt(0) lgkmcnt(0)
	v_pk_add_f32 v[6:7], v[10:11], v[6:7]
	ds_bpermute_b32 v10, v0, v6
	ds_bpermute_b32 v11, v0, v7
	s_waitcnt lgkmcnt(0)
	v_pk_add_f32 v[6:7], v[6:7], v[10:11]
	ds_bpermute_b32 v10, v1, v6
	ds_bpermute_b32 v11, v1, v7
	s_waitcnt lgkmcnt(0)
	;; [unrolled: 4-line block ×6, first 2 shown]
	v_pk_add_f32 v[6:7], v[6:7], v[10:11]
	scratch_store_dwordx2 off, v[6:7], off offset:16
	s_and_saveexec_b64 s[4:5], s[0:1]
	s_cbranch_execz .LBB7_13
; %bb.12:
	scratch_load_dword v9, v8, off offset:16
	v_lshl_or_b32 v6, s10, 1, v16
	v_mov_b32_e32 v7, 0
	v_lshl_add_u64 v[6:7], v[6:7], 2, s[2:3]
	s_waitcnt vmcnt(0)
	global_store_dword v[6:7], v9, off
.LBB7_13:
	s_or_b64 exec, exec, s[4:5]
	scratch_load_dwordx2 v[6:7], off, off offset:24
	ds_read2st64_b32 v[10:11], v8 offset0:6 offset1:7
	s_waitcnt vmcnt(0) lgkmcnt(0)
	v_pk_add_f32 v[6:7], v[10:11], v[6:7]
	ds_bpermute_b32 v10, v0, v6
	ds_bpermute_b32 v11, v0, v7
	s_waitcnt lgkmcnt(0)
	v_pk_add_f32 v[6:7], v[6:7], v[10:11]
	ds_bpermute_b32 v0, v1, v6
	ds_bpermute_b32 v1, v1, v7
	s_waitcnt lgkmcnt(0)
	;; [unrolled: 4-line block ×6, first 2 shown]
	v_pk_add_f32 v[0:1], v[0:1], v[2:3]
	scratch_store_dwordx2 off, v[0:1], off offset:24
	s_and_b64 exec, exec, s[0:1]
	s_cbranch_execz .LBB7_15
; %bb.14:
	scratch_load_dword v2, v8, off offset:24
	v_mad_u64_u32 v[0:1], s[0:1], s10, 3, v[16:17]
	v_mov_b32_e32 v1, 0
	v_lshl_add_u64 v[0:1], v[0:1], 2, s[2:3]
	s_waitcnt vmcnt(0)
	global_store_dword v[0:1], v2, off
.LBB7_15:
	s_endpgm
	.section	.rodata,"a",@progbits
	.p2align	6, 0x0
	.amdhsa_kernel _ZL13mul_mat_vec_qIL9ggml_type41ELi4ELb0ELb0EEvPKvS2_PKi31ggml_cuda_mm_fusion_args_devicePfj15HIP_vector_typeIjLj3EEjjjS8_jjjS8_jjjj
		.amdhsa_group_segment_fixed_size 2048
		.amdhsa_private_segment_fixed_size 48
		.amdhsa_kernarg_size 144
		.amdhsa_user_sgpr_count 2
		.amdhsa_user_sgpr_dispatch_ptr 0
		.amdhsa_user_sgpr_queue_ptr 0
		.amdhsa_user_sgpr_kernarg_segment_ptr 1
		.amdhsa_user_sgpr_dispatch_id 0
		.amdhsa_user_sgpr_kernarg_preload_length 0
		.amdhsa_user_sgpr_kernarg_preload_offset 0
		.amdhsa_user_sgpr_private_segment_size 0
		.amdhsa_uses_dynamic_stack 0
		.amdhsa_enable_private_segment 1
		.amdhsa_system_sgpr_workgroup_id_x 1
		.amdhsa_system_sgpr_workgroup_id_y 1
		.amdhsa_system_sgpr_workgroup_id_z 1
		.amdhsa_system_sgpr_workgroup_info 0
		.amdhsa_system_vgpr_workitem_id 1
		.amdhsa_next_free_vgpr 59
		.amdhsa_next_free_sgpr 26
		.amdhsa_accum_offset 60
		.amdhsa_reserve_vcc 1
		.amdhsa_float_round_mode_32 0
		.amdhsa_float_round_mode_16_64 0
		.amdhsa_float_denorm_mode_32 3
		.amdhsa_float_denorm_mode_16_64 3
		.amdhsa_dx10_clamp 1
		.amdhsa_ieee_mode 1
		.amdhsa_fp16_overflow 0
		.amdhsa_tg_split 0
		.amdhsa_exception_fp_ieee_invalid_op 0
		.amdhsa_exception_fp_denorm_src 0
		.amdhsa_exception_fp_ieee_div_zero 0
		.amdhsa_exception_fp_ieee_overflow 0
		.amdhsa_exception_fp_ieee_underflow 0
		.amdhsa_exception_fp_ieee_inexact 0
		.amdhsa_exception_int_div_zero 0
	.end_amdhsa_kernel
	.section	.text._ZL13mul_mat_vec_qIL9ggml_type41ELi4ELb0ELb0EEvPKvS2_PKi31ggml_cuda_mm_fusion_args_devicePfj15HIP_vector_typeIjLj3EEjjjS8_jjjS8_jjjj,"axG",@progbits,_ZL13mul_mat_vec_qIL9ggml_type41ELi4ELb0ELb0EEvPKvS2_PKi31ggml_cuda_mm_fusion_args_devicePfj15HIP_vector_typeIjLj3EEjjjS8_jjjS8_jjjj,comdat
.Lfunc_end7:
	.size	_ZL13mul_mat_vec_qIL9ggml_type41ELi4ELb0ELb0EEvPKvS2_PKi31ggml_cuda_mm_fusion_args_devicePfj15HIP_vector_typeIjLj3EEjjjS8_jjjS8_jjjj, .Lfunc_end7-_ZL13mul_mat_vec_qIL9ggml_type41ELi4ELb0ELb0EEvPKvS2_PKi31ggml_cuda_mm_fusion_args_devicePfj15HIP_vector_typeIjLj3EEjjjS8_jjjS8_jjjj
                                        ; -- End function
	.section	.AMDGPU.csdata,"",@progbits
; Kernel info:
; codeLenInByte = 3604
; NumSgprs: 32
; NumVgprs: 59
; NumAgprs: 0
; TotalNumVgprs: 59
; ScratchSize: 48
; MemoryBound: 0
; FloatMode: 240
; IeeeMode: 1
; LDSByteSize: 2048 bytes/workgroup (compile time only)
; SGPRBlocks: 3
; VGPRBlocks: 7
; NumSGPRsForWavesPerEU: 32
; NumVGPRsForWavesPerEU: 59
; AccumOffset: 60
; Occupancy: 8
; WaveLimiterHint : 0
; COMPUTE_PGM_RSRC2:SCRATCH_EN: 1
; COMPUTE_PGM_RSRC2:USER_SGPR: 2
; COMPUTE_PGM_RSRC2:TRAP_HANDLER: 0
; COMPUTE_PGM_RSRC2:TGID_X_EN: 1
; COMPUTE_PGM_RSRC2:TGID_Y_EN: 1
; COMPUTE_PGM_RSRC2:TGID_Z_EN: 1
; COMPUTE_PGM_RSRC2:TIDIG_COMP_CNT: 1
; COMPUTE_PGM_RSRC3_GFX90A:ACCUM_OFFSET: 14
; COMPUTE_PGM_RSRC3_GFX90A:TG_SPLIT: 0
	.section	.text._ZL13mul_mat_vec_qIL9ggml_type41ELi5ELb0ELb0EEvPKvS2_PKi31ggml_cuda_mm_fusion_args_devicePfj15HIP_vector_typeIjLj3EEjjjS8_jjjS8_jjjj,"axG",@progbits,_ZL13mul_mat_vec_qIL9ggml_type41ELi5ELb0ELb0EEvPKvS2_PKi31ggml_cuda_mm_fusion_args_devicePfj15HIP_vector_typeIjLj3EEjjjS8_jjjS8_jjjj,comdat
	.globl	_ZL13mul_mat_vec_qIL9ggml_type41ELi5ELb0ELb0EEvPKvS2_PKi31ggml_cuda_mm_fusion_args_devicePfj15HIP_vector_typeIjLj3EEjjjS8_jjjS8_jjjj ; -- Begin function _ZL13mul_mat_vec_qIL9ggml_type41ELi5ELb0ELb0EEvPKvS2_PKi31ggml_cuda_mm_fusion_args_devicePfj15HIP_vector_typeIjLj3EEjjjS8_jjjS8_jjjj
	.p2align	8
	.type	_ZL13mul_mat_vec_qIL9ggml_type41ELi5ELb0ELb0EEvPKvS2_PKi31ggml_cuda_mm_fusion_args_devicePfj15HIP_vector_typeIjLj3EEjjjS8_jjjS8_jjjj,@function
_ZL13mul_mat_vec_qIL9ggml_type41ELi5ELb0ELb0EEvPKvS2_PKi31ggml_cuda_mm_fusion_args_devicePfj15HIP_vector_typeIjLj3EEjjjS8_jjjS8_jjjj: ; @_ZL13mul_mat_vec_qIL9ggml_type41ELi5ELb0ELb0EEvPKvS2_PKi31ggml_cuda_mm_fusion_args_devicePfj15HIP_vector_typeIjLj3EEjjjS8_jjjS8_jjjj
; %bb.0:
	v_bfe_u32 v17, v0, 10, 10
	v_and_b32_e32 v16, 0x3ff, v0
	s_mov_b32 s20, 0
	s_load_dword s5, s[0:1], 0x40
	s_load_dwordx4 s[8:11], s[0:1], 0x50
	s_load_dword s25, s[0:1], 0x60
	s_load_dwordx4 s[12:15], s[0:1], 0x68
	;; [unrolled: 2-line block ×3, first 2 shown]
	v_lshl_or_b32 v4, v17, 6, v16
	s_mov_b32 s21, s20
	s_waitcnt lgkmcnt(0)
	s_lshr_b32 s5, s5, 7
	v_mov_b32_e32 v19, 0
	s_mov_b32 s22, s20
	s_mov_b32 s23, s20
	v_mov_b64_e32 v[0:1], s[20:21]
	v_lshrrev_b32_e32 v28, 2, v4
	s_lshl_b32 s2, s2, 1
	v_mov_b32_e32 v18, v19
	v_mov_b64_e32 v[2:3], s[22:23]
	v_cmp_gt_u32_e32 vcc, s5, v28
	scratch_store_dwordx2 off, v[18:19], off offset:32
	scratch_store_dwordx4 off, v[0:3], off offset:16
	scratch_store_dwordx4 off, v[0:3], off
	s_and_saveexec_b64 s[6:7], vcc
	s_cbranch_execz .LBB8_4
; %bb.1:
	s_mul_hi_u32 s11, s11, s3
	s_load_dwordx4 s[20:23], s[0:1], 0x0
	s_add_i32 s11, s3, s11
	s_lshr_b32 s11, s11, s25
	s_mul_i32 s19, s11, s12
	s_mul_hi_u32 s11, s15, s4
	s_add_i32 s11, s4, s11
	s_mul_i32 s25, s4, s17
	s_lshr_b32 s11, s11, s24
	s_mul_i32 s12, s25, 36
	s_mul_i32 s15, s11, s16
	s_mul_hi_u32 s11, s25, 36
	s_waitcnt lgkmcnt(0)
	s_add_u32 s16, s22, s12
	s_mul_i32 s12, s3, s13
	s_addc_u32 s11, s23, s11
	s_mul_hi_u32 s13, s12, 36
	s_mul_i32 s12, s12, 36
	s_add_u32 s16, s16, s12
	s_addc_u32 s17, s11, s13
	v_and_b32_e32 v2, 3, v16
	v_mad_u64_u32 v[20:21], s[16:17], v2, 36, s[16:17]
	s_mul_i32 s16, s2, s8
	s_add_i32 s17, s15, s19
	s_add_i32 s15, s17, s16
	s_add_i32 s16, s2, 1
	v_lshl_add_u32 v0, v17, 6, v16
	s_mul_i32 s8, s8, s16
	v_lshrrev_b32_e32 v3, 2, v0
	s_movk_i32 s16, 0x90
	v_mov_b64_e32 v[0:1], s[12:13]
	v_mad_u64_u32 v[0:1], s[12:13], v3, s16, v[0:1]
	v_mad_u64_u32 v[0:1], s[12:13], s25, 36, v[0:1]
	;; [unrolled: 1-line block ×3, first 2 shown]
	v_lshl_add_u64 v[0:1], v[0:1], 0, s[22:23]
	v_lshlrev_b32_e32 v18, 2, v2
	v_lshlrev_b32_e32 v29, 2, v28
	s_lshl_b32 s11, s9, 2
	s_add_i32 s8, s17, s8
	s_mul_i32 s19, s9, 3
	s_lshl_b32 s24, s9, 1
	v_lshl_add_u64 v[22:23], v[0:1], 0, 16
	s_mov_b64 s[12:13], 0
	v_mov_b32_e32 v30, 0xff
	v_mov_b32_e32 v31, 0x100
	;; [unrolled: 1-line block ×7, first 2 shown]
	s_mov_b64 s[16:17], 0x900
	v_mov_b32_e32 v37, -1
	v_mov_b32_e32 v4, v19
	v_mov_b32_e32 v5, v19
	;; [unrolled: 1-line block ×10, first 2 shown]
.LBB8_2:                                ; =>This Inner Loop Header: Depth=1
	v_add_u32_e32 v26, s15, v28
	v_mad_i64_i32 v[26:27], s[22:23], v26, 18, s[20:21]
	global_load_dword v54, v[22:23], off offset:16
	global_load_dwordx4 v[8:11], v[22:23], off
	global_load_dwordx4 v[12:15], v[22:23], off offset:-16
	global_load_ushort v55, v[26:27], off
	v_lshl_add_u64 v[26:27], v[26:27], 0, v[18:19]
	global_load_dword v26, v[26:27], off offset:2
	v_mov_b32_e32 v56, 0
	v_lshl_add_u64 v[22:23], v[22:23], 0, s[16:17]
	s_waitcnt vmcnt(2)
	v_cvt_f32_f16_e32 v12, v12
	s_waitcnt vmcnt(0)
	v_and_b32_e32 v38, 1, v26
	v_cmp_eq_u32_e32 vcc, 0, v38
	v_and_b32_e32 v39, 2, v26
	v_and_b32_e32 v40, 4, v26
	v_cndmask_b32_e32 v38, 1, v30, vcc
	v_cmp_eq_u32_e32 vcc, 0, v39
	v_and_b32_e32 v42, 8, v26
	v_lshrrev_b32_e32 v41, 8, v26
	v_cndmask_b32_e32 v39, v31, v32, vcc
	v_cmp_eq_u32_e32 vcc, 0, v40
	v_or_b32_e32 v38, v38, v39
	v_and_b32_e32 v39, 16, v26
	v_cndmask_b32_e32 v40, v33, v34, vcc
	v_cmp_eq_u32_e32 vcc, 0, v42
	v_and_b32_e32 v44, 8, v41
	v_lshrrev_b32_e32 v27, 16, v26
	v_cndmask_b32_e32 v42, v35, v36, vcc
	v_or3_b32 v38, v38, v40, v42
	v_cmp_eq_u32_e32 vcc, 0, v39
	v_and_b32_e32 v40, 32, v26
	v_and_b32_e32 v42, 64, v26
	v_cndmask_b32_e32 v39, 1, v30, vcc
	v_cmp_eq_u32_e32 vcc, 0, v40
	v_and_b32_e32 v46, 8, v27
	v_lshrrev_b32_e32 v45, 24, v26
	v_cndmask_b32_e32 v40, v31, v32, vcc
	v_cmp_eq_u32_e32 vcc, 0, v42
	v_dot4c_i32_i8_e32 v56, v38, v13
	s_nop 0
	v_cndmask_b32_e32 v42, v33, v34, vcc
	v_cmp_gt_i16_sdwa vcc, sext(v26), v37 src0_sel:BYTE_0 src1_sel:DWORD
	s_nop 1
	v_cndmask_b32_e32 v43, v35, v36, vcc
	v_or_b32_e32 v40, v40, v43
	v_or3_b32 v39, v40, v39, v42
	v_bfe_u32 v40, v26, 8, 1
	v_cmp_eq_u32_e32 vcc, 0, v40
	v_and_b32_e32 v42, 2, v41
	v_and_b32_e32 v43, 4, v41
	v_cndmask_b32_e32 v40, 1, v30, vcc
	v_cmp_eq_u32_e32 vcc, 0, v42
	v_dot4c_i32_i8_e32 v56, v39, v14
	s_nop 0
	v_cndmask_b32_e32 v42, v31, v32, vcc
	v_cmp_eq_u32_e32 vcc, 0, v43
	v_or_b32_e32 v40, v40, v42
	v_and_b32_e32 v42, 16, v41
	v_cndmask_b32_e32 v43, v33, v34, vcc
	v_cmp_eq_u32_e32 vcc, 0, v44
	s_nop 1
	v_cndmask_b32_e32 v44, v35, v36, vcc
	v_or3_b32 v40, v40, v43, v44
	v_cmp_eq_u32_e32 vcc, 0, v42
	v_and_b32_e32 v43, 32, v41
	v_and_b32_e32 v44, 64, v41
	v_cndmask_b32_e32 v42, 1, v30, vcc
	v_cmp_eq_u32_e32 vcc, 0, v43
	v_dot4c_i32_i8_e32 v56, v40, v15
	s_nop 0
	v_cndmask_b32_e32 v43, v31, v32, vcc
	v_cmp_eq_u32_e32 vcc, 0, v44
	s_nop 1
	v_cndmask_b32_e32 v44, v33, v34, vcc
	v_cmp_gt_i16_sdwa vcc, sext(v41), v37 src0_sel:BYTE_0 src1_sel:DWORD
	s_nop 1
	v_cndmask_b32_e32 v41, v35, v36, vcc
	v_or_b32_e32 v41, v43, v41
	v_or3_b32 v41, v41, v42, v44
	v_bfe_u32 v42, v26, 16, 1
	v_cmp_eq_u32_e32 vcc, 0, v42
	v_and_b32_e32 v43, 2, v27
	v_and_b32_e32 v44, 4, v27
	v_cndmask_b32_e32 v42, 1, v30, vcc
	v_cmp_eq_u32_e32 vcc, 0, v43
	v_bfe_u32 v26, v26, 24, 1
	v_dot4c_i32_i8_e32 v56, v41, v8
	v_cndmask_b32_e32 v43, v31, v32, vcc
	v_cmp_eq_u32_e32 vcc, 0, v44
	v_or_b32_e32 v42, v42, v43
	v_and_b32_e32 v43, 16, v27
	v_cndmask_b32_e32 v44, v33, v34, vcc
	v_cmp_eq_u32_e32 vcc, 0, v46
	s_nop 1
	v_cndmask_b32_e32 v46, v35, v36, vcc
	v_or3_b32 v42, v42, v44, v46
	v_cmp_eq_u32_e32 vcc, 0, v43
	v_and_b32_e32 v44, 32, v27
	v_and_b32_e32 v46, 64, v27
	v_cndmask_b32_e32 v43, 1, v30, vcc
	v_cmp_eq_u32_e32 vcc, 0, v44
	v_dot4c_i32_i8_e32 v56, v42, v9
	s_nop 0
	v_cndmask_b32_e32 v44, v31, v32, vcc
	v_cmp_eq_u32_e32 vcc, 0, v46
	s_nop 1
	v_cndmask_b32_e32 v46, v33, v34, vcc
	v_cmp_gt_i16_sdwa vcc, sext(v27), v37 src0_sel:BYTE_0 src1_sel:DWORD
	s_nop 1
	v_cndmask_b32_e32 v27, v35, v36, vcc
	v_or_b32_e32 v27, v44, v27
	v_or3_b32 v43, v27, v43, v46
	v_cmp_eq_u32_e32 vcc, 0, v26
	v_and_b32_e32 v27, 2, v45
	v_and_b32_e32 v44, 4, v45
	v_cndmask_b32_e32 v26, 1, v30, vcc
	v_cmp_eq_u32_e32 vcc, 0, v27
	v_and_b32_e32 v46, 8, v45
	v_dot4c_i32_i8_e32 v56, v43, v10
	v_cndmask_b32_e32 v27, v31, v32, vcc
	v_cmp_eq_u32_e32 vcc, 0, v44
	v_or_b32_e32 v26, v26, v27
	v_and_b32_e32 v27, 32, v45
	v_cndmask_b32_e32 v44, v33, v34, vcc
	v_cmp_eq_u32_e32 vcc, 0, v46
	s_nop 1
	v_cndmask_b32_e32 v46, v35, v36, vcc
	v_or3_b32 v44, v26, v44, v46
	v_and_b32_e32 v26, 16, v45
	v_cmp_eq_u32_e32 vcc, 0, v26
	v_and_b32_e32 v46, 64, v45
	v_dot4c_i32_i8_e32 v56, v44, v11
	v_cndmask_b32_e32 v26, 1, v30, vcc
	v_cmp_eq_u32_e32 vcc, 0, v27
	s_nop 1
	v_cndmask_b32_e32 v27, v31, v32, vcc
	v_cmp_eq_u32_e32 vcc, 0, v46
	s_nop 1
	v_cndmask_b32_e32 v46, v33, v34, vcc
	v_cmp_gt_i16_sdwa vcc, sext(v45), v37 src0_sel:BYTE_0 src1_sel:DWORD
	s_nop 1
	v_cndmask_b32_e32 v45, v35, v36, vcc
	v_or_b32_e32 v27, v27, v45
	v_or3_b32 v45, v27, v26, v46
	v_add_u32_e32 v26, s8, v28
	v_mad_i64_i32 v[26:27], s[22:23], v26, 18, s[20:21]
	global_load_ushort v57, v[26:27], off
	v_lshl_add_u64 v[26:27], v[26:27], 0, v[18:19]
	global_load_dword v26, v[26:27], off offset:2
	v_dot4c_i32_i8_e32 v56, v45, v54
	v_add_u32_e32 v28, 16, v28
	s_waitcnt vmcnt(0)
	v_and_b32_e32 v46, 1, v26
	v_cmp_eq_u32_e32 vcc, 0, v46
	v_and_b32_e32 v47, 2, v26
	v_and_b32_e32 v48, 4, v26
	v_cndmask_b32_e32 v46, 1, v30, vcc
	v_cmp_eq_u32_e32 vcc, 0, v47
	v_and_b32_e32 v50, 8, v26
	v_lshrrev_b32_e32 v49, 8, v26
	v_cndmask_b32_e32 v47, v31, v32, vcc
	v_cmp_eq_u32_e32 vcc, 0, v48
	v_or_b32_e32 v46, v46, v47
	v_and_b32_e32 v47, 16, v26
	v_cndmask_b32_e32 v48, v33, v34, vcc
	v_cmp_eq_u32_e32 vcc, 0, v50
	v_and_b32_e32 v52, 8, v49
	v_lshrrev_b32_e32 v27, 16, v26
	v_cndmask_b32_e32 v50, v35, v36, vcc
	v_or3_b32 v46, v46, v48, v50
	v_cmp_eq_u32_e32 vcc, 0, v47
	v_and_b32_e32 v48, 32, v26
	v_and_b32_e32 v50, 64, v26
	v_cndmask_b32_e32 v47, 1, v30, vcc
	v_cmp_eq_u32_e32 vcc, 0, v48
	v_and_b32_e32 v58, 8, v27
	v_lshrrev_b32_e32 v53, 24, v26
	v_cndmask_b32_e32 v48, v31, v32, vcc
	v_cmp_eq_u32_e32 vcc, 0, v50
	s_nop 1
	v_cndmask_b32_e32 v50, v33, v34, vcc
	v_cmp_gt_i16_sdwa vcc, sext(v26), v37 src0_sel:BYTE_0 src1_sel:DWORD
	s_nop 1
	v_cndmask_b32_e32 v51, v35, v36, vcc
	v_or_b32_e32 v48, v48, v51
	v_or3_b32 v47, v48, v47, v50
	v_bfe_u32 v48, v26, 8, 1
	v_cmp_eq_u32_e32 vcc, 0, v48
	v_and_b32_e32 v50, 2, v49
	v_and_b32_e32 v51, 4, v49
	v_cndmask_b32_e32 v48, 1, v30, vcc
	v_cmp_eq_u32_e32 vcc, 0, v50
	s_nop 1
	v_cndmask_b32_e32 v50, v31, v32, vcc
	v_cmp_eq_u32_e32 vcc, 0, v51
	v_or_b32_e32 v48, v48, v50
	v_and_b32_e32 v50, 16, v49
	v_cndmask_b32_e32 v51, v33, v34, vcc
	v_cmp_eq_u32_e32 vcc, 0, v52
	s_nop 1
	v_cndmask_b32_e32 v52, v35, v36, vcc
	v_or3_b32 v48, v48, v51, v52
	v_cmp_eq_u32_e32 vcc, 0, v50
	v_and_b32_e32 v51, 32, v49
	v_and_b32_e32 v52, 64, v49
	v_cndmask_b32_e32 v50, 1, v30, vcc
	v_cmp_eq_u32_e32 vcc, 0, v51
	s_nop 1
	v_cndmask_b32_e32 v51, v31, v32, vcc
	v_cmp_eq_u32_e32 vcc, 0, v52
	s_nop 1
	v_cndmask_b32_e32 v52, v33, v34, vcc
	v_cmp_gt_i16_sdwa vcc, sext(v49), v37 src0_sel:BYTE_0 src1_sel:DWORD
	s_nop 1
	v_cndmask_b32_e32 v49, v35, v36, vcc
	v_or_b32_e32 v49, v51, v49
	v_or3_b32 v49, v49, v50, v52
	v_bfe_u32 v50, v26, 16, 1
	v_cmp_eq_u32_e32 vcc, 0, v50
	v_and_b32_e32 v51, 2, v27
	v_and_b32_e32 v52, 4, v27
	v_cndmask_b32_e32 v50, 1, v30, vcc
	v_cmp_eq_u32_e32 vcc, 0, v51
	v_bfe_u32 v26, v26, 24, 1
	s_nop 0
	v_cndmask_b32_e32 v51, v31, v32, vcc
	v_cmp_eq_u32_e32 vcc, 0, v52
	v_or_b32_e32 v50, v50, v51
	v_and_b32_e32 v51, 16, v27
	v_cndmask_b32_e32 v52, v33, v34, vcc
	v_cmp_eq_u32_e32 vcc, 0, v58
	s_nop 1
	v_cndmask_b32_e32 v58, v35, v36, vcc
	v_or3_b32 v50, v50, v52, v58
	v_cmp_eq_u32_e32 vcc, 0, v51
	v_and_b32_e32 v52, 32, v27
	v_and_b32_e32 v58, 64, v27
	v_cndmask_b32_e32 v51, 1, v30, vcc
	v_cmp_eq_u32_e32 vcc, 0, v52
	s_nop 1
	v_cndmask_b32_e32 v52, v31, v32, vcc
	v_cmp_eq_u32_e32 vcc, 0, v58
	s_nop 1
	v_cndmask_b32_e32 v58, v33, v34, vcc
	v_cmp_gt_i16_sdwa vcc, sext(v27), v37 src0_sel:BYTE_0 src1_sel:DWORD
	s_nop 1
	v_cndmask_b32_e32 v27, v35, v36, vcc
	v_or_b32_e32 v27, v52, v27
	v_or3_b32 v51, v27, v51, v58
	v_cmp_eq_u32_e32 vcc, 0, v26
	v_and_b32_e32 v27, 2, v53
	v_and_b32_e32 v52, 4, v53
	v_cndmask_b32_e32 v26, 1, v30, vcc
	v_cmp_eq_u32_e32 vcc, 0, v27
	v_and_b32_e32 v58, 8, v53
	s_nop 0
	v_cndmask_b32_e32 v27, v31, v32, vcc
	v_cmp_eq_u32_e32 vcc, 0, v52
	v_or_b32_e32 v26, v26, v27
	v_and_b32_e32 v27, 32, v53
	v_cndmask_b32_e32 v52, v33, v34, vcc
	v_cmp_eq_u32_e32 vcc, 0, v58
	s_nop 1
	v_cndmask_b32_e32 v58, v35, v36, vcc
	v_or3_b32 v52, v26, v52, v58
	v_and_b32_e32 v26, 16, v53
	v_cmp_eq_u32_e32 vcc, 0, v26
	v_and_b32_e32 v58, 64, v53
	s_nop 0
	v_cndmask_b32_e32 v26, 1, v30, vcc
	v_cmp_eq_u32_e32 vcc, 0, v27
	s_nop 1
	v_cndmask_b32_e32 v27, v31, v32, vcc
	v_cmp_eq_u32_e32 vcc, 0, v58
	s_nop 1
	v_cndmask_b32_e32 v58, v33, v34, vcc
	v_cmp_gt_i16_sdwa vcc, sext(v53), v37 src0_sel:BYTE_0 src1_sel:DWORD
	s_nop 1
	v_cndmask_b32_e32 v53, v35, v36, vcc
	v_or_b32_e32 v27, v27, v53
	v_or3_b32 v53, v27, v26, v58
	v_mov_b32_e32 v58, 0
	v_dot4c_i32_i8_e32 v58, v46, v13
	v_dot4c_i32_i8_e32 v58, v47, v14
	;; [unrolled: 1-line block ×8, first 2 shown]
	v_cvt_f32_f16_e32 v27, v57
	v_cvt_f32_f16_e32 v26, v55
	v_cvt_f32_i32_e32 v10, v56
	v_cvt_f32_i32_e32 v11, v58
	v_cmp_le_u32_e32 vcc, s5, v28
	v_pk_mul_f32 v[8:9], v[12:13], v[26:27] op_sel_hi:[0,1]
	v_pk_fma_f32 v[4:5], v[8:9], v[10:11], v[4:5]
	v_add_u32_e32 v8, s9, v29
	v_mad_u64_u32 v[54:55], s[22:23], v8, 36, v[20:21]
	global_load_dword v56, v[54:55], off offset:32
	global_load_dwordx4 v[8:11], v[54:55], off offset:16
	global_load_dwordx4 v[12:15], v[54:55], off
	v_mov_b32_e32 v54, 0
	v_mov_b32_e32 v55, 0
	s_add_i32 s9, s9, 64
	s_waitcnt vmcnt(0)
	v_dot4c_i32_i8_e32 v54, v38, v13
	v_dot4c_i32_i8_e32 v55, v46, v13
	v_dot4c_i32_i8_e32 v54, v39, v14
	v_dot4c_i32_i8_e32 v55, v47, v14
	v_dot4c_i32_i8_e32 v54, v40, v15
	v_dot4c_i32_i8_e32 v55, v48, v15
	v_dot4c_i32_i8_e32 v54, v41, v8
	v_dot4c_i32_i8_e32 v55, v49, v8
	v_dot4c_i32_i8_e32 v54, v42, v9
	v_dot4c_i32_i8_e32 v55, v50, v9
	v_dot4c_i32_i8_e32 v54, v43, v10
	v_dot4c_i32_i8_e32 v55, v51, v10
	v_dot4c_i32_i8_e32 v54, v44, v11
	v_dot4c_i32_i8_e32 v55, v52, v11
	v_cvt_f32_f16_e32 v12, v12
	v_dot4c_i32_i8_e32 v54, v45, v56
	v_dot4c_i32_i8_e32 v55, v53, v56
	v_pk_mul_f32 v[8:9], v[12:13], v[26:27] op_sel_hi:[0,1]
	s_nop 0
	v_cvt_f32_i32_e32 v10, v54
	v_cvt_f32_i32_e32 v11, v55
	v_pk_fma_f32 v[6:7], v[8:9], v[10:11], v[6:7]
	v_add_u32_e32 v8, s24, v29
	v_mad_u64_u32 v[54:55], s[22:23], v8, 36, v[20:21]
	global_load_dword v56, v[54:55], off offset:32
	global_load_dwordx4 v[8:11], v[54:55], off offset:16
	global_load_dwordx4 v[12:15], v[54:55], off
	v_mov_b32_e32 v54, 0
	v_mov_b32_e32 v55, 0
	s_add_i32 s24, s24, 64
	s_waitcnt vmcnt(0)
	v_dot4c_i32_i8_e32 v54, v38, v13
	v_dot4c_i32_i8_e32 v55, v46, v13
	v_dot4c_i32_i8_e32 v54, v39, v14
	v_dot4c_i32_i8_e32 v55, v47, v14
	v_dot4c_i32_i8_e32 v54, v40, v15
	v_dot4c_i32_i8_e32 v55, v48, v15
	v_dot4c_i32_i8_e32 v54, v41, v8
	v_dot4c_i32_i8_e32 v55, v49, v8
	v_dot4c_i32_i8_e32 v54, v42, v9
	v_dot4c_i32_i8_e32 v55, v50, v9
	v_dot4c_i32_i8_e32 v54, v43, v10
	v_dot4c_i32_i8_e32 v55, v51, v10
	v_dot4c_i32_i8_e32 v54, v44, v11
	v_dot4c_i32_i8_e32 v55, v52, v11
	v_cvt_f32_f16_e32 v12, v12
	v_dot4c_i32_i8_e32 v54, v45, v56
	v_dot4c_i32_i8_e32 v55, v53, v56
	v_pk_mul_f32 v[8:9], v[12:13], v[26:27] op_sel_hi:[0,1]
	s_nop 0
	v_cvt_f32_i32_e32 v10, v54
	v_cvt_f32_i32_e32 v11, v55
	;; [unrolled: 31-line block ×3, first 2 shown]
	v_pk_fma_f32 v[2:3], v[8:9], v[10:11], v[2:3]
	v_add_u32_e32 v8, s11, v29
	v_mad_u64_u32 v[54:55], s[22:23], v8, 36, v[20:21]
	global_load_dword v56, v[54:55], off offset:32
	global_load_dwordx4 v[8:11], v[54:55], off offset:16
	global_load_dwordx4 v[12:15], v[54:55], off
	v_mov_b32_e32 v54, 0
	s_add_i32 s11, s11, 64
	s_or_b64 s[12:13], vcc, s[12:13]
	s_waitcnt vmcnt(0)
	v_dot4c_i32_i8_e32 v54, v38, v13
	v_mov_b32_e32 v38, 0
	v_dot4c_i32_i8_e32 v38, v46, v13
	v_dot4c_i32_i8_e32 v54, v39, v14
	;; [unrolled: 1-line block ×13, first 2 shown]
	v_cvt_f32_f16_e32 v12, v12
	v_dot4c_i32_i8_e32 v54, v45, v56
	v_dot4c_i32_i8_e32 v38, v53, v56
	v_pk_mul_f32 v[8:9], v[12:13], v[26:27] op_sel_hi:[0,1]
	s_nop 0
	v_cvt_f32_i32_e32 v10, v54
	v_cvt_f32_i32_e32 v11, v38
	v_pk_fma_f32 v[24:25], v[8:9], v[10:11], v[24:25]
	s_andn2_b64 exec, exec, s[12:13]
	s_cbranch_execnz .LBB8_2
; %bb.3:
	s_or_b64 exec, exec, s[12:13]
	scratch_store_dwordx4 off, v[4:7], off
	scratch_store_dwordx4 off, v[0:3], off offset:16
	scratch_store_dwordx2 off, v[24:25], off offset:32
.LBB8_4:
	s_or_b64 exec, exec, s[6:7]
	s_mov_b32 s5, 0
	v_cmp_eq_u32_e32 vcc, 0, v17
	s_waitcnt lgkmcnt(0)
	; wave barrier
	s_and_saveexec_b64 s[6:7], vcc
	s_cbranch_execz .LBB8_15
; %bb.5:
	scratch_load_dwordx2 v[2:3], off, off
	v_mbcnt_lo_u32_b32 v0, -1, 0
	v_mbcnt_hi_u32_b32 v12, -1, v0
	s_load_dwordx2 s[6:7], s[0:1], 0x38
	s_mul_i32 s0, s3, s14
	v_or_b32_e32 v1, s2, v16
	v_and_b32_e32 v0, 64, v12
	s_mul_i32 s4, s4, s18
	s_add_i32 s2, s0, s2
	v_cmp_gt_u32_e64 s[0:1], s10, v1
	v_xor_b32_e32 v1, 32, v12
	v_add_u32_e32 v13, 64, v0
	s_add_i32 s4, s2, s4
	v_cmp_lt_i32_e64 s[2:3], v1, v13
	v_cmp_gt_u32_e32 vcc, 2, v16
	s_nop 0
	v_cndmask_b32_e64 v0, v12, v1, s[2:3]
	v_lshlrev_b32_e32 v0, 2, v0
	v_xor_b32_e32 v1, 16, v12
	v_cmp_lt_i32_e64 s[2:3], v1, v13
	s_waitcnt vmcnt(0)
	ds_bpermute_b32 v4, v0, v2
	ds_bpermute_b32 v5, v0, v3
	v_cndmask_b32_e64 v1, v12, v1, s[2:3]
	v_lshlrev_b32_e32 v1, 2, v1
	s_waitcnt lgkmcnt(0)
	v_pk_add_f32 v[4:5], v[2:3], v[4:5]
	ds_bpermute_b32 v6, v1, v4
	ds_bpermute_b32 v7, v1, v5
	v_xor_b32_e32 v2, 8, v12
	v_cmp_lt_i32_e64 s[2:3], v2, v13
	v_xor_b32_e32 v3, 4, v12
	s_waitcnt lgkmcnt(0)
	v_pk_add_f32 v[4:5], v[4:5], v[6:7]
	v_cndmask_b32_e64 v2, v12, v2, s[2:3]
	v_lshlrev_b32_e32 v2, 2, v2
	ds_bpermute_b32 v6, v2, v4
	ds_bpermute_b32 v7, v2, v5
	v_cmp_lt_i32_e64 s[2:3], v3, v13
	s_waitcnt lgkmcnt(0)
	v_pk_add_f32 v[6:7], v[4:5], v[6:7]
	v_cndmask_b32_e64 v3, v12, v3, s[2:3]
	v_lshlrev_b32_e32 v3, 2, v3
	ds_bpermute_b32 v8, v3, v6
	ds_bpermute_b32 v9, v3, v7
	v_xor_b32_e32 v4, 2, v12
	v_cmp_lt_i32_e64 s[2:3], v4, v13
	v_xor_b32_e32 v5, 1, v12
	s_waitcnt lgkmcnt(0)
	v_pk_add_f32 v[8:9], v[6:7], v[8:9]
	v_cndmask_b32_e64 v4, v12, v4, s[2:3]
	v_lshlrev_b32_e32 v4, 2, v4
	ds_bpermute_b32 v10, v4, v8
	ds_bpermute_b32 v11, v4, v9
	v_cmp_lt_i32_e64 s[2:3], v5, v13
	s_waitcnt lgkmcnt(0)
	v_pk_add_f32 v[8:9], v[8:9], v[10:11]
	v_cndmask_b32_e64 v5, v12, v5, s[2:3]
	v_lshlrev_b32_e32 v6, 2, v5
	ds_bpermute_b32 v10, v6, v8
	ds_bpermute_b32 v11, v6, v9
	s_lshl_b64 s[2:3], s[4:5], 2
	s_add_u32 s2, s6, s2
	s_addc_u32 s3, s7, s3
	s_and_b64 s[0:1], vcc, s[0:1]
	s_waitcnt lgkmcnt(0)
	v_pk_add_f32 v[8:9], v[8:9], v[10:11]
	v_lshlrev_b32_e32 v5, 2, v16
	scratch_store_dwordx2 off, v[8:9], off
	s_and_saveexec_b64 s[4:5], s[0:1]
	s_cbranch_execz .LBB8_7
; %bb.6:
	scratch_load_dword v7, v5, off
	s_waitcnt vmcnt(0)
	global_store_dword v5, v7, s[2:3]
.LBB8_7:
	s_or_b64 exec, exec, s[4:5]
	scratch_load_dwordx2 v[8:9], off, off offset:8
	s_waitcnt vmcnt(0)
	ds_bpermute_b32 v10, v0, v8
	ds_bpermute_b32 v11, v0, v9
	s_waitcnt lgkmcnt(0)
	v_pk_add_f32 v[8:9], v[8:9], v[10:11]
	ds_bpermute_b32 v10, v1, v8
	ds_bpermute_b32 v11, v1, v9
	s_waitcnt lgkmcnt(0)
	v_pk_add_f32 v[8:9], v[8:9], v[10:11]
	;; [unrolled: 4-line block ×6, first 2 shown]
	scratch_store_dwordx2 off, v[8:9], off offset:8
	s_and_saveexec_b64 s[4:5], s[0:1]
	s_cbranch_execz .LBB8_9
; %bb.8:
	scratch_load_dword v7, v5, off offset:8
	v_add_u32_e32 v8, s10, v16
	v_mov_b32_e32 v9, 0
	v_lshl_add_u64 v[8:9], v[8:9], 2, s[2:3]
	s_waitcnt vmcnt(0)
	global_store_dword v[8:9], v7, off
.LBB8_9:
	s_or_b64 exec, exec, s[4:5]
	scratch_load_dwordx2 v[8:9], off, off offset:16
	s_waitcnt vmcnt(0)
	ds_bpermute_b32 v10, v0, v8
	ds_bpermute_b32 v11, v0, v9
	s_waitcnt lgkmcnt(0)
	v_pk_add_f32 v[8:9], v[8:9], v[10:11]
	ds_bpermute_b32 v10, v1, v8
	ds_bpermute_b32 v11, v1, v9
	s_waitcnt lgkmcnt(0)
	v_pk_add_f32 v[8:9], v[8:9], v[10:11]
	;; [unrolled: 4-line block ×6, first 2 shown]
	scratch_store_dwordx2 off, v[8:9], off offset:16
	s_and_saveexec_b64 s[4:5], s[0:1]
	s_cbranch_execz .LBB8_11
; %bb.10:
	scratch_load_dword v7, v5, off offset:16
	v_lshl_or_b32 v8, s10, 1, v16
	v_mov_b32_e32 v9, 0
	v_lshl_add_u64 v[8:9], v[8:9], 2, s[2:3]
	s_waitcnt vmcnt(0)
	global_store_dword v[8:9], v7, off
.LBB8_11:
	s_or_b64 exec, exec, s[4:5]
	scratch_load_dwordx2 v[8:9], off, off offset:24
	s_waitcnt vmcnt(0)
	ds_bpermute_b32 v10, v0, v8
	ds_bpermute_b32 v11, v0, v9
	s_waitcnt lgkmcnt(0)
	v_pk_add_f32 v[8:9], v[8:9], v[10:11]
	ds_bpermute_b32 v10, v1, v8
	ds_bpermute_b32 v11, v1, v9
	s_waitcnt lgkmcnt(0)
	v_pk_add_f32 v[8:9], v[8:9], v[10:11]
	;; [unrolled: 4-line block ×6, first 2 shown]
	scratch_store_dwordx2 off, v[8:9], off offset:24
	s_and_saveexec_b64 s[4:5], s[0:1]
	s_cbranch_execz .LBB8_13
; %bb.12:
	scratch_load_dword v7, v5, off offset:24
	v_mad_u64_u32 v[8:9], s[6:7], s10, 3, v[16:17]
	v_mov_b32_e32 v9, 0
	v_lshl_add_u64 v[8:9], v[8:9], 2, s[2:3]
	s_waitcnt vmcnt(0)
	global_store_dword v[8:9], v7, off
.LBB8_13:
	s_or_b64 exec, exec, s[4:5]
	scratch_load_dwordx2 v[8:9], off, off offset:32
	s_waitcnt vmcnt(0)
	ds_bpermute_b32 v10, v0, v8
	ds_bpermute_b32 v11, v0, v9
	s_waitcnt lgkmcnt(0)
	v_pk_add_f32 v[8:9], v[8:9], v[10:11]
	ds_bpermute_b32 v0, v1, v8
	ds_bpermute_b32 v1, v1, v9
	s_waitcnt lgkmcnt(0)
	v_pk_add_f32 v[0:1], v[8:9], v[0:1]
	ds_bpermute_b32 v8, v2, v0
	ds_bpermute_b32 v9, v2, v1
	s_waitcnt lgkmcnt(0)
	v_pk_add_f32 v[0:1], v[0:1], v[8:9]
	ds_bpermute_b32 v2, v3, v0
	ds_bpermute_b32 v3, v3, v1
	s_waitcnt lgkmcnt(0)
	v_pk_add_f32 v[0:1], v[0:1], v[2:3]
	ds_bpermute_b32 v2, v4, v0
	ds_bpermute_b32 v3, v4, v1
	s_waitcnt lgkmcnt(0)
	v_pk_add_f32 v[0:1], v[0:1], v[2:3]
	ds_bpermute_b32 v2, v6, v0
	ds_bpermute_b32 v3, v6, v1
	s_waitcnt lgkmcnt(0)
	v_pk_add_f32 v[0:1], v[0:1], v[2:3]
	scratch_store_dwordx2 off, v[0:1], off offset:32
	s_and_b64 exec, exec, s[0:1]
	s_cbranch_execz .LBB8_15
; %bb.14:
	scratch_load_dword v2, v5, off offset:32
	v_lshl_or_b32 v0, s10, 2, v16
	v_mov_b32_e32 v1, 0
	v_lshl_add_u64 v[0:1], v[0:1], 2, s[2:3]
	s_waitcnt vmcnt(0)
	global_store_dword v[0:1], v2, off
.LBB8_15:
	s_endpgm
	.section	.rodata,"a",@progbits
	.p2align	6, 0x0
	.amdhsa_kernel _ZL13mul_mat_vec_qIL9ggml_type41ELi5ELb0ELb0EEvPKvS2_PKi31ggml_cuda_mm_fusion_args_devicePfj15HIP_vector_typeIjLj3EEjjjS8_jjjS8_jjjj
		.amdhsa_group_segment_fixed_size 0
		.amdhsa_private_segment_fixed_size 48
		.amdhsa_kernarg_size 144
		.amdhsa_user_sgpr_count 2
		.amdhsa_user_sgpr_dispatch_ptr 0
		.amdhsa_user_sgpr_queue_ptr 0
		.amdhsa_user_sgpr_kernarg_segment_ptr 1
		.amdhsa_user_sgpr_dispatch_id 0
		.amdhsa_user_sgpr_kernarg_preload_length 0
		.amdhsa_user_sgpr_kernarg_preload_offset 0
		.amdhsa_user_sgpr_private_segment_size 0
		.amdhsa_uses_dynamic_stack 0
		.amdhsa_enable_private_segment 1
		.amdhsa_system_sgpr_workgroup_id_x 1
		.amdhsa_system_sgpr_workgroup_id_y 1
		.amdhsa_system_sgpr_workgroup_id_z 1
		.amdhsa_system_sgpr_workgroup_info 0
		.amdhsa_system_vgpr_workitem_id 1
		.amdhsa_next_free_vgpr 59
		.amdhsa_next_free_sgpr 26
		.amdhsa_accum_offset 60
		.amdhsa_reserve_vcc 1
		.amdhsa_float_round_mode_32 0
		.amdhsa_float_round_mode_16_64 0
		.amdhsa_float_denorm_mode_32 3
		.amdhsa_float_denorm_mode_16_64 3
		.amdhsa_dx10_clamp 1
		.amdhsa_ieee_mode 1
		.amdhsa_fp16_overflow 0
		.amdhsa_tg_split 0
		.amdhsa_exception_fp_ieee_invalid_op 0
		.amdhsa_exception_fp_denorm_src 0
		.amdhsa_exception_fp_ieee_div_zero 0
		.amdhsa_exception_fp_ieee_overflow 0
		.amdhsa_exception_fp_ieee_underflow 0
		.amdhsa_exception_fp_ieee_inexact 0
		.amdhsa_exception_int_div_zero 0
	.end_amdhsa_kernel
	.section	.text._ZL13mul_mat_vec_qIL9ggml_type41ELi5ELb0ELb0EEvPKvS2_PKi31ggml_cuda_mm_fusion_args_devicePfj15HIP_vector_typeIjLj3EEjjjS8_jjjS8_jjjj,"axG",@progbits,_ZL13mul_mat_vec_qIL9ggml_type41ELi5ELb0ELb0EEvPKvS2_PKi31ggml_cuda_mm_fusion_args_devicePfj15HIP_vector_typeIjLj3EEjjjS8_jjjS8_jjjj,comdat
.Lfunc_end8:
	.size	_ZL13mul_mat_vec_qIL9ggml_type41ELi5ELb0ELb0EEvPKvS2_PKi31ggml_cuda_mm_fusion_args_devicePfj15HIP_vector_typeIjLj3EEjjjS8_jjjS8_jjjj, .Lfunc_end8-_ZL13mul_mat_vec_qIL9ggml_type41ELi5ELb0ELb0EEvPKvS2_PKi31ggml_cuda_mm_fusion_args_devicePfj15HIP_vector_typeIjLj3EEjjjS8_jjjS8_jjjj
                                        ; -- End function
	.section	.AMDGPU.csdata,"",@progbits
; Kernel info:
; codeLenInByte = 3904
; NumSgprs: 32
; NumVgprs: 59
; NumAgprs: 0
; TotalNumVgprs: 59
; ScratchSize: 48
; MemoryBound: 0
; FloatMode: 240
; IeeeMode: 1
; LDSByteSize: 0 bytes/workgroup (compile time only)
; SGPRBlocks: 3
; VGPRBlocks: 7
; NumSGPRsForWavesPerEU: 32
; NumVGPRsForWavesPerEU: 59
; AccumOffset: 60
; Occupancy: 8
; WaveLimiterHint : 0
; COMPUTE_PGM_RSRC2:SCRATCH_EN: 1
; COMPUTE_PGM_RSRC2:USER_SGPR: 2
; COMPUTE_PGM_RSRC2:TRAP_HANDLER: 0
; COMPUTE_PGM_RSRC2:TGID_X_EN: 1
; COMPUTE_PGM_RSRC2:TGID_Y_EN: 1
; COMPUTE_PGM_RSRC2:TGID_Z_EN: 1
; COMPUTE_PGM_RSRC2:TIDIG_COMP_CNT: 1
; COMPUTE_PGM_RSRC3_GFX90A:ACCUM_OFFSET: 14
; COMPUTE_PGM_RSRC3_GFX90A:TG_SPLIT: 0
	.section	.text._ZL13mul_mat_vec_qIL9ggml_type41ELi6ELb0ELb0EEvPKvS2_PKi31ggml_cuda_mm_fusion_args_devicePfj15HIP_vector_typeIjLj3EEjjjS8_jjjS8_jjjj,"axG",@progbits,_ZL13mul_mat_vec_qIL9ggml_type41ELi6ELb0ELb0EEvPKvS2_PKi31ggml_cuda_mm_fusion_args_devicePfj15HIP_vector_typeIjLj3EEjjjS8_jjjS8_jjjj,comdat
	.globl	_ZL13mul_mat_vec_qIL9ggml_type41ELi6ELb0ELb0EEvPKvS2_PKi31ggml_cuda_mm_fusion_args_devicePfj15HIP_vector_typeIjLj3EEjjjS8_jjjS8_jjjj ; -- Begin function _ZL13mul_mat_vec_qIL9ggml_type41ELi6ELb0ELb0EEvPKvS2_PKi31ggml_cuda_mm_fusion_args_devicePfj15HIP_vector_typeIjLj3EEjjjS8_jjjS8_jjjj
	.p2align	8
	.type	_ZL13mul_mat_vec_qIL9ggml_type41ELi6ELb0ELb0EEvPKvS2_PKi31ggml_cuda_mm_fusion_args_devicePfj15HIP_vector_typeIjLj3EEjjjS8_jjjS8_jjjj,@function
_ZL13mul_mat_vec_qIL9ggml_type41ELi6ELb0ELb0EEvPKvS2_PKi31ggml_cuda_mm_fusion_args_devicePfj15HIP_vector_typeIjLj3EEjjjS8_jjjS8_jjjj: ; @_ZL13mul_mat_vec_qIL9ggml_type41ELi6ELb0ELb0EEvPKvS2_PKi31ggml_cuda_mm_fusion_args_devicePfj15HIP_vector_typeIjLj3EEjjjS8_jjjS8_jjjj
; %bb.0:
	v_bfe_u32 v21, v0, 10, 10
	v_and_b32_e32 v20, 0x3ff, v0
	s_mov_b32 s20, 0
	s_load_dword s5, s[0:1], 0x40
	s_load_dwordx4 s[8:11], s[0:1], 0x50
	s_load_dword s25, s[0:1], 0x60
	s_load_dwordx4 s[12:15], s[0:1], 0x68
	;; [unrolled: 2-line block ×3, first 2 shown]
	v_lshl_or_b32 v4, v21, 6, v20
	s_mov_b32 s21, s20
	s_waitcnt lgkmcnt(0)
	s_lshr_b32 s5, s5, 7
	s_mov_b32 s22, s20
	s_mov_b32 s23, s20
	v_mov_b64_e32 v[0:1], s[20:21]
	v_lshrrev_b32_e32 v30, 2, v4
	s_lshl_b32 s2, s2, 1
	v_mov_b64_e32 v[2:3], s[22:23]
	v_cmp_gt_u32_e32 vcc, s5, v30
	scratch_store_dwordx4 off, v[0:3], off offset:32
	scratch_store_dwordx4 off, v[0:3], off offset:16
	scratch_store_dwordx4 off, v[0:3], off
	s_and_saveexec_b64 s[6:7], vcc
	s_cbranch_execz .LBB9_4
; %bb.1:
	s_mul_hi_u32 s11, s11, s3
	s_load_dwordx4 s[20:23], s[0:1], 0x0
	s_add_i32 s11, s3, s11
	s_lshr_b32 s11, s11, s25
	s_mul_i32 s19, s11, s12
	s_mul_hi_u32 s11, s15, s4
	s_add_i32 s11, s4, s11
	s_mul_i32 s26, s4, s17
	s_lshr_b32 s11, s11, s24
	s_mul_i32 s12, s26, 36
	s_mul_i32 s24, s11, s16
	s_mul_hi_u32 s11, s26, 36
	s_waitcnt lgkmcnt(0)
	s_add_u32 s15, s22, s12
	s_mul_i32 s12, s3, s13
	s_addc_u32 s11, s23, s11
	s_mul_hi_u32 s13, s12, 36
	s_mul_i32 s12, s12, 36
	s_add_u32 s16, s15, s12
	s_addc_u32 s17, s11, s13
	v_and_b32_e32 v2, 3, v20
	v_mad_u64_u32 v[24:25], s[16:17], v2, 36, s[16:17]
	s_mul_i32 s16, s2, s8
	s_add_i32 s17, s24, s19
	s_add_i32 s19, s17, s16
	;; [unrolled: 1-line block ×3, first 2 shown]
	v_lshl_add_u32 v0, v21, 6, v20
	s_mul_i32 s8, s8, s16
	v_lshrrev_b32_e32 v3, 2, v0
	s_movk_i32 s16, 0x90
	v_mov_b64_e32 v[0:1], s[12:13]
	v_mad_u64_u32 v[0:1], s[12:13], v3, s16, v[0:1]
	v_mad_u64_u32 v[0:1], s[12:13], s26, 36, v[0:1]
	;; [unrolled: 1-line block ×3, first 2 shown]
	v_mov_b32_e32 v23, 0
	v_lshl_add_u64 v[0:1], v[0:1], 0, s[22:23]
	v_lshlrev_b32_e32 v22, 2, v2
	s_lshl_b32 s11, s9, 1
	v_lshlrev_b32_e32 v31, 2, v30
	s_lshl_b32 s15, s9, 2
	s_add_i32 s8, s17, s8
	s_mul_i32 s24, s9, 5
	s_mul_i32 s25, s9, 3
	v_lshl_add_u64 v[26:27], v[0:1], 0, 16
	s_mov_b64 s[12:13], 0
	v_mov_b32_e32 v32, 0xff
	v_mov_b32_e32 v33, 0x100
	;; [unrolled: 1-line block ×7, first 2 shown]
	s_mov_b64 s[16:17], 0x900
	v_mov_b32_e32 v39, -1
	v_mov_b32_e32 v8, v23
	v_mov_b32_e32 v9, v23
	;; [unrolled: 1-line block ×12, first 2 shown]
.LBB9_2:                                ; =>This Inner Loop Header: Depth=1
	v_add_u32_e32 v28, s19, v30
	v_mad_i64_i32 v[28:29], s[22:23], v28, 18, s[20:21]
	global_load_dword v56, v[26:27], off offset:16
	global_load_dwordx4 v[12:15], v[26:27], off
	global_load_dwordx4 v[16:19], v[26:27], off offset:-16
	global_load_ushort v57, v[28:29], off
	v_lshl_add_u64 v[28:29], v[28:29], 0, v[22:23]
	global_load_dword v28, v[28:29], off offset:2
	v_mov_b32_e32 v58, 0
	v_lshl_add_u64 v[26:27], v[26:27], 0, s[16:17]
	s_waitcnt vmcnt(2)
	v_cvt_f32_f16_e32 v16, v16
	s_waitcnt vmcnt(0)
	v_and_b32_e32 v40, 1, v28
	v_cmp_eq_u32_e32 vcc, 0, v40
	v_and_b32_e32 v41, 2, v28
	v_and_b32_e32 v42, 4, v28
	v_cndmask_b32_e32 v40, 1, v32, vcc
	v_cmp_eq_u32_e32 vcc, 0, v41
	v_and_b32_e32 v44, 8, v28
	v_lshrrev_b32_e32 v43, 8, v28
	v_cndmask_b32_e32 v41, v33, v34, vcc
	v_cmp_eq_u32_e32 vcc, 0, v42
	v_or_b32_e32 v40, v40, v41
	v_and_b32_e32 v41, 16, v28
	v_cndmask_b32_e32 v42, v35, v36, vcc
	v_cmp_eq_u32_e32 vcc, 0, v44
	v_and_b32_e32 v46, 8, v43
	v_lshrrev_b32_e32 v29, 16, v28
	v_cndmask_b32_e32 v44, v37, v38, vcc
	v_or3_b32 v40, v40, v42, v44
	v_cmp_eq_u32_e32 vcc, 0, v41
	v_and_b32_e32 v42, 32, v28
	v_and_b32_e32 v44, 64, v28
	v_cndmask_b32_e32 v41, 1, v32, vcc
	v_cmp_eq_u32_e32 vcc, 0, v42
	v_and_b32_e32 v48, 8, v29
	v_lshrrev_b32_e32 v47, 24, v28
	v_cndmask_b32_e32 v42, v33, v34, vcc
	v_cmp_eq_u32_e32 vcc, 0, v44
	v_dot4c_i32_i8_e32 v58, v40, v17
	s_nop 0
	v_cndmask_b32_e32 v44, v35, v36, vcc
	v_cmp_gt_i16_sdwa vcc, sext(v28), v39 src0_sel:BYTE_0 src1_sel:DWORD
	s_nop 1
	v_cndmask_b32_e32 v45, v37, v38, vcc
	v_or_b32_e32 v42, v42, v45
	v_or3_b32 v41, v42, v41, v44
	v_bfe_u32 v42, v28, 8, 1
	v_cmp_eq_u32_e32 vcc, 0, v42
	v_and_b32_e32 v44, 2, v43
	v_and_b32_e32 v45, 4, v43
	v_cndmask_b32_e32 v42, 1, v32, vcc
	v_cmp_eq_u32_e32 vcc, 0, v44
	v_dot4c_i32_i8_e32 v58, v41, v18
	s_nop 0
	v_cndmask_b32_e32 v44, v33, v34, vcc
	v_cmp_eq_u32_e32 vcc, 0, v45
	v_or_b32_e32 v42, v42, v44
	v_and_b32_e32 v44, 16, v43
	v_cndmask_b32_e32 v45, v35, v36, vcc
	v_cmp_eq_u32_e32 vcc, 0, v46
	s_nop 1
	v_cndmask_b32_e32 v46, v37, v38, vcc
	v_or3_b32 v42, v42, v45, v46
	v_cmp_eq_u32_e32 vcc, 0, v44
	v_and_b32_e32 v45, 32, v43
	v_and_b32_e32 v46, 64, v43
	v_cndmask_b32_e32 v44, 1, v32, vcc
	v_cmp_eq_u32_e32 vcc, 0, v45
	v_dot4c_i32_i8_e32 v58, v42, v19
	s_nop 0
	v_cndmask_b32_e32 v45, v33, v34, vcc
	v_cmp_eq_u32_e32 vcc, 0, v46
	s_nop 1
	v_cndmask_b32_e32 v46, v35, v36, vcc
	v_cmp_gt_i16_sdwa vcc, sext(v43), v39 src0_sel:BYTE_0 src1_sel:DWORD
	s_nop 1
	v_cndmask_b32_e32 v43, v37, v38, vcc
	v_or_b32_e32 v43, v45, v43
	v_or3_b32 v43, v43, v44, v46
	v_bfe_u32 v44, v28, 16, 1
	v_cmp_eq_u32_e32 vcc, 0, v44
	v_and_b32_e32 v45, 2, v29
	v_and_b32_e32 v46, 4, v29
	v_cndmask_b32_e32 v44, 1, v32, vcc
	v_cmp_eq_u32_e32 vcc, 0, v45
	v_bfe_u32 v28, v28, 24, 1
	v_dot4c_i32_i8_e32 v58, v43, v12
	v_cndmask_b32_e32 v45, v33, v34, vcc
	v_cmp_eq_u32_e32 vcc, 0, v46
	v_or_b32_e32 v44, v44, v45
	v_and_b32_e32 v45, 16, v29
	v_cndmask_b32_e32 v46, v35, v36, vcc
	v_cmp_eq_u32_e32 vcc, 0, v48
	s_nop 1
	v_cndmask_b32_e32 v48, v37, v38, vcc
	v_or3_b32 v44, v44, v46, v48
	v_cmp_eq_u32_e32 vcc, 0, v45
	v_and_b32_e32 v46, 32, v29
	v_and_b32_e32 v48, 64, v29
	v_cndmask_b32_e32 v45, 1, v32, vcc
	v_cmp_eq_u32_e32 vcc, 0, v46
	v_dot4c_i32_i8_e32 v58, v44, v13
	s_nop 0
	v_cndmask_b32_e32 v46, v33, v34, vcc
	v_cmp_eq_u32_e32 vcc, 0, v48
	s_nop 1
	v_cndmask_b32_e32 v48, v35, v36, vcc
	v_cmp_gt_i16_sdwa vcc, sext(v29), v39 src0_sel:BYTE_0 src1_sel:DWORD
	s_nop 1
	v_cndmask_b32_e32 v29, v37, v38, vcc
	v_or_b32_e32 v29, v46, v29
	v_or3_b32 v45, v29, v45, v48
	v_cmp_eq_u32_e32 vcc, 0, v28
	v_and_b32_e32 v29, 2, v47
	v_and_b32_e32 v46, 4, v47
	v_cndmask_b32_e32 v28, 1, v32, vcc
	v_cmp_eq_u32_e32 vcc, 0, v29
	v_and_b32_e32 v48, 8, v47
	v_dot4c_i32_i8_e32 v58, v45, v14
	v_cndmask_b32_e32 v29, v33, v34, vcc
	v_cmp_eq_u32_e32 vcc, 0, v46
	v_or_b32_e32 v28, v28, v29
	v_and_b32_e32 v29, 32, v47
	v_cndmask_b32_e32 v46, v35, v36, vcc
	v_cmp_eq_u32_e32 vcc, 0, v48
	s_nop 1
	v_cndmask_b32_e32 v48, v37, v38, vcc
	v_or3_b32 v46, v28, v46, v48
	v_and_b32_e32 v28, 16, v47
	v_cmp_eq_u32_e32 vcc, 0, v28
	v_and_b32_e32 v48, 64, v47
	v_dot4c_i32_i8_e32 v58, v46, v15
	v_cndmask_b32_e32 v28, 1, v32, vcc
	v_cmp_eq_u32_e32 vcc, 0, v29
	s_nop 1
	v_cndmask_b32_e32 v29, v33, v34, vcc
	v_cmp_eq_u32_e32 vcc, 0, v48
	s_nop 1
	v_cndmask_b32_e32 v48, v35, v36, vcc
	v_cmp_gt_i16_sdwa vcc, sext(v47), v39 src0_sel:BYTE_0 src1_sel:DWORD
	s_nop 1
	v_cndmask_b32_e32 v47, v37, v38, vcc
	v_or_b32_e32 v29, v29, v47
	v_or3_b32 v47, v29, v28, v48
	v_add_u32_e32 v28, s8, v30
	v_mad_i64_i32 v[28:29], s[22:23], v28, 18, s[20:21]
	global_load_ushort v59, v[28:29], off
	v_lshl_add_u64 v[28:29], v[28:29], 0, v[22:23]
	global_load_dword v28, v[28:29], off offset:2
	v_dot4c_i32_i8_e32 v58, v47, v56
	v_add_u32_e32 v30, 16, v30
	s_waitcnt vmcnt(0)
	v_and_b32_e32 v48, 1, v28
	v_cmp_eq_u32_e32 vcc, 0, v48
	v_and_b32_e32 v49, 2, v28
	v_and_b32_e32 v50, 4, v28
	v_cndmask_b32_e32 v48, 1, v32, vcc
	v_cmp_eq_u32_e32 vcc, 0, v49
	v_and_b32_e32 v52, 8, v28
	v_lshrrev_b32_e32 v51, 8, v28
	v_cndmask_b32_e32 v49, v33, v34, vcc
	v_cmp_eq_u32_e32 vcc, 0, v50
	v_or_b32_e32 v48, v48, v49
	v_and_b32_e32 v49, 16, v28
	v_cndmask_b32_e32 v50, v35, v36, vcc
	v_cmp_eq_u32_e32 vcc, 0, v52
	v_and_b32_e32 v54, 8, v51
	v_lshrrev_b32_e32 v29, 16, v28
	v_cndmask_b32_e32 v52, v37, v38, vcc
	v_or3_b32 v48, v48, v50, v52
	v_cmp_eq_u32_e32 vcc, 0, v49
	v_and_b32_e32 v50, 32, v28
	v_and_b32_e32 v52, 64, v28
	v_cndmask_b32_e32 v49, 1, v32, vcc
	v_cmp_eq_u32_e32 vcc, 0, v50
	v_and_b32_e32 v60, 8, v29
	v_lshrrev_b32_e32 v55, 24, v28
	v_cndmask_b32_e32 v50, v33, v34, vcc
	v_cmp_eq_u32_e32 vcc, 0, v52
	s_nop 1
	v_cndmask_b32_e32 v52, v35, v36, vcc
	v_cmp_gt_i16_sdwa vcc, sext(v28), v39 src0_sel:BYTE_0 src1_sel:DWORD
	s_nop 1
	v_cndmask_b32_e32 v53, v37, v38, vcc
	v_or_b32_e32 v50, v50, v53
	v_or3_b32 v49, v50, v49, v52
	v_bfe_u32 v50, v28, 8, 1
	v_cmp_eq_u32_e32 vcc, 0, v50
	v_and_b32_e32 v52, 2, v51
	v_and_b32_e32 v53, 4, v51
	v_cndmask_b32_e32 v50, 1, v32, vcc
	v_cmp_eq_u32_e32 vcc, 0, v52
	s_nop 1
	v_cndmask_b32_e32 v52, v33, v34, vcc
	v_cmp_eq_u32_e32 vcc, 0, v53
	v_or_b32_e32 v50, v50, v52
	v_and_b32_e32 v52, 16, v51
	v_cndmask_b32_e32 v53, v35, v36, vcc
	v_cmp_eq_u32_e32 vcc, 0, v54
	s_nop 1
	v_cndmask_b32_e32 v54, v37, v38, vcc
	v_or3_b32 v50, v50, v53, v54
	v_cmp_eq_u32_e32 vcc, 0, v52
	v_and_b32_e32 v53, 32, v51
	v_and_b32_e32 v54, 64, v51
	v_cndmask_b32_e32 v52, 1, v32, vcc
	v_cmp_eq_u32_e32 vcc, 0, v53
	s_nop 1
	v_cndmask_b32_e32 v53, v33, v34, vcc
	v_cmp_eq_u32_e32 vcc, 0, v54
	s_nop 1
	v_cndmask_b32_e32 v54, v35, v36, vcc
	v_cmp_gt_i16_sdwa vcc, sext(v51), v39 src0_sel:BYTE_0 src1_sel:DWORD
	s_nop 1
	v_cndmask_b32_e32 v51, v37, v38, vcc
	v_or_b32_e32 v51, v53, v51
	v_or3_b32 v51, v51, v52, v54
	v_bfe_u32 v52, v28, 16, 1
	v_cmp_eq_u32_e32 vcc, 0, v52
	v_and_b32_e32 v53, 2, v29
	v_and_b32_e32 v54, 4, v29
	v_cndmask_b32_e32 v52, 1, v32, vcc
	v_cmp_eq_u32_e32 vcc, 0, v53
	v_bfe_u32 v28, v28, 24, 1
	s_nop 0
	v_cndmask_b32_e32 v53, v33, v34, vcc
	v_cmp_eq_u32_e32 vcc, 0, v54
	v_or_b32_e32 v52, v52, v53
	v_and_b32_e32 v53, 16, v29
	v_cndmask_b32_e32 v54, v35, v36, vcc
	v_cmp_eq_u32_e32 vcc, 0, v60
	s_nop 1
	v_cndmask_b32_e32 v60, v37, v38, vcc
	v_or3_b32 v52, v52, v54, v60
	v_cmp_eq_u32_e32 vcc, 0, v53
	v_and_b32_e32 v54, 32, v29
	v_and_b32_e32 v60, 64, v29
	v_cndmask_b32_e32 v53, 1, v32, vcc
	v_cmp_eq_u32_e32 vcc, 0, v54
	s_nop 1
	v_cndmask_b32_e32 v54, v33, v34, vcc
	v_cmp_eq_u32_e32 vcc, 0, v60
	s_nop 1
	v_cndmask_b32_e32 v60, v35, v36, vcc
	v_cmp_gt_i16_sdwa vcc, sext(v29), v39 src0_sel:BYTE_0 src1_sel:DWORD
	s_nop 1
	v_cndmask_b32_e32 v29, v37, v38, vcc
	v_or_b32_e32 v29, v54, v29
	v_or3_b32 v53, v29, v53, v60
	v_cmp_eq_u32_e32 vcc, 0, v28
	v_and_b32_e32 v29, 2, v55
	v_and_b32_e32 v54, 4, v55
	v_cndmask_b32_e32 v28, 1, v32, vcc
	v_cmp_eq_u32_e32 vcc, 0, v29
	v_and_b32_e32 v60, 8, v55
	s_nop 0
	v_cndmask_b32_e32 v29, v33, v34, vcc
	v_cmp_eq_u32_e32 vcc, 0, v54
	v_or_b32_e32 v28, v28, v29
	v_and_b32_e32 v29, 32, v55
	v_cndmask_b32_e32 v54, v35, v36, vcc
	v_cmp_eq_u32_e32 vcc, 0, v60
	s_nop 1
	v_cndmask_b32_e32 v60, v37, v38, vcc
	v_or3_b32 v54, v28, v54, v60
	v_and_b32_e32 v28, 16, v55
	v_cmp_eq_u32_e32 vcc, 0, v28
	v_and_b32_e32 v60, 64, v55
	s_nop 0
	v_cndmask_b32_e32 v28, 1, v32, vcc
	v_cmp_eq_u32_e32 vcc, 0, v29
	s_nop 1
	v_cndmask_b32_e32 v29, v33, v34, vcc
	v_cmp_eq_u32_e32 vcc, 0, v60
	s_nop 1
	v_cndmask_b32_e32 v60, v35, v36, vcc
	v_cmp_gt_i16_sdwa vcc, sext(v55), v39 src0_sel:BYTE_0 src1_sel:DWORD
	s_nop 1
	v_cndmask_b32_e32 v55, v37, v38, vcc
	v_or_b32_e32 v29, v29, v55
	v_or3_b32 v55, v29, v28, v60
	v_mov_b32_e32 v60, 0
	v_dot4c_i32_i8_e32 v60, v48, v17
	v_dot4c_i32_i8_e32 v60, v49, v18
	;; [unrolled: 1-line block ×8, first 2 shown]
	v_cvt_f32_f16_e32 v29, v59
	v_cvt_f32_f16_e32 v28, v57
	v_cvt_f32_i32_e32 v14, v58
	v_cvt_f32_i32_e32 v15, v60
	v_cmp_le_u32_e32 vcc, s5, v30
	v_pk_mul_f32 v[12:13], v[16:17], v[28:29] op_sel_hi:[0,1]
	v_pk_fma_f32 v[8:9], v[12:13], v[14:15], v[8:9]
	v_add_u32_e32 v12, s9, v31
	v_mad_u64_u32 v[56:57], s[22:23], v12, 36, v[24:25]
	global_load_dword v58, v[56:57], off offset:32
	global_load_dwordx4 v[12:15], v[56:57], off offset:16
	global_load_dwordx4 v[16:19], v[56:57], off
	v_mov_b32_e32 v56, 0
	v_mov_b32_e32 v57, 0
	s_add_i32 s9, s9, 64
	s_waitcnt vmcnt(0)
	v_dot4c_i32_i8_e32 v56, v40, v17
	v_dot4c_i32_i8_e32 v57, v48, v17
	v_dot4c_i32_i8_e32 v56, v41, v18
	v_dot4c_i32_i8_e32 v57, v49, v18
	v_dot4c_i32_i8_e32 v56, v42, v19
	v_dot4c_i32_i8_e32 v57, v50, v19
	v_dot4c_i32_i8_e32 v56, v43, v12
	v_dot4c_i32_i8_e32 v57, v51, v12
	v_dot4c_i32_i8_e32 v56, v44, v13
	v_dot4c_i32_i8_e32 v57, v52, v13
	v_dot4c_i32_i8_e32 v56, v45, v14
	v_dot4c_i32_i8_e32 v57, v53, v14
	v_dot4c_i32_i8_e32 v56, v46, v15
	v_dot4c_i32_i8_e32 v57, v54, v15
	v_cvt_f32_f16_e32 v16, v16
	v_dot4c_i32_i8_e32 v56, v47, v58
	v_dot4c_i32_i8_e32 v57, v55, v58
	v_pk_mul_f32 v[12:13], v[16:17], v[28:29] op_sel_hi:[0,1]
	s_nop 0
	v_cvt_f32_i32_e32 v14, v56
	v_cvt_f32_i32_e32 v15, v57
	v_pk_fma_f32 v[10:11], v[12:13], v[14:15], v[10:11]
	v_add_u32_e32 v12, s11, v31
	v_mad_u64_u32 v[56:57], s[22:23], v12, 36, v[24:25]
	global_load_dword v58, v[56:57], off offset:32
	global_load_dwordx4 v[12:15], v[56:57], off offset:16
	global_load_dwordx4 v[16:19], v[56:57], off
	v_mov_b32_e32 v56, 0
	v_mov_b32_e32 v57, 0
	s_add_i32 s11, s11, 64
	s_waitcnt vmcnt(0)
	v_dot4c_i32_i8_e32 v56, v40, v17
	v_dot4c_i32_i8_e32 v57, v48, v17
	v_dot4c_i32_i8_e32 v56, v41, v18
	v_dot4c_i32_i8_e32 v57, v49, v18
	v_dot4c_i32_i8_e32 v56, v42, v19
	v_dot4c_i32_i8_e32 v57, v50, v19
	v_dot4c_i32_i8_e32 v56, v43, v12
	v_dot4c_i32_i8_e32 v57, v51, v12
	v_dot4c_i32_i8_e32 v56, v44, v13
	v_dot4c_i32_i8_e32 v57, v52, v13
	v_dot4c_i32_i8_e32 v56, v45, v14
	v_dot4c_i32_i8_e32 v57, v53, v14
	v_dot4c_i32_i8_e32 v56, v46, v15
	v_dot4c_i32_i8_e32 v57, v54, v15
	v_cvt_f32_f16_e32 v16, v16
	v_dot4c_i32_i8_e32 v56, v47, v58
	v_dot4c_i32_i8_e32 v57, v55, v58
	v_pk_mul_f32 v[12:13], v[16:17], v[28:29] op_sel_hi:[0,1]
	s_nop 0
	v_cvt_f32_i32_e32 v14, v56
	v_cvt_f32_i32_e32 v15, v57
	;; [unrolled: 31-line block ×4, first 2 shown]
	v_pk_fma_f32 v[0:1], v[12:13], v[14:15], v[0:1]
	v_add_u32_e32 v12, s24, v31
	v_mad_u64_u32 v[56:57], s[22:23], v12, 36, v[24:25]
	global_load_dword v58, v[56:57], off offset:32
	global_load_dwordx4 v[12:15], v[56:57], off offset:16
	global_load_dwordx4 v[16:19], v[56:57], off
	v_mov_b32_e32 v56, 0
	s_add_i32 s24, s24, 64
	s_or_b64 s[12:13], vcc, s[12:13]
	s_waitcnt vmcnt(0)
	v_dot4c_i32_i8_e32 v56, v40, v17
	v_mov_b32_e32 v40, 0
	v_dot4c_i32_i8_e32 v40, v48, v17
	v_dot4c_i32_i8_e32 v56, v41, v18
	;; [unrolled: 1-line block ×13, first 2 shown]
	v_cvt_f32_f16_e32 v16, v16
	v_dot4c_i32_i8_e32 v56, v47, v58
	v_dot4c_i32_i8_e32 v40, v55, v58
	v_pk_mul_f32 v[12:13], v[16:17], v[28:29] op_sel_hi:[0,1]
	s_nop 0
	v_cvt_f32_i32_e32 v14, v56
	v_cvt_f32_i32_e32 v15, v40
	v_pk_fma_f32 v[2:3], v[12:13], v[14:15], v[2:3]
	s_andn2_b64 exec, exec, s[12:13]
	s_cbranch_execnz .LBB9_2
; %bb.3:
	s_or_b64 exec, exec, s[12:13]
	scratch_store_dwordx4 off, v[8:11], off
	scratch_store_dwordx4 off, v[4:7], off offset:16
	scratch_store_dwordx4 off, v[0:3], off offset:32
.LBB9_4:
	s_or_b64 exec, exec, s[6:7]
	s_mov_b32 s5, 0
	v_cmp_eq_u32_e32 vcc, 0, v21
	s_waitcnt lgkmcnt(0)
	; wave barrier
	s_and_saveexec_b64 s[6:7], vcc
	s_cbranch_execz .LBB9_17
; %bb.5:
	scratch_load_dwordx2 v[2:3], off, off
	v_mbcnt_lo_u32_b32 v0, -1, 0
	v_mbcnt_hi_u32_b32 v12, -1, v0
	s_load_dwordx2 s[6:7], s[0:1], 0x38
	s_mul_i32 s0, s3, s14
	v_or_b32_e32 v1, s2, v20
	v_and_b32_e32 v0, 64, v12
	s_mul_i32 s4, s4, s18
	s_add_i32 s2, s0, s2
	v_cmp_gt_u32_e64 s[0:1], s10, v1
	v_xor_b32_e32 v1, 32, v12
	v_add_u32_e32 v13, 64, v0
	s_add_i32 s4, s2, s4
	v_cmp_lt_i32_e64 s[2:3], v1, v13
	v_cmp_gt_u32_e32 vcc, 2, v20
	s_nop 0
	v_cndmask_b32_e64 v0, v12, v1, s[2:3]
	v_lshlrev_b32_e32 v0, 2, v0
	v_xor_b32_e32 v1, 16, v12
	v_cmp_lt_i32_e64 s[2:3], v1, v13
	s_waitcnt vmcnt(0)
	ds_bpermute_b32 v4, v0, v2
	ds_bpermute_b32 v5, v0, v3
	v_cndmask_b32_e64 v1, v12, v1, s[2:3]
	v_lshlrev_b32_e32 v1, 2, v1
	s_waitcnt lgkmcnt(0)
	v_pk_add_f32 v[4:5], v[2:3], v[4:5]
	ds_bpermute_b32 v6, v1, v4
	ds_bpermute_b32 v7, v1, v5
	v_xor_b32_e32 v2, 8, v12
	v_cmp_lt_i32_e64 s[2:3], v2, v13
	v_xor_b32_e32 v3, 4, v12
	s_waitcnt lgkmcnt(0)
	v_pk_add_f32 v[4:5], v[4:5], v[6:7]
	v_cndmask_b32_e64 v2, v12, v2, s[2:3]
	v_lshlrev_b32_e32 v2, 2, v2
	ds_bpermute_b32 v6, v2, v4
	ds_bpermute_b32 v7, v2, v5
	v_cmp_lt_i32_e64 s[2:3], v3, v13
	s_waitcnt lgkmcnt(0)
	v_pk_add_f32 v[6:7], v[4:5], v[6:7]
	v_cndmask_b32_e64 v3, v12, v3, s[2:3]
	v_lshlrev_b32_e32 v3, 2, v3
	ds_bpermute_b32 v8, v3, v6
	ds_bpermute_b32 v9, v3, v7
	v_xor_b32_e32 v4, 2, v12
	v_cmp_lt_i32_e64 s[2:3], v4, v13
	v_xor_b32_e32 v5, 1, v12
	s_waitcnt lgkmcnt(0)
	v_pk_add_f32 v[8:9], v[6:7], v[8:9]
	v_cndmask_b32_e64 v4, v12, v4, s[2:3]
	v_lshlrev_b32_e32 v4, 2, v4
	ds_bpermute_b32 v10, v4, v8
	ds_bpermute_b32 v11, v4, v9
	v_cmp_lt_i32_e64 s[2:3], v5, v13
	s_waitcnt lgkmcnt(0)
	v_pk_add_f32 v[8:9], v[8:9], v[10:11]
	v_cndmask_b32_e64 v5, v12, v5, s[2:3]
	v_lshlrev_b32_e32 v6, 2, v5
	ds_bpermute_b32 v10, v6, v8
	ds_bpermute_b32 v11, v6, v9
	s_lshl_b64 s[2:3], s[4:5], 2
	s_add_u32 s2, s6, s2
	s_addc_u32 s3, s7, s3
	s_and_b64 s[0:1], vcc, s[0:1]
	s_waitcnt lgkmcnt(0)
	v_pk_add_f32 v[8:9], v[8:9], v[10:11]
	v_lshlrev_b32_e32 v5, 2, v20
	scratch_store_dwordx2 off, v[8:9], off
	s_and_saveexec_b64 s[4:5], s[0:1]
	s_cbranch_execz .LBB9_7
; %bb.6:
	scratch_load_dword v7, v5, off
	s_waitcnt vmcnt(0)
	global_store_dword v5, v7, s[2:3]
.LBB9_7:
	s_or_b64 exec, exec, s[4:5]
	scratch_load_dwordx2 v[8:9], off, off offset:8
	s_waitcnt vmcnt(0)
	ds_bpermute_b32 v10, v0, v8
	ds_bpermute_b32 v11, v0, v9
	s_waitcnt lgkmcnt(0)
	v_pk_add_f32 v[8:9], v[8:9], v[10:11]
	ds_bpermute_b32 v10, v1, v8
	ds_bpermute_b32 v11, v1, v9
	s_waitcnt lgkmcnt(0)
	v_pk_add_f32 v[8:9], v[8:9], v[10:11]
	;; [unrolled: 4-line block ×6, first 2 shown]
	scratch_store_dwordx2 off, v[8:9], off offset:8
	s_and_saveexec_b64 s[4:5], s[0:1]
	s_cbranch_execz .LBB9_9
; %bb.8:
	scratch_load_dword v7, v5, off offset:8
	v_add_u32_e32 v8, s10, v20
	v_mov_b32_e32 v9, 0
	v_lshl_add_u64 v[8:9], v[8:9], 2, s[2:3]
	s_waitcnt vmcnt(0)
	global_store_dword v[8:9], v7, off
.LBB9_9:
	s_or_b64 exec, exec, s[4:5]
	scratch_load_dwordx2 v[8:9], off, off offset:16
	s_waitcnt vmcnt(0)
	ds_bpermute_b32 v10, v0, v8
	ds_bpermute_b32 v11, v0, v9
	s_waitcnt lgkmcnt(0)
	v_pk_add_f32 v[8:9], v[8:9], v[10:11]
	ds_bpermute_b32 v10, v1, v8
	ds_bpermute_b32 v11, v1, v9
	s_waitcnt lgkmcnt(0)
	v_pk_add_f32 v[8:9], v[8:9], v[10:11]
	;; [unrolled: 4-line block ×6, first 2 shown]
	scratch_store_dwordx2 off, v[8:9], off offset:16
	s_and_saveexec_b64 s[4:5], s[0:1]
	s_cbranch_execz .LBB9_11
; %bb.10:
	scratch_load_dword v7, v5, off offset:16
	v_lshl_or_b32 v8, s10, 1, v20
	v_mov_b32_e32 v9, 0
	v_lshl_add_u64 v[8:9], v[8:9], 2, s[2:3]
	s_waitcnt vmcnt(0)
	global_store_dword v[8:9], v7, off
.LBB9_11:
	s_or_b64 exec, exec, s[4:5]
	scratch_load_dwordx2 v[8:9], off, off offset:24
	s_waitcnt vmcnt(0)
	ds_bpermute_b32 v10, v0, v8
	ds_bpermute_b32 v11, v0, v9
	s_waitcnt lgkmcnt(0)
	v_pk_add_f32 v[8:9], v[8:9], v[10:11]
	ds_bpermute_b32 v10, v1, v8
	ds_bpermute_b32 v11, v1, v9
	s_waitcnt lgkmcnt(0)
	v_pk_add_f32 v[8:9], v[8:9], v[10:11]
	;; [unrolled: 4-line block ×6, first 2 shown]
	scratch_store_dwordx2 off, v[8:9], off offset:24
	s_and_saveexec_b64 s[4:5], s[0:1]
	s_cbranch_execz .LBB9_13
; %bb.12:
	scratch_load_dword v7, v5, off offset:24
	v_mad_u64_u32 v[8:9], s[6:7], s10, 3, v[20:21]
	v_mov_b32_e32 v9, 0
	v_lshl_add_u64 v[8:9], v[8:9], 2, s[2:3]
	s_waitcnt vmcnt(0)
	global_store_dword v[8:9], v7, off
.LBB9_13:
	s_or_b64 exec, exec, s[4:5]
	scratch_load_dwordx2 v[8:9], off, off offset:32
	s_waitcnt vmcnt(0)
	ds_bpermute_b32 v10, v0, v8
	ds_bpermute_b32 v11, v0, v9
	s_waitcnt lgkmcnt(0)
	v_pk_add_f32 v[8:9], v[8:9], v[10:11]
	ds_bpermute_b32 v10, v1, v8
	ds_bpermute_b32 v11, v1, v9
	s_waitcnt lgkmcnt(0)
	v_pk_add_f32 v[8:9], v[8:9], v[10:11]
	;; [unrolled: 4-line block ×6, first 2 shown]
	scratch_store_dwordx2 off, v[8:9], off offset:32
	s_and_saveexec_b64 s[4:5], s[0:1]
	s_cbranch_execz .LBB9_15
; %bb.14:
	scratch_load_dword v7, v5, off offset:32
	v_lshl_or_b32 v8, s10, 2, v20
	v_mov_b32_e32 v9, 0
	v_lshl_add_u64 v[8:9], v[8:9], 2, s[2:3]
	s_waitcnt vmcnt(0)
	global_store_dword v[8:9], v7, off
.LBB9_15:
	s_or_b64 exec, exec, s[4:5]
	scratch_load_dwordx2 v[8:9], off, off offset:40
	s_waitcnt vmcnt(0)
	ds_bpermute_b32 v10, v0, v8
	ds_bpermute_b32 v11, v0, v9
	s_waitcnt lgkmcnt(0)
	v_pk_add_f32 v[8:9], v[8:9], v[10:11]
	ds_bpermute_b32 v0, v1, v8
	ds_bpermute_b32 v1, v1, v9
	s_waitcnt lgkmcnt(0)
	v_pk_add_f32 v[0:1], v[8:9], v[0:1]
	;; [unrolled: 4-line block ×6, first 2 shown]
	scratch_store_dwordx2 off, v[0:1], off offset:40
	s_and_b64 exec, exec, s[0:1]
	s_cbranch_execz .LBB9_17
; %bb.16:
	scratch_load_dword v2, v5, off offset:40
	v_mad_u64_u32 v[0:1], s[0:1], s10, 5, v[20:21]
	v_mov_b32_e32 v1, 0
	v_lshl_add_u64 v[0:1], v[0:1], 2, s[2:3]
	s_waitcnt vmcnt(0)
	global_store_dword v[0:1], v2, off
.LBB9_17:
	s_endpgm
	.section	.rodata,"a",@progbits
	.p2align	6, 0x0
	.amdhsa_kernel _ZL13mul_mat_vec_qIL9ggml_type41ELi6ELb0ELb0EEvPKvS2_PKi31ggml_cuda_mm_fusion_args_devicePfj15HIP_vector_typeIjLj3EEjjjS8_jjjS8_jjjj
		.amdhsa_group_segment_fixed_size 0
		.amdhsa_private_segment_fixed_size 64
		.amdhsa_kernarg_size 144
		.amdhsa_user_sgpr_count 2
		.amdhsa_user_sgpr_dispatch_ptr 0
		.amdhsa_user_sgpr_queue_ptr 0
		.amdhsa_user_sgpr_kernarg_segment_ptr 1
		.amdhsa_user_sgpr_dispatch_id 0
		.amdhsa_user_sgpr_kernarg_preload_length 0
		.amdhsa_user_sgpr_kernarg_preload_offset 0
		.amdhsa_user_sgpr_private_segment_size 0
		.amdhsa_uses_dynamic_stack 0
		.amdhsa_enable_private_segment 1
		.amdhsa_system_sgpr_workgroup_id_x 1
		.amdhsa_system_sgpr_workgroup_id_y 1
		.amdhsa_system_sgpr_workgroup_id_z 1
		.amdhsa_system_sgpr_workgroup_info 0
		.amdhsa_system_vgpr_workitem_id 1
		.amdhsa_next_free_vgpr 61
		.amdhsa_next_free_sgpr 27
		.amdhsa_accum_offset 64
		.amdhsa_reserve_vcc 1
		.amdhsa_float_round_mode_32 0
		.amdhsa_float_round_mode_16_64 0
		.amdhsa_float_denorm_mode_32 3
		.amdhsa_float_denorm_mode_16_64 3
		.amdhsa_dx10_clamp 1
		.amdhsa_ieee_mode 1
		.amdhsa_fp16_overflow 0
		.amdhsa_tg_split 0
		.amdhsa_exception_fp_ieee_invalid_op 0
		.amdhsa_exception_fp_denorm_src 0
		.amdhsa_exception_fp_ieee_div_zero 0
		.amdhsa_exception_fp_ieee_overflow 0
		.amdhsa_exception_fp_ieee_underflow 0
		.amdhsa_exception_fp_ieee_inexact 0
		.amdhsa_exception_int_div_zero 0
	.end_amdhsa_kernel
	.section	.text._ZL13mul_mat_vec_qIL9ggml_type41ELi6ELb0ELb0EEvPKvS2_PKi31ggml_cuda_mm_fusion_args_devicePfj15HIP_vector_typeIjLj3EEjjjS8_jjjS8_jjjj,"axG",@progbits,_ZL13mul_mat_vec_qIL9ggml_type41ELi6ELb0ELb0EEvPKvS2_PKi31ggml_cuda_mm_fusion_args_devicePfj15HIP_vector_typeIjLj3EEjjjS8_jjjS8_jjjj,comdat
.Lfunc_end9:
	.size	_ZL13mul_mat_vec_qIL9ggml_type41ELi6ELb0ELb0EEvPKvS2_PKi31ggml_cuda_mm_fusion_args_devicePfj15HIP_vector_typeIjLj3EEjjjS8_jjjS8_jjjj, .Lfunc_end9-_ZL13mul_mat_vec_qIL9ggml_type41ELi6ELb0ELb0EEvPKvS2_PKi31ggml_cuda_mm_fusion_args_devicePfj15HIP_vector_typeIjLj3EEjjjS8_jjjS8_jjjj
                                        ; -- End function
	.section	.AMDGPU.csdata,"",@progbits
; Kernel info:
; codeLenInByte = 4300
; NumSgprs: 33
; NumVgprs: 61
; NumAgprs: 0
; TotalNumVgprs: 61
; ScratchSize: 64
; MemoryBound: 0
; FloatMode: 240
; IeeeMode: 1
; LDSByteSize: 0 bytes/workgroup (compile time only)
; SGPRBlocks: 4
; VGPRBlocks: 7
; NumSGPRsForWavesPerEU: 33
; NumVGPRsForWavesPerEU: 61
; AccumOffset: 64
; Occupancy: 8
; WaveLimiterHint : 0
; COMPUTE_PGM_RSRC2:SCRATCH_EN: 1
; COMPUTE_PGM_RSRC2:USER_SGPR: 2
; COMPUTE_PGM_RSRC2:TRAP_HANDLER: 0
; COMPUTE_PGM_RSRC2:TGID_X_EN: 1
; COMPUTE_PGM_RSRC2:TGID_Y_EN: 1
; COMPUTE_PGM_RSRC2:TGID_Z_EN: 1
; COMPUTE_PGM_RSRC2:TIDIG_COMP_CNT: 1
; COMPUTE_PGM_RSRC3_GFX90A:ACCUM_OFFSET: 15
; COMPUTE_PGM_RSRC3_GFX90A:TG_SPLIT: 0
	.section	.text._ZL13mul_mat_vec_qIL9ggml_type41ELi7ELb0ELb0EEvPKvS2_PKi31ggml_cuda_mm_fusion_args_devicePfj15HIP_vector_typeIjLj3EEjjjS8_jjjS8_jjjj,"axG",@progbits,_ZL13mul_mat_vec_qIL9ggml_type41ELi7ELb0ELb0EEvPKvS2_PKi31ggml_cuda_mm_fusion_args_devicePfj15HIP_vector_typeIjLj3EEjjjS8_jjjS8_jjjj,comdat
	.globl	_ZL13mul_mat_vec_qIL9ggml_type41ELi7ELb0ELb0EEvPKvS2_PKi31ggml_cuda_mm_fusion_args_devicePfj15HIP_vector_typeIjLj3EEjjjS8_jjjS8_jjjj ; -- Begin function _ZL13mul_mat_vec_qIL9ggml_type41ELi7ELb0ELb0EEvPKvS2_PKi31ggml_cuda_mm_fusion_args_devicePfj15HIP_vector_typeIjLj3EEjjjS8_jjjS8_jjjj
	.p2align	8
	.type	_ZL13mul_mat_vec_qIL9ggml_type41ELi7ELb0ELb0EEvPKvS2_PKi31ggml_cuda_mm_fusion_args_devicePfj15HIP_vector_typeIjLj3EEjjjS8_jjjS8_jjjj,@function
_ZL13mul_mat_vec_qIL9ggml_type41ELi7ELb0ELb0EEvPKvS2_PKi31ggml_cuda_mm_fusion_args_devicePfj15HIP_vector_typeIjLj3EEjjjS8_jjjS8_jjjj: ; @_ZL13mul_mat_vec_qIL9ggml_type41ELi7ELb0ELb0EEvPKvS2_PKi31ggml_cuda_mm_fusion_args_devicePfj15HIP_vector_typeIjLj3EEjjjS8_jjjS8_jjjj
; %bb.0:
	v_bfe_u32 v21, v0, 10, 10
	v_and_b32_e32 v20, 0x3ff, v0
	s_mov_b32 s20, 0
	s_load_dword s5, s[0:1], 0x40
	s_load_dwordx4 s[8:11], s[0:1], 0x50
	s_load_dword s25, s[0:1], 0x60
	s_load_dwordx4 s[12:15], s[0:1], 0x68
	;; [unrolled: 2-line block ×3, first 2 shown]
	v_lshl_or_b32 v4, v21, 6, v20
	s_mov_b32 s21, s20
	s_waitcnt lgkmcnt(0)
	s_lshr_b32 s5, s5, 7
	v_mov_b32_e32 v23, 0
	s_mov_b32 s22, s20
	s_mov_b32 s23, s20
	v_mov_b64_e32 v[0:1], s[20:21]
	v_lshrrev_b32_e32 v30, 2, v4
	s_lshl_b32 s2, s2, 1
	v_mov_b32_e32 v22, v23
	v_mov_b64_e32 v[2:3], s[22:23]
	v_cmp_gt_u32_e32 vcc, s5, v30
	scratch_store_dwordx2 off, v[22:23], off offset:48
	scratch_store_dwordx4 off, v[0:3], off offset:32
	scratch_store_dwordx4 off, v[0:3], off offset:16
	scratch_store_dwordx4 off, v[0:3], off
	s_and_saveexec_b64 s[6:7], vcc
	s_cbranch_execz .LBB10_4
; %bb.1:
	s_mul_hi_u32 s11, s11, s3
	s_load_dwordx4 s[20:23], s[0:1], 0x0
	s_add_i32 s11, s3, s11
	s_lshr_b32 s11, s11, s25
	s_mul_i32 s19, s11, s12
	s_mul_hi_u32 s11, s15, s4
	s_add_i32 s11, s4, s11
	s_mul_i32 s27, s4, s17
	s_lshr_b32 s11, s11, s24
	s_mul_i32 s12, s27, 36
	s_mul_i32 s24, s11, s16
	s_mul_hi_u32 s11, s27, 36
	s_waitcnt lgkmcnt(0)
	s_add_u32 s15, s22, s12
	s_mul_i32 s12, s3, s13
	s_addc_u32 s11, s23, s11
	s_mul_hi_u32 s13, s12, 36
	s_mul_i32 s12, s12, 36
	s_add_u32 s16, s15, s12
	s_addc_u32 s17, s11, s13
	v_and_b32_e32 v2, 3, v20
	v_mad_u64_u32 v[24:25], s[16:17], v2, 36, s[16:17]
	s_mul_i32 s16, s2, s8
	s_add_i32 s17, s24, s19
	s_add_i32 s19, s17, s16
	;; [unrolled: 1-line block ×3, first 2 shown]
	v_lshl_add_u32 v0, v21, 6, v20
	s_mul_i32 s8, s8, s16
	v_lshrrev_b32_e32 v3, 2, v0
	s_movk_i32 s16, 0x90
	v_mov_b64_e32 v[0:1], s[12:13]
	v_mad_u64_u32 v[0:1], s[12:13], v3, s16, v[0:1]
	v_mad_u64_u32 v[0:1], s[12:13], s27, 36, v[0:1]
	;; [unrolled: 1-line block ×3, first 2 shown]
	v_lshl_add_u64 v[0:1], v[0:1], 0, s[22:23]
	v_lshlrev_b32_e32 v22, 2, v2
	s_lshl_b32 s11, s9, 1
	v_lshlrev_b32_e32 v31, 2, v30
	s_lshl_b32 s15, s9, 2
	s_add_i32 s8, s17, s8
	s_mul_i32 s24, s9, 6
	s_mul_i32 s25, s9, 5
	s_mul_i32 s26, s9, 3
	v_lshl_add_u64 v[26:27], v[0:1], 0, 16
	s_mov_b64 s[12:13], 0
	v_mov_b32_e32 v32, 0xff
	v_mov_b32_e32 v33, 0x100
	;; [unrolled: 1-line block ×7, first 2 shown]
	s_mov_b64 s[16:17], 0x900
	v_mov_b32_e32 v39, -1
	v_mov_b32_e32 v8, v23
	v_mov_b32_e32 v9, v23
	;; [unrolled: 1-line block ×14, first 2 shown]
.LBB10_2:                               ; =>This Inner Loop Header: Depth=1
	v_add_u32_e32 v40, s19, v30
	v_mad_i64_i32 v[40:41], s[22:23], v40, 18, s[20:21]
	global_load_dword v54, v[26:27], off offset:16
	global_load_dwordx4 v[12:15], v[26:27], off
	global_load_dwordx4 v[16:19], v[26:27], off offset:-16
	global_load_ushort v55, v[40:41], off
	v_lshl_add_u64 v[40:41], v[40:41], 0, v[22:23]
	global_load_dword v46, v[40:41], off offset:2
	v_mov_b32_e32 v56, 0
	v_lshl_add_u64 v[26:27], v[26:27], 0, s[16:17]
	s_waitcnt vmcnt(2)
	v_cvt_f32_f16_e32 v16, v16
	s_waitcnt vmcnt(0)
	v_and_b32_e32 v40, 1, v46
	v_cmp_eq_u32_e32 vcc, 0, v40
	v_and_b32_e32 v41, 2, v46
	v_and_b32_e32 v42, 4, v46
	v_cndmask_b32_e32 v40, 1, v32, vcc
	v_cmp_eq_u32_e32 vcc, 0, v41
	v_and_b32_e32 v44, 8, v46
	v_lshrrev_b32_e32 v43, 8, v46
	v_cndmask_b32_e32 v41, v33, v34, vcc
	v_cmp_eq_u32_e32 vcc, 0, v42
	v_or_b32_e32 v40, v40, v41
	v_and_b32_e32 v41, 16, v46
	v_cndmask_b32_e32 v42, v35, v36, vcc
	v_cmp_eq_u32_e32 vcc, 0, v44
	v_and_b32_e32 v49, 8, v43
	v_lshrrev_b32_e32 v45, 16, v46
	v_cndmask_b32_e32 v44, v37, v38, vcc
	v_or3_b32 v40, v40, v42, v44
	v_cmp_eq_u32_e32 vcc, 0, v41
	v_and_b32_e32 v42, 32, v46
	v_and_b32_e32 v44, 64, v46
	v_cndmask_b32_e32 v41, 1, v32, vcc
	v_cmp_eq_u32_e32 vcc, 0, v42
	v_and_b32_e32 v50, 8, v45
	v_lshrrev_b32_e32 v47, 24, v46
	v_cndmask_b32_e32 v42, v33, v34, vcc
	v_cmp_eq_u32_e32 vcc, 0, v44
	v_dot4c_i32_i8_e32 v56, v40, v17
	s_nop 0
	v_cndmask_b32_e32 v44, v35, v36, vcc
	v_cmp_gt_i16_sdwa vcc, sext(v46), v39 src0_sel:BYTE_0 src1_sel:DWORD
	s_nop 1
	v_cndmask_b32_e32 v48, v37, v38, vcc
	v_or_b32_e32 v42, v42, v48
	v_or3_b32 v41, v42, v41, v44
	v_bfe_u32 v42, v46, 8, 1
	v_cmp_eq_u32_e32 vcc, 0, v42
	v_and_b32_e32 v44, 2, v43
	v_and_b32_e32 v48, 4, v43
	v_cndmask_b32_e32 v42, 1, v32, vcc
	v_cmp_eq_u32_e32 vcc, 0, v44
	v_dot4c_i32_i8_e32 v56, v41, v18
	s_nop 0
	v_cndmask_b32_e32 v44, v33, v34, vcc
	v_cmp_eq_u32_e32 vcc, 0, v48
	v_or_b32_e32 v42, v42, v44
	v_and_b32_e32 v44, 16, v43
	v_cndmask_b32_e32 v48, v35, v36, vcc
	v_cmp_eq_u32_e32 vcc, 0, v49
	s_nop 1
	v_cndmask_b32_e32 v49, v37, v38, vcc
	v_or3_b32 v42, v42, v48, v49
	v_cmp_eq_u32_e32 vcc, 0, v44
	v_and_b32_e32 v48, 32, v43
	v_and_b32_e32 v49, 64, v43
	v_cndmask_b32_e32 v44, 1, v32, vcc
	v_cmp_eq_u32_e32 vcc, 0, v48
	v_dot4c_i32_i8_e32 v56, v42, v19
	s_nop 0
	v_cndmask_b32_e32 v48, v33, v34, vcc
	v_cmp_eq_u32_e32 vcc, 0, v49
	s_nop 1
	v_cndmask_b32_e32 v49, v35, v36, vcc
	v_cmp_gt_i16_sdwa vcc, sext(v43), v39 src0_sel:BYTE_0 src1_sel:DWORD
	s_nop 1
	v_cndmask_b32_e32 v43, v37, v38, vcc
	v_or_b32_e32 v43, v48, v43
	v_or3_b32 v43, v43, v44, v49
	v_bfe_u32 v44, v46, 16, 1
	v_cmp_eq_u32_e32 vcc, 0, v44
	v_and_b32_e32 v48, 2, v45
	v_and_b32_e32 v49, 4, v45
	v_cndmask_b32_e32 v44, 1, v32, vcc
	v_cmp_eq_u32_e32 vcc, 0, v48
	v_bfe_u32 v46, v46, 24, 1
	v_dot4c_i32_i8_e32 v56, v43, v12
	v_cndmask_b32_e32 v48, v33, v34, vcc
	v_cmp_eq_u32_e32 vcc, 0, v49
	v_or_b32_e32 v44, v44, v48
	v_and_b32_e32 v48, 16, v45
	v_cndmask_b32_e32 v49, v35, v36, vcc
	v_cmp_eq_u32_e32 vcc, 0, v50
	s_nop 1
	v_cndmask_b32_e32 v50, v37, v38, vcc
	v_or3_b32 v44, v44, v49, v50
	v_cmp_eq_u32_e32 vcc, 0, v48
	v_and_b32_e32 v49, 32, v45
	v_and_b32_e32 v50, 64, v45
	v_cndmask_b32_e32 v48, 1, v32, vcc
	v_cmp_eq_u32_e32 vcc, 0, v49
	v_dot4c_i32_i8_e32 v56, v44, v13
	s_nop 0
	v_cndmask_b32_e32 v49, v33, v34, vcc
	v_cmp_eq_u32_e32 vcc, 0, v50
	s_nop 1
	v_cndmask_b32_e32 v50, v35, v36, vcc
	v_cmp_gt_i16_sdwa vcc, sext(v45), v39 src0_sel:BYTE_0 src1_sel:DWORD
	s_nop 1
	v_cndmask_b32_e32 v45, v37, v38, vcc
	v_or_b32_e32 v45, v49, v45
	v_or3_b32 v45, v45, v48, v50
	v_cmp_eq_u32_e32 vcc, 0, v46
	v_and_b32_e32 v48, 2, v47
	v_and_b32_e32 v49, 4, v47
	v_cndmask_b32_e32 v46, 1, v32, vcc
	v_cmp_eq_u32_e32 vcc, 0, v48
	v_and_b32_e32 v50, 8, v47
	v_dot4c_i32_i8_e32 v56, v45, v14
	v_cndmask_b32_e32 v48, v33, v34, vcc
	v_cmp_eq_u32_e32 vcc, 0, v49
	v_or_b32_e32 v46, v46, v48
	v_and_b32_e32 v48, 16, v47
	v_cndmask_b32_e32 v49, v35, v36, vcc
	v_cmp_eq_u32_e32 vcc, 0, v50
	s_nop 1
	v_cndmask_b32_e32 v50, v37, v38, vcc
	v_or3_b32 v46, v46, v49, v50
	v_cmp_eq_u32_e32 vcc, 0, v48
	v_and_b32_e32 v49, 32, v47
	v_and_b32_e32 v50, 64, v47
	v_cndmask_b32_e32 v48, 1, v32, vcc
	v_cmp_eq_u32_e32 vcc, 0, v49
	v_dot4c_i32_i8_e32 v56, v46, v15
	s_nop 0
	v_cndmask_b32_e32 v49, v33, v34, vcc
	v_cmp_eq_u32_e32 vcc, 0, v50
	s_nop 1
	v_cndmask_b32_e32 v50, v35, v36, vcc
	v_cmp_gt_i16_sdwa vcc, sext(v47), v39 src0_sel:BYTE_0 src1_sel:DWORD
	s_nop 1
	v_cndmask_b32_e32 v47, v37, v38, vcc
	v_or_b32_e32 v47, v49, v47
	v_or3_b32 v47, v47, v48, v50
	v_add_u32_e32 v48, s8, v30
	v_mad_i64_i32 v[48:49], s[22:23], v48, 18, s[20:21]
	global_load_ushort v57, v[48:49], off
	v_lshl_add_u64 v[48:49], v[48:49], 0, v[22:23]
	global_load_dword v58, v[48:49], off offset:2
	v_dot4c_i32_i8_e32 v56, v47, v54
	v_add_u32_e32 v30, 16, v30
	s_waitcnt vmcnt(0)
	v_and_b32_e32 v48, 1, v58
	v_cmp_eq_u32_e32 vcc, 0, v48
	v_and_b32_e32 v49, 2, v58
	v_and_b32_e32 v50, 4, v58
	v_cndmask_b32_e32 v48, 1, v32, vcc
	v_cmp_eq_u32_e32 vcc, 0, v49
	v_and_b32_e32 v52, 8, v58
	v_lshrrev_b32_e32 v51, 8, v58
	v_cndmask_b32_e32 v49, v33, v34, vcc
	v_cmp_eq_u32_e32 vcc, 0, v50
	v_or_b32_e32 v48, v48, v49
	v_and_b32_e32 v49, 16, v58
	v_cndmask_b32_e32 v50, v35, v36, vcc
	v_cmp_eq_u32_e32 vcc, 0, v52
	v_and_b32_e32 v61, 8, v51
	v_lshrrev_b32_e32 v53, 16, v58
	v_cndmask_b32_e32 v52, v37, v38, vcc
	v_or3_b32 v48, v48, v50, v52
	v_cmp_eq_u32_e32 vcc, 0, v49
	v_and_b32_e32 v50, 32, v58
	v_and_b32_e32 v52, 64, v58
	v_cndmask_b32_e32 v49, 1, v32, vcc
	v_cmp_eq_u32_e32 vcc, 0, v50
	v_and_b32_e32 v62, 8, v53
	v_lshrrev_b32_e32 v59, 24, v58
	v_cndmask_b32_e32 v50, v33, v34, vcc
	v_cmp_eq_u32_e32 vcc, 0, v52
	s_nop 1
	v_cndmask_b32_e32 v52, v35, v36, vcc
	v_cmp_gt_i16_sdwa vcc, sext(v58), v39 src0_sel:BYTE_0 src1_sel:DWORD
	s_nop 1
	v_cndmask_b32_e32 v60, v37, v38, vcc
	v_or_b32_e32 v50, v50, v60
	v_or3_b32 v49, v50, v49, v52
	v_bfe_u32 v50, v58, 8, 1
	v_cmp_eq_u32_e32 vcc, 0, v50
	v_and_b32_e32 v52, 2, v51
	v_and_b32_e32 v60, 4, v51
	v_cndmask_b32_e32 v50, 1, v32, vcc
	v_cmp_eq_u32_e32 vcc, 0, v52
	s_nop 1
	v_cndmask_b32_e32 v52, v33, v34, vcc
	v_cmp_eq_u32_e32 vcc, 0, v60
	v_or_b32_e32 v50, v50, v52
	v_and_b32_e32 v52, 16, v51
	v_cndmask_b32_e32 v60, v35, v36, vcc
	v_cmp_eq_u32_e32 vcc, 0, v61
	s_nop 1
	v_cndmask_b32_e32 v61, v37, v38, vcc
	v_or3_b32 v50, v50, v60, v61
	v_cmp_eq_u32_e32 vcc, 0, v52
	v_and_b32_e32 v60, 32, v51
	v_and_b32_e32 v61, 64, v51
	v_cndmask_b32_e32 v52, 1, v32, vcc
	v_cmp_eq_u32_e32 vcc, 0, v60
	s_nop 1
	v_cndmask_b32_e32 v60, v33, v34, vcc
	v_cmp_eq_u32_e32 vcc, 0, v61
	s_nop 1
	v_cndmask_b32_e32 v61, v35, v36, vcc
	v_cmp_gt_i16_sdwa vcc, sext(v51), v39 src0_sel:BYTE_0 src1_sel:DWORD
	s_nop 1
	v_cndmask_b32_e32 v51, v37, v38, vcc
	v_or_b32_e32 v51, v60, v51
	v_or3_b32 v51, v51, v52, v61
	v_bfe_u32 v52, v58, 16, 1
	v_cmp_eq_u32_e32 vcc, 0, v52
	v_and_b32_e32 v60, 2, v53
	v_and_b32_e32 v61, 4, v53
	v_cndmask_b32_e32 v52, 1, v32, vcc
	v_cmp_eq_u32_e32 vcc, 0, v60
	v_bfe_u32 v58, v58, 24, 1
	s_nop 0
	v_cndmask_b32_e32 v60, v33, v34, vcc
	v_cmp_eq_u32_e32 vcc, 0, v61
	v_or_b32_e32 v52, v52, v60
	v_and_b32_e32 v60, 16, v53
	v_cndmask_b32_e32 v61, v35, v36, vcc
	v_cmp_eq_u32_e32 vcc, 0, v62
	s_nop 1
	v_cndmask_b32_e32 v62, v37, v38, vcc
	v_or3_b32 v52, v52, v61, v62
	v_cmp_eq_u32_e32 vcc, 0, v60
	v_and_b32_e32 v61, 32, v53
	v_and_b32_e32 v62, 64, v53
	v_cndmask_b32_e32 v60, 1, v32, vcc
	v_cmp_eq_u32_e32 vcc, 0, v61
	s_nop 1
	v_cndmask_b32_e32 v61, v33, v34, vcc
	v_cmp_eq_u32_e32 vcc, 0, v62
	s_nop 1
	v_cndmask_b32_e32 v62, v35, v36, vcc
	v_cmp_gt_i16_sdwa vcc, sext(v53), v39 src0_sel:BYTE_0 src1_sel:DWORD
	s_nop 1
	v_cndmask_b32_e32 v53, v37, v38, vcc
	v_or_b32_e32 v53, v61, v53
	v_or3_b32 v53, v53, v60, v62
	v_cmp_eq_u32_e32 vcc, 0, v58
	v_and_b32_e32 v60, 2, v59
	v_and_b32_e32 v61, 4, v59
	v_cndmask_b32_e32 v58, 1, v32, vcc
	v_cmp_eq_u32_e32 vcc, 0, v60
	v_and_b32_e32 v62, 8, v59
	s_nop 0
	v_cndmask_b32_e32 v60, v33, v34, vcc
	v_cmp_eq_u32_e32 vcc, 0, v61
	v_or_b32_e32 v58, v58, v60
	v_and_b32_e32 v60, 16, v59
	v_cndmask_b32_e32 v61, v35, v36, vcc
	v_cmp_eq_u32_e32 vcc, 0, v62
	s_nop 1
	v_cndmask_b32_e32 v62, v37, v38, vcc
	v_or3_b32 v58, v58, v61, v62
	v_cmp_eq_u32_e32 vcc, 0, v60
	v_and_b32_e32 v61, 32, v59
	v_and_b32_e32 v62, 64, v59
	v_cndmask_b32_e32 v60, 1, v32, vcc
	v_cmp_eq_u32_e32 vcc, 0, v61
	s_nop 1
	v_cndmask_b32_e32 v61, v33, v34, vcc
	v_cmp_eq_u32_e32 vcc, 0, v62
	s_nop 1
	v_cndmask_b32_e32 v62, v35, v36, vcc
	v_cmp_gt_i16_sdwa vcc, sext(v59), v39 src0_sel:BYTE_0 src1_sel:DWORD
	s_nop 1
	v_cndmask_b32_e32 v59, v37, v38, vcc
	v_or_b32_e32 v59, v61, v59
	v_or3_b32 v59, v59, v60, v62
	v_mov_b32_e32 v60, 0
	v_dot4c_i32_i8_e32 v60, v48, v17
	v_dot4c_i32_i8_e32 v60, v49, v18
	;; [unrolled: 1-line block ×5, first 2 shown]
	v_cvt_f32_f16_e32 v13, v57
	v_cvt_f32_f16_e32 v12, v55
	v_dot4c_i32_i8_e32 v60, v53, v14
	v_dot4c_i32_i8_e32 v60, v58, v15
	v_dot4c_i32_i8_e32 v60, v59, v54
	v_pk_mul_f32 v[14:15], v[16:17], v[12:13] op_sel_hi:[0,1]
	v_cvt_f32_i32_e32 v16, v56
	v_cmp_le_u32_e32 vcc, s5, v30
	v_cvt_f32_i32_e32 v17, v60
	v_pk_fma_f32 v[8:9], v[14:15], v[16:17], v[8:9]
	v_add_u32_e32 v14, s9, v31
	v_mad_u64_u32 v[18:19], s[22:23], v14, 36, v[24:25]
	global_load_dword v60, v[18:19], off offset:32
	global_load_dwordx4 v[14:17], v[18:19], off offset:16
	global_load_dwordx4 v[54:57], v[18:19], off
	v_mov_b32_e32 v19, 0
	s_add_i32 s9, s9, 64
	s_waitcnt vmcnt(0)
	v_cvt_f32_f16_e32 v18, v54
	v_mov_b32_e32 v54, 0
	v_dot4c_i32_i8_e32 v19, v40, v55
	v_dot4c_i32_i8_e32 v54, v48, v55
	v_dot4c_i32_i8_e32 v19, v41, v56
	v_dot4c_i32_i8_e32 v54, v49, v56
	v_dot4c_i32_i8_e32 v19, v42, v57
	v_dot4c_i32_i8_e32 v54, v50, v57
	v_dot4c_i32_i8_e32 v19, v43, v14
	v_dot4c_i32_i8_e32 v54, v51, v14
	v_dot4c_i32_i8_e32 v19, v44, v15
	v_dot4c_i32_i8_e32 v54, v52, v15
	v_dot4c_i32_i8_e32 v19, v45, v16
	v_dot4c_i32_i8_e32 v54, v53, v16
	v_dot4c_i32_i8_e32 v19, v46, v17
	v_dot4c_i32_i8_e32 v54, v58, v17
	v_dot4c_i32_i8_e32 v19, v47, v60
	v_dot4c_i32_i8_e32 v54, v59, v60
	s_nop 1
	v_cvt_f32_i32_e32 v16, v19
	v_cvt_f32_i32_e32 v17, v54
	v_pk_mul_f32 v[14:15], v[18:19], v[12:13] op_sel_hi:[0,1]
	v_pk_fma_f32 v[10:11], v[14:15], v[16:17], v[10:11]
	v_add_u32_e32 v14, s11, v31
	v_mad_u64_u32 v[18:19], s[22:23], v14, 36, v[24:25]
	global_load_dword v60, v[18:19], off offset:32
	global_load_dwordx4 v[14:17], v[18:19], off offset:16
	global_load_dwordx4 v[54:57], v[18:19], off
	v_mov_b32_e32 v19, 0
	s_add_i32 s11, s11, 64
	s_waitcnt vmcnt(0)
	v_cvt_f32_f16_e32 v18, v54
	v_mov_b32_e32 v54, 0
	v_dot4c_i32_i8_e32 v19, v40, v55
	v_dot4c_i32_i8_e32 v54, v48, v55
	v_dot4c_i32_i8_e32 v19, v41, v56
	v_dot4c_i32_i8_e32 v54, v49, v56
	v_dot4c_i32_i8_e32 v19, v42, v57
	v_dot4c_i32_i8_e32 v54, v50, v57
	v_dot4c_i32_i8_e32 v19, v43, v14
	v_dot4c_i32_i8_e32 v54, v51, v14
	v_dot4c_i32_i8_e32 v19, v44, v15
	v_dot4c_i32_i8_e32 v54, v52, v15
	v_dot4c_i32_i8_e32 v19, v45, v16
	v_dot4c_i32_i8_e32 v54, v53, v16
	v_dot4c_i32_i8_e32 v19, v46, v17
	v_dot4c_i32_i8_e32 v54, v58, v17
	v_dot4c_i32_i8_e32 v19, v47, v60
	v_dot4c_i32_i8_e32 v54, v59, v60
	s_nop 1
	v_cvt_f32_i32_e32 v16, v19
	v_cvt_f32_i32_e32 v17, v54
	v_pk_mul_f32 v[14:15], v[18:19], v[12:13] op_sel_hi:[0,1]
	;; [unrolled: 31-line block ×5, first 2 shown]
	v_pk_fma_f32 v[2:3], v[14:15], v[16:17], v[2:3]
	v_add_u32_e32 v14, s24, v31
	v_mad_u64_u32 v[18:19], s[22:23], v14, 36, v[24:25]
	global_load_dword v60, v[18:19], off offset:32
	global_load_dwordx4 v[14:17], v[18:19], off offset:16
	global_load_dwordx4 v[54:57], v[18:19], off
	v_mov_b32_e32 v19, 0
	s_add_i32 s24, s24, 64
	s_or_b64 s[12:13], vcc, s[12:13]
	s_waitcnt vmcnt(0)
	v_dot4c_i32_i8_e32 v19, v40, v55
	v_mov_b32_e32 v40, 0
	v_dot4c_i32_i8_e32 v40, v48, v55
	v_dot4c_i32_i8_e32 v19, v41, v56
	;; [unrolled: 1-line block ×13, first 2 shown]
	v_cvt_f32_f16_e32 v18, v54
	v_dot4c_i32_i8_e32 v19, v47, v60
	v_dot4c_i32_i8_e32 v40, v59, v60
	s_nop 1
	v_cvt_f32_i32_e32 v14, v19
	v_cvt_f32_i32_e32 v15, v40
	v_pk_mul_f32 v[12:13], v[18:19], v[12:13] op_sel_hi:[0,1]
	v_pk_fma_f32 v[28:29], v[12:13], v[14:15], v[28:29]
	s_andn2_b64 exec, exec, s[12:13]
	s_cbranch_execnz .LBB10_2
; %bb.3:
	s_or_b64 exec, exec, s[12:13]
	scratch_store_dwordx4 off, v[8:11], off
	scratch_store_dwordx4 off, v[4:7], off offset:16
	scratch_store_dwordx4 off, v[0:3], off offset:32
	scratch_store_dwordx2 off, v[28:29], off offset:48
.LBB10_4:
	s_or_b64 exec, exec, s[6:7]
	s_mov_b32 s5, 0
	v_cmp_eq_u32_e32 vcc, 0, v21
	s_waitcnt lgkmcnt(0)
	; wave barrier
	s_and_saveexec_b64 s[6:7], vcc
	s_cbranch_execz .LBB10_19
; %bb.5:
	scratch_load_dwordx2 v[2:3], off, off
	v_mbcnt_lo_u32_b32 v0, -1, 0
	v_mbcnt_hi_u32_b32 v12, -1, v0
	s_load_dwordx2 s[6:7], s[0:1], 0x38
	s_mul_i32 s0, s3, s14
	v_or_b32_e32 v1, s2, v20
	v_and_b32_e32 v0, 64, v12
	s_mul_i32 s4, s4, s18
	s_add_i32 s2, s0, s2
	v_cmp_gt_u32_e64 s[0:1], s10, v1
	v_xor_b32_e32 v1, 32, v12
	v_add_u32_e32 v13, 64, v0
	s_add_i32 s4, s2, s4
	v_cmp_lt_i32_e64 s[2:3], v1, v13
	v_cmp_gt_u32_e32 vcc, 2, v20
	s_nop 0
	v_cndmask_b32_e64 v0, v12, v1, s[2:3]
	v_lshlrev_b32_e32 v0, 2, v0
	v_xor_b32_e32 v1, 16, v12
	v_cmp_lt_i32_e64 s[2:3], v1, v13
	s_waitcnt vmcnt(0)
	ds_bpermute_b32 v4, v0, v2
	ds_bpermute_b32 v5, v0, v3
	v_cndmask_b32_e64 v1, v12, v1, s[2:3]
	v_lshlrev_b32_e32 v1, 2, v1
	s_waitcnt lgkmcnt(0)
	v_pk_add_f32 v[4:5], v[2:3], v[4:5]
	ds_bpermute_b32 v6, v1, v4
	ds_bpermute_b32 v7, v1, v5
	v_xor_b32_e32 v2, 8, v12
	v_cmp_lt_i32_e64 s[2:3], v2, v13
	v_xor_b32_e32 v3, 4, v12
	s_waitcnt lgkmcnt(0)
	v_pk_add_f32 v[4:5], v[4:5], v[6:7]
	v_cndmask_b32_e64 v2, v12, v2, s[2:3]
	v_lshlrev_b32_e32 v2, 2, v2
	ds_bpermute_b32 v6, v2, v4
	ds_bpermute_b32 v7, v2, v5
	v_cmp_lt_i32_e64 s[2:3], v3, v13
	s_waitcnt lgkmcnt(0)
	v_pk_add_f32 v[6:7], v[4:5], v[6:7]
	v_cndmask_b32_e64 v3, v12, v3, s[2:3]
	v_lshlrev_b32_e32 v3, 2, v3
	ds_bpermute_b32 v8, v3, v6
	ds_bpermute_b32 v9, v3, v7
	v_xor_b32_e32 v4, 2, v12
	v_cmp_lt_i32_e64 s[2:3], v4, v13
	v_xor_b32_e32 v5, 1, v12
	s_waitcnt lgkmcnt(0)
	v_pk_add_f32 v[8:9], v[6:7], v[8:9]
	v_cndmask_b32_e64 v4, v12, v4, s[2:3]
	v_lshlrev_b32_e32 v4, 2, v4
	ds_bpermute_b32 v10, v4, v8
	ds_bpermute_b32 v11, v4, v9
	v_cmp_lt_i32_e64 s[2:3], v5, v13
	s_waitcnt lgkmcnt(0)
	v_pk_add_f32 v[8:9], v[8:9], v[10:11]
	v_cndmask_b32_e64 v5, v12, v5, s[2:3]
	v_lshlrev_b32_e32 v6, 2, v5
	ds_bpermute_b32 v10, v6, v8
	ds_bpermute_b32 v11, v6, v9
	s_lshl_b64 s[2:3], s[4:5], 2
	s_add_u32 s2, s6, s2
	s_addc_u32 s3, s7, s3
	s_and_b64 s[0:1], vcc, s[0:1]
	s_waitcnt lgkmcnt(0)
	v_pk_add_f32 v[8:9], v[8:9], v[10:11]
	v_lshlrev_b32_e32 v5, 2, v20
	scratch_store_dwordx2 off, v[8:9], off
	s_and_saveexec_b64 s[4:5], s[0:1]
	s_cbranch_execz .LBB10_7
; %bb.6:
	scratch_load_dword v7, v5, off
	s_waitcnt vmcnt(0)
	global_store_dword v5, v7, s[2:3]
.LBB10_7:
	s_or_b64 exec, exec, s[4:5]
	scratch_load_dwordx2 v[8:9], off, off offset:8
	s_waitcnt vmcnt(0)
	ds_bpermute_b32 v10, v0, v8
	ds_bpermute_b32 v11, v0, v9
	s_waitcnt lgkmcnt(0)
	v_pk_add_f32 v[8:9], v[8:9], v[10:11]
	ds_bpermute_b32 v10, v1, v8
	ds_bpermute_b32 v11, v1, v9
	s_waitcnt lgkmcnt(0)
	v_pk_add_f32 v[8:9], v[8:9], v[10:11]
	;; [unrolled: 4-line block ×6, first 2 shown]
	scratch_store_dwordx2 off, v[8:9], off offset:8
	s_and_saveexec_b64 s[4:5], s[0:1]
	s_cbranch_execz .LBB10_9
; %bb.8:
	scratch_load_dword v7, v5, off offset:8
	v_add_u32_e32 v8, s10, v20
	v_mov_b32_e32 v9, 0
	v_lshl_add_u64 v[8:9], v[8:9], 2, s[2:3]
	s_waitcnt vmcnt(0)
	global_store_dword v[8:9], v7, off
.LBB10_9:
	s_or_b64 exec, exec, s[4:5]
	scratch_load_dwordx2 v[8:9], off, off offset:16
	s_waitcnt vmcnt(0)
	ds_bpermute_b32 v10, v0, v8
	ds_bpermute_b32 v11, v0, v9
	s_waitcnt lgkmcnt(0)
	v_pk_add_f32 v[8:9], v[8:9], v[10:11]
	ds_bpermute_b32 v10, v1, v8
	ds_bpermute_b32 v11, v1, v9
	s_waitcnt lgkmcnt(0)
	v_pk_add_f32 v[8:9], v[8:9], v[10:11]
	;; [unrolled: 4-line block ×6, first 2 shown]
	scratch_store_dwordx2 off, v[8:9], off offset:16
	s_and_saveexec_b64 s[4:5], s[0:1]
	s_cbranch_execz .LBB10_11
; %bb.10:
	scratch_load_dword v7, v5, off offset:16
	v_lshl_or_b32 v8, s10, 1, v20
	v_mov_b32_e32 v9, 0
	v_lshl_add_u64 v[8:9], v[8:9], 2, s[2:3]
	s_waitcnt vmcnt(0)
	global_store_dword v[8:9], v7, off
.LBB10_11:
	s_or_b64 exec, exec, s[4:5]
	scratch_load_dwordx2 v[8:9], off, off offset:24
	s_waitcnt vmcnt(0)
	ds_bpermute_b32 v10, v0, v8
	ds_bpermute_b32 v11, v0, v9
	s_waitcnt lgkmcnt(0)
	v_pk_add_f32 v[8:9], v[8:9], v[10:11]
	ds_bpermute_b32 v10, v1, v8
	ds_bpermute_b32 v11, v1, v9
	s_waitcnt lgkmcnt(0)
	v_pk_add_f32 v[8:9], v[8:9], v[10:11]
	;; [unrolled: 4-line block ×6, first 2 shown]
	scratch_store_dwordx2 off, v[8:9], off offset:24
	s_and_saveexec_b64 s[4:5], s[0:1]
	s_cbranch_execz .LBB10_13
; %bb.12:
	scratch_load_dword v7, v5, off offset:24
	v_mad_u64_u32 v[8:9], s[6:7], s10, 3, v[20:21]
	v_mov_b32_e32 v9, 0
	v_lshl_add_u64 v[8:9], v[8:9], 2, s[2:3]
	s_waitcnt vmcnt(0)
	global_store_dword v[8:9], v7, off
.LBB10_13:
	s_or_b64 exec, exec, s[4:5]
	scratch_load_dwordx2 v[8:9], off, off offset:32
	s_waitcnt vmcnt(0)
	ds_bpermute_b32 v10, v0, v8
	ds_bpermute_b32 v11, v0, v9
	s_waitcnt lgkmcnt(0)
	v_pk_add_f32 v[8:9], v[8:9], v[10:11]
	ds_bpermute_b32 v10, v1, v8
	ds_bpermute_b32 v11, v1, v9
	s_waitcnt lgkmcnt(0)
	v_pk_add_f32 v[8:9], v[8:9], v[10:11]
	ds_bpermute_b32 v10, v2, v8
	ds_bpermute_b32 v11, v2, v9
	s_waitcnt lgkmcnt(0)
	v_pk_add_f32 v[8:9], v[8:9], v[10:11]
	ds_bpermute_b32 v10, v3, v8
	ds_bpermute_b32 v11, v3, v9
	s_waitcnt lgkmcnt(0)
	v_pk_add_f32 v[8:9], v[8:9], v[10:11]
	ds_bpermute_b32 v10, v4, v8
	ds_bpermute_b32 v11, v4, v9
	s_waitcnt lgkmcnt(0)
	v_pk_add_f32 v[8:9], v[8:9], v[10:11]
	ds_bpermute_b32 v10, v6, v8
	ds_bpermute_b32 v11, v6, v9
	s_waitcnt lgkmcnt(0)
	v_pk_add_f32 v[8:9], v[8:9], v[10:11]
	scratch_store_dwordx2 off, v[8:9], off offset:32
	s_and_saveexec_b64 s[4:5], s[0:1]
	s_cbranch_execz .LBB10_15
; %bb.14:
	scratch_load_dword v7, v5, off offset:32
	v_lshl_or_b32 v8, s10, 2, v20
	v_mov_b32_e32 v9, 0
	v_lshl_add_u64 v[8:9], v[8:9], 2, s[2:3]
	s_waitcnt vmcnt(0)
	global_store_dword v[8:9], v7, off
.LBB10_15:
	s_or_b64 exec, exec, s[4:5]
	scratch_load_dwordx2 v[8:9], off, off offset:40
	s_waitcnt vmcnt(0)
	ds_bpermute_b32 v10, v0, v8
	ds_bpermute_b32 v11, v0, v9
	s_waitcnt lgkmcnt(0)
	v_pk_add_f32 v[8:9], v[8:9], v[10:11]
	ds_bpermute_b32 v10, v1, v8
	ds_bpermute_b32 v11, v1, v9
	s_waitcnt lgkmcnt(0)
	v_pk_add_f32 v[8:9], v[8:9], v[10:11]
	;; [unrolled: 4-line block ×6, first 2 shown]
	scratch_store_dwordx2 off, v[8:9], off offset:40
	s_and_saveexec_b64 s[4:5], s[0:1]
	s_cbranch_execz .LBB10_17
; %bb.16:
	scratch_load_dword v7, v5, off offset:40
	v_mad_u64_u32 v[8:9], s[6:7], s10, 5, v[20:21]
	v_mov_b32_e32 v9, 0
	v_lshl_add_u64 v[8:9], v[8:9], 2, s[2:3]
	s_waitcnt vmcnt(0)
	global_store_dword v[8:9], v7, off
.LBB10_17:
	s_or_b64 exec, exec, s[4:5]
	scratch_load_dwordx2 v[8:9], off, off offset:48
	s_waitcnt vmcnt(0)
	ds_bpermute_b32 v10, v0, v8
	ds_bpermute_b32 v11, v0, v9
	s_waitcnt lgkmcnt(0)
	v_pk_add_f32 v[8:9], v[8:9], v[10:11]
	ds_bpermute_b32 v0, v1, v8
	ds_bpermute_b32 v1, v1, v9
	s_waitcnt lgkmcnt(0)
	v_pk_add_f32 v[0:1], v[8:9], v[0:1]
	;; [unrolled: 4-line block ×6, first 2 shown]
	scratch_store_dwordx2 off, v[0:1], off offset:48
	s_and_b64 exec, exec, s[0:1]
	s_cbranch_execz .LBB10_19
; %bb.18:
	scratch_load_dword v2, v5, off offset:48
	s_mul_i32 s0, s10, 6
	v_or_b32_e32 v0, s0, v20
	v_mov_b32_e32 v1, 0
	v_lshl_add_u64 v[0:1], v[0:1], 2, s[2:3]
	s_waitcnt vmcnt(0)
	global_store_dword v[0:1], v2, off
.LBB10_19:
	s_endpgm
	.section	.rodata,"a",@progbits
	.p2align	6, 0x0
	.amdhsa_kernel _ZL13mul_mat_vec_qIL9ggml_type41ELi7ELb0ELb0EEvPKvS2_PKi31ggml_cuda_mm_fusion_args_devicePfj15HIP_vector_typeIjLj3EEjjjS8_jjjS8_jjjj
		.amdhsa_group_segment_fixed_size 0
		.amdhsa_private_segment_fixed_size 64
		.amdhsa_kernarg_size 144
		.amdhsa_user_sgpr_count 2
		.amdhsa_user_sgpr_dispatch_ptr 0
		.amdhsa_user_sgpr_queue_ptr 0
		.amdhsa_user_sgpr_kernarg_segment_ptr 1
		.amdhsa_user_sgpr_dispatch_id 0
		.amdhsa_user_sgpr_kernarg_preload_length 0
		.amdhsa_user_sgpr_kernarg_preload_offset 0
		.amdhsa_user_sgpr_private_segment_size 0
		.amdhsa_uses_dynamic_stack 0
		.amdhsa_enable_private_segment 1
		.amdhsa_system_sgpr_workgroup_id_x 1
		.amdhsa_system_sgpr_workgroup_id_y 1
		.amdhsa_system_sgpr_workgroup_id_z 1
		.amdhsa_system_sgpr_workgroup_info 0
		.amdhsa_system_vgpr_workitem_id 1
		.amdhsa_next_free_vgpr 63
		.amdhsa_next_free_sgpr 28
		.amdhsa_accum_offset 64
		.amdhsa_reserve_vcc 1
		.amdhsa_float_round_mode_32 0
		.amdhsa_float_round_mode_16_64 0
		.amdhsa_float_denorm_mode_32 3
		.amdhsa_float_denorm_mode_16_64 3
		.amdhsa_dx10_clamp 1
		.amdhsa_ieee_mode 1
		.amdhsa_fp16_overflow 0
		.amdhsa_tg_split 0
		.amdhsa_exception_fp_ieee_invalid_op 0
		.amdhsa_exception_fp_denorm_src 0
		.amdhsa_exception_fp_ieee_div_zero 0
		.amdhsa_exception_fp_ieee_overflow 0
		.amdhsa_exception_fp_ieee_underflow 0
		.amdhsa_exception_fp_ieee_inexact 0
		.amdhsa_exception_int_div_zero 0
	.end_amdhsa_kernel
	.section	.text._ZL13mul_mat_vec_qIL9ggml_type41ELi7ELb0ELb0EEvPKvS2_PKi31ggml_cuda_mm_fusion_args_devicePfj15HIP_vector_typeIjLj3EEjjjS8_jjjS8_jjjj,"axG",@progbits,_ZL13mul_mat_vec_qIL9ggml_type41ELi7ELb0ELb0EEvPKvS2_PKi31ggml_cuda_mm_fusion_args_devicePfj15HIP_vector_typeIjLj3EEjjjS8_jjjS8_jjjj,comdat
.Lfunc_end10:
	.size	_ZL13mul_mat_vec_qIL9ggml_type41ELi7ELb0ELb0EEvPKvS2_PKi31ggml_cuda_mm_fusion_args_devicePfj15HIP_vector_typeIjLj3EEjjjS8_jjjS8_jjjj, .Lfunc_end10-_ZL13mul_mat_vec_qIL9ggml_type41ELi7ELb0ELb0EEvPKvS2_PKi31ggml_cuda_mm_fusion_args_devicePfj15HIP_vector_typeIjLj3EEjjjS8_jjjS8_jjjj
                                        ; -- End function
	.section	.AMDGPU.csdata,"",@progbits
; Kernel info:
; codeLenInByte = 4716
; NumSgprs: 34
; NumVgprs: 63
; NumAgprs: 0
; TotalNumVgprs: 63
; ScratchSize: 64
; MemoryBound: 0
; FloatMode: 240
; IeeeMode: 1
; LDSByteSize: 0 bytes/workgroup (compile time only)
; SGPRBlocks: 4
; VGPRBlocks: 7
; NumSGPRsForWavesPerEU: 34
; NumVGPRsForWavesPerEU: 63
; AccumOffset: 64
; Occupancy: 8
; WaveLimiterHint : 0
; COMPUTE_PGM_RSRC2:SCRATCH_EN: 1
; COMPUTE_PGM_RSRC2:USER_SGPR: 2
; COMPUTE_PGM_RSRC2:TRAP_HANDLER: 0
; COMPUTE_PGM_RSRC2:TGID_X_EN: 1
; COMPUTE_PGM_RSRC2:TGID_Y_EN: 1
; COMPUTE_PGM_RSRC2:TGID_Z_EN: 1
; COMPUTE_PGM_RSRC2:TIDIG_COMP_CNT: 1
; COMPUTE_PGM_RSRC3_GFX90A:ACCUM_OFFSET: 15
; COMPUTE_PGM_RSRC3_GFX90A:TG_SPLIT: 0
	.section	.text._ZL13mul_mat_vec_qIL9ggml_type41ELi8ELb0ELb0EEvPKvS2_PKi31ggml_cuda_mm_fusion_args_devicePfj15HIP_vector_typeIjLj3EEjjjS8_jjjS8_jjjj,"axG",@progbits,_ZL13mul_mat_vec_qIL9ggml_type41ELi8ELb0ELb0EEvPKvS2_PKi31ggml_cuda_mm_fusion_args_devicePfj15HIP_vector_typeIjLj3EEjjjS8_jjjS8_jjjj,comdat
	.globl	_ZL13mul_mat_vec_qIL9ggml_type41ELi8ELb0ELb0EEvPKvS2_PKi31ggml_cuda_mm_fusion_args_devicePfj15HIP_vector_typeIjLj3EEjjjS8_jjjS8_jjjj ; -- Begin function _ZL13mul_mat_vec_qIL9ggml_type41ELi8ELb0ELb0EEvPKvS2_PKi31ggml_cuda_mm_fusion_args_devicePfj15HIP_vector_typeIjLj3EEjjjS8_jjjS8_jjjj
	.p2align	8
	.type	_ZL13mul_mat_vec_qIL9ggml_type41ELi8ELb0ELb0EEvPKvS2_PKi31ggml_cuda_mm_fusion_args_devicePfj15HIP_vector_typeIjLj3EEjjjS8_jjjS8_jjjj,@function
_ZL13mul_mat_vec_qIL9ggml_type41ELi8ELb0ELb0EEvPKvS2_PKi31ggml_cuda_mm_fusion_args_devicePfj15HIP_vector_typeIjLj3EEjjjS8_jjjS8_jjjj: ; @_ZL13mul_mat_vec_qIL9ggml_type41ELi8ELb0ELb0EEvPKvS2_PKi31ggml_cuda_mm_fusion_args_devicePfj15HIP_vector_typeIjLj3EEjjjS8_jjjS8_jjjj
; %bb.0:
	v_bfe_u32 v25, v0, 10, 10
	v_and_b32_e32 v24, 0x3ff, v0
	s_mov_b32 s20, 0
	s_load_dword s5, s[0:1], 0x40
	s_load_dwordx4 s[8:11], s[0:1], 0x50
	s_load_dword s25, s[0:1], 0x60
	s_load_dwordx4 s[12:15], s[0:1], 0x68
	;; [unrolled: 2-line block ×3, first 2 shown]
	v_lshl_or_b32 v4, v25, 6, v24
	s_mov_b32 s21, s20
	s_waitcnt lgkmcnt(0)
	s_lshr_b32 s5, s5, 7
	s_mov_b32 s22, s20
	s_mov_b32 s23, s20
	v_mov_b64_e32 v[0:1], s[20:21]
	v_lshrrev_b32_e32 v34, 2, v4
	s_lshl_b32 s2, s2, 1
	v_mov_b64_e32 v[2:3], s[22:23]
	v_cmp_gt_u32_e32 vcc, s5, v34
	scratch_store_dwordx4 off, v[0:3], off offset:48
	scratch_store_dwordx4 off, v[0:3], off offset:32
	scratch_store_dwordx4 off, v[0:3], off offset:16
	scratch_store_dwordx4 off, v[0:3], off
	s_and_saveexec_b64 s[6:7], vcc
	s_cbranch_execz .LBB11_4
; %bb.1:
	s_mul_hi_u32 s11, s11, s3
	s_load_dwordx4 s[20:23], s[0:1], 0x0
	s_add_i32 s11, s3, s11
	s_lshr_b32 s11, s11, s25
	s_mul_i32 s19, s11, s12
	s_mul_hi_u32 s11, s15, s4
	s_add_i32 s11, s4, s11
	s_mul_i32 s28, s4, s17
	s_lshr_b32 s11, s11, s24
	s_mul_i32 s12, s28, 36
	s_mul_i32 s24, s11, s16
	s_mul_hi_u32 s11, s28, 36
	s_waitcnt lgkmcnt(0)
	s_add_u32 s15, s22, s12
	s_mul_i32 s12, s3, s13
	s_addc_u32 s11, s23, s11
	s_mul_hi_u32 s13, s12, 36
	s_mul_i32 s12, s12, 36
	s_add_u32 s16, s15, s12
	s_addc_u32 s17, s11, s13
	v_and_b32_e32 v2, 3, v24
	v_mad_u64_u32 v[28:29], s[16:17], v2, 36, s[16:17]
	s_mul_i32 s16, s2, s8
	s_add_i32 s17, s24, s19
	s_add_i32 s19, s17, s16
	s_add_i32 s16, s2, 1
	v_lshl_add_u32 v0, v25, 6, v24
	s_mul_i32 s8, s8, s16
	v_lshrrev_b32_e32 v3, 2, v0
	s_movk_i32 s16, 0x90
	v_mov_b64_e32 v[0:1], s[12:13]
	v_mad_u64_u32 v[0:1], s[12:13], v3, s16, v[0:1]
	v_mad_u64_u32 v[0:1], s[12:13], s28, 36, v[0:1]
	;; [unrolled: 1-line block ×3, first 2 shown]
	v_mov_b32_e32 v27, 0
	v_lshl_add_u64 v[0:1], v[0:1], 0, s[22:23]
	v_lshlrev_b32_e32 v26, 2, v2
	s_lshl_b32 s11, s9, 1
	v_lshlrev_b32_e32 v35, 2, v34
	s_lshl_b32 s15, s9, 2
	s_add_i32 s8, s17, s8
	s_mul_i32 s24, s9, 7
	s_mul_i32 s25, s9, 6
	;; [unrolled: 1-line block ×4, first 2 shown]
	v_lshl_add_u64 v[30:31], v[0:1], 0, 16
	s_mov_b64 s[12:13], 0
	v_mov_b32_e32 v36, 0xff
	v_mov_b32_e32 v37, 0x100
	;; [unrolled: 1-line block ×7, first 2 shown]
	s_mov_b64 s[16:17], 0x900
	v_mov_b32_e32 v43, -1
	v_mov_b32_e32 v12, v27
	v_mov_b32_e32 v13, v27
	;; [unrolled: 1-line block ×16, first 2 shown]
.LBB11_2:                               ; =>This Inner Loop Header: Depth=1
	v_add_u32_e32 v33, s19, v34
	v_mad_i64_i32 v[44:45], s[22:23], v33, 18, s[20:21]
	global_load_dword v32, v[30:31], off offset:16
	global_load_dwordx4 v[16:19], v[30:31], off
	global_load_dwordx4 v[20:23], v[30:31], off offset:-16
	global_load_ushort v60, v[44:45], off
	v_lshl_add_u64 v[44:45], v[44:45], 0, v[26:27]
	global_load_dword v33, v[44:45], off offset:2
	v_mov_b32_e32 v61, 0
	v_lshl_add_u64 v[30:31], v[30:31], 0, s[16:17]
	s_waitcnt vmcnt(2)
	v_cvt_f32_f16_e32 v20, v20
	s_waitcnt vmcnt(0)
	v_and_b32_e32 v44, 1, v33
	v_cmp_eq_u32_e32 vcc, 0, v44
	v_and_b32_e32 v45, 2, v33
	v_and_b32_e32 v46, 4, v33
	v_cndmask_b32_e32 v44, 1, v36, vcc
	v_cmp_eq_u32_e32 vcc, 0, v45
	v_and_b32_e32 v48, 8, v33
	v_lshrrev_b32_e32 v47, 8, v33
	v_cndmask_b32_e32 v45, v37, v38, vcc
	v_cmp_eq_u32_e32 vcc, 0, v46
	v_or_b32_e32 v44, v44, v45
	v_and_b32_e32 v45, 16, v33
	v_cndmask_b32_e32 v46, v39, v40, vcc
	v_cmp_eq_u32_e32 vcc, 0, v48
	v_and_b32_e32 v52, 8, v47
	v_lshrrev_b32_e32 v49, 16, v33
	v_cndmask_b32_e32 v48, v41, v42, vcc
	v_or3_b32 v44, v44, v46, v48
	v_cmp_eq_u32_e32 vcc, 0, v45
	v_and_b32_e32 v46, 32, v33
	v_and_b32_e32 v48, 64, v33
	v_cndmask_b32_e32 v45, 1, v36, vcc
	v_cmp_eq_u32_e32 vcc, 0, v46
	v_and_b32_e32 v53, 8, v49
	v_lshrrev_b32_e32 v51, 24, v33
	v_cndmask_b32_e32 v46, v37, v38, vcc
	v_cmp_eq_u32_e32 vcc, 0, v48
	v_dot4c_i32_i8_e32 v61, v44, v21
	s_nop 0
	v_cndmask_b32_e32 v48, v39, v40, vcc
	v_cmp_gt_i16_sdwa vcc, sext(v33), v43 src0_sel:BYTE_0 src1_sel:DWORD
	s_nop 1
	v_cndmask_b32_e32 v50, v41, v42, vcc
	v_or_b32_e32 v46, v46, v50
	v_or3_b32 v45, v46, v45, v48
	v_bfe_u32 v46, v33, 8, 1
	v_cmp_eq_u32_e32 vcc, 0, v46
	v_and_b32_e32 v48, 2, v47
	v_and_b32_e32 v50, 4, v47
	v_cndmask_b32_e32 v46, 1, v36, vcc
	v_cmp_eq_u32_e32 vcc, 0, v48
	v_dot4c_i32_i8_e32 v61, v45, v22
	s_nop 0
	v_cndmask_b32_e32 v48, v37, v38, vcc
	v_cmp_eq_u32_e32 vcc, 0, v50
	v_or_b32_e32 v46, v46, v48
	v_and_b32_e32 v48, 16, v47
	v_cndmask_b32_e32 v50, v39, v40, vcc
	v_cmp_eq_u32_e32 vcc, 0, v52
	s_nop 1
	v_cndmask_b32_e32 v52, v41, v42, vcc
	v_or3_b32 v46, v46, v50, v52
	v_cmp_eq_u32_e32 vcc, 0, v48
	v_and_b32_e32 v50, 32, v47
	v_and_b32_e32 v52, 64, v47
	v_cndmask_b32_e32 v48, 1, v36, vcc
	v_cmp_eq_u32_e32 vcc, 0, v50
	v_dot4c_i32_i8_e32 v61, v46, v23
	s_nop 0
	v_cndmask_b32_e32 v50, v37, v38, vcc
	v_cmp_eq_u32_e32 vcc, 0, v52
	s_nop 1
	v_cndmask_b32_e32 v52, v39, v40, vcc
	v_cmp_gt_i16_sdwa vcc, sext(v47), v43 src0_sel:BYTE_0 src1_sel:DWORD
	s_nop 1
	v_cndmask_b32_e32 v47, v41, v42, vcc
	v_or_b32_e32 v47, v50, v47
	v_or3_b32 v47, v47, v48, v52
	v_bfe_u32 v48, v33, 16, 1
	v_cmp_eq_u32_e32 vcc, 0, v48
	v_and_b32_e32 v50, 2, v49
	v_and_b32_e32 v52, 4, v49
	v_cndmask_b32_e32 v48, 1, v36, vcc
	v_cmp_eq_u32_e32 vcc, 0, v50
	v_bfe_u32 v33, v33, 24, 1
	v_dot4c_i32_i8_e32 v61, v47, v16
	v_cndmask_b32_e32 v50, v37, v38, vcc
	v_cmp_eq_u32_e32 vcc, 0, v52
	v_or_b32_e32 v48, v48, v50
	v_and_b32_e32 v50, 16, v49
	v_cndmask_b32_e32 v52, v39, v40, vcc
	v_cmp_eq_u32_e32 vcc, 0, v53
	s_nop 1
	v_cndmask_b32_e32 v53, v41, v42, vcc
	v_or3_b32 v48, v48, v52, v53
	v_cmp_eq_u32_e32 vcc, 0, v50
	v_and_b32_e32 v52, 32, v49
	v_and_b32_e32 v53, 64, v49
	v_cndmask_b32_e32 v50, 1, v36, vcc
	v_cmp_eq_u32_e32 vcc, 0, v52
	v_dot4c_i32_i8_e32 v61, v48, v17
	s_nop 0
	v_cndmask_b32_e32 v52, v37, v38, vcc
	v_cmp_eq_u32_e32 vcc, 0, v53
	s_nop 1
	v_cndmask_b32_e32 v53, v39, v40, vcc
	v_cmp_gt_i16_sdwa vcc, sext(v49), v43 src0_sel:BYTE_0 src1_sel:DWORD
	s_nop 1
	v_cndmask_b32_e32 v49, v41, v42, vcc
	v_or_b32_e32 v49, v52, v49
	v_or3_b32 v49, v49, v50, v53
	v_cmp_eq_u32_e32 vcc, 0, v33
	v_and_b32_e32 v50, 2, v51
	v_and_b32_e32 v52, 4, v51
	v_cndmask_b32_e32 v33, 1, v36, vcc
	v_cmp_eq_u32_e32 vcc, 0, v50
	v_and_b32_e32 v53, 8, v51
	v_dot4c_i32_i8_e32 v61, v49, v18
	v_cndmask_b32_e32 v50, v37, v38, vcc
	v_cmp_eq_u32_e32 vcc, 0, v52
	v_or_b32_e32 v33, v33, v50
	s_nop 0
	v_cndmask_b32_e32 v52, v39, v40, vcc
	v_cmp_eq_u32_e32 vcc, 0, v53
	s_nop 1
	v_cndmask_b32_e32 v53, v41, v42, vcc
	v_or3_b32 v50, v33, v52, v53
	v_and_b32_e32 v33, 16, v51
	v_cmp_eq_u32_e32 vcc, 0, v33
	v_and_b32_e32 v52, 32, v51
	v_and_b32_e32 v53, 64, v51
	v_cndmask_b32_e32 v33, 1, v36, vcc
	v_cmp_eq_u32_e32 vcc, 0, v52
	v_dot4c_i32_i8_e32 v61, v50, v19
	s_nop 0
	v_cndmask_b32_e32 v52, v37, v38, vcc
	v_cmp_eq_u32_e32 vcc, 0, v53
	s_nop 1
	v_cndmask_b32_e32 v53, v39, v40, vcc
	v_cmp_gt_i16_sdwa vcc, sext(v51), v43 src0_sel:BYTE_0 src1_sel:DWORD
	s_nop 1
	v_cndmask_b32_e32 v51, v41, v42, vcc
	v_or_b32_e32 v51, v52, v51
	v_or3_b32 v51, v51, v33, v53
	v_add_u32_e32 v33, s8, v34
	v_mad_i64_i32 v[52:53], s[22:23], v33, 18, s[20:21]
	global_load_ushort v33, v[52:53], off
	v_lshl_add_u64 v[52:53], v[52:53], 0, v[26:27]
	global_load_dword v58, v[52:53], off offset:2
	v_dot4c_i32_i8_e32 v61, v51, v32
	v_add_u32_e32 v34, 16, v34
	s_waitcnt vmcnt(1)
	v_cvt_f32_f16_e32 v33, v33
	s_waitcnt vmcnt(0)
	v_and_b32_e32 v52, 1, v58
	v_cmp_eq_u32_e32 vcc, 0, v52
	v_and_b32_e32 v53, 2, v58
	v_and_b32_e32 v54, 4, v58
	v_cndmask_b32_e32 v52, 1, v36, vcc
	v_cmp_eq_u32_e32 vcc, 0, v53
	v_and_b32_e32 v56, 8, v58
	v_lshrrev_b32_e32 v55, 8, v58
	v_cndmask_b32_e32 v53, v37, v38, vcc
	v_cmp_eq_u32_e32 vcc, 0, v54
	v_or_b32_e32 v52, v52, v53
	v_and_b32_e32 v53, 16, v58
	v_cndmask_b32_e32 v54, v39, v40, vcc
	v_cmp_eq_u32_e32 vcc, 0, v56
	v_and_b32_e32 v63, 8, v55
	v_lshrrev_b32_e32 v57, 16, v58
	v_cndmask_b32_e32 v56, v41, v42, vcc
	v_or3_b32 v52, v52, v54, v56
	v_cmp_eq_u32_e32 vcc, 0, v53
	v_and_b32_e32 v54, 32, v58
	v_and_b32_e32 v56, 64, v58
	v_cndmask_b32_e32 v53, 1, v36, vcc
	v_cmp_eq_u32_e32 vcc, 0, v54
	v_and_b32_e32 v64, 8, v57
	v_lshrrev_b32_e32 v59, 24, v58
	v_cndmask_b32_e32 v54, v37, v38, vcc
	v_cmp_eq_u32_e32 vcc, 0, v56
	s_nop 1
	v_cndmask_b32_e32 v56, v39, v40, vcc
	v_cmp_gt_i16_sdwa vcc, sext(v58), v43 src0_sel:BYTE_0 src1_sel:DWORD
	s_nop 1
	v_cndmask_b32_e32 v62, v41, v42, vcc
	v_or_b32_e32 v54, v54, v62
	v_or3_b32 v53, v54, v53, v56
	v_bfe_u32 v54, v58, 8, 1
	v_cmp_eq_u32_e32 vcc, 0, v54
	v_and_b32_e32 v56, 2, v55
	v_and_b32_e32 v62, 4, v55
	v_cndmask_b32_e32 v54, 1, v36, vcc
	v_cmp_eq_u32_e32 vcc, 0, v56
	s_nop 1
	v_cndmask_b32_e32 v56, v37, v38, vcc
	v_cmp_eq_u32_e32 vcc, 0, v62
	v_or_b32_e32 v54, v54, v56
	v_and_b32_e32 v56, 16, v55
	v_cndmask_b32_e32 v62, v39, v40, vcc
	v_cmp_eq_u32_e32 vcc, 0, v63
	s_nop 1
	v_cndmask_b32_e32 v63, v41, v42, vcc
	v_or3_b32 v54, v54, v62, v63
	v_cmp_eq_u32_e32 vcc, 0, v56
	v_and_b32_e32 v62, 32, v55
	v_and_b32_e32 v63, 64, v55
	v_cndmask_b32_e32 v56, 1, v36, vcc
	v_cmp_eq_u32_e32 vcc, 0, v62
	s_nop 1
	v_cndmask_b32_e32 v62, v37, v38, vcc
	v_cmp_eq_u32_e32 vcc, 0, v63
	s_nop 1
	v_cndmask_b32_e32 v63, v39, v40, vcc
	v_cmp_gt_i16_sdwa vcc, sext(v55), v43 src0_sel:BYTE_0 src1_sel:DWORD
	s_nop 1
	v_cndmask_b32_e32 v55, v41, v42, vcc
	v_or_b32_e32 v55, v62, v55
	v_or3_b32 v55, v55, v56, v63
	v_bfe_u32 v56, v58, 16, 1
	v_cmp_eq_u32_e32 vcc, 0, v56
	v_and_b32_e32 v62, 2, v57
	v_and_b32_e32 v63, 4, v57
	v_cndmask_b32_e32 v56, 1, v36, vcc
	v_cmp_eq_u32_e32 vcc, 0, v62
	v_bfe_u32 v58, v58, 24, 1
	s_nop 0
	v_cndmask_b32_e32 v62, v37, v38, vcc
	v_cmp_eq_u32_e32 vcc, 0, v63
	v_or_b32_e32 v56, v56, v62
	v_and_b32_e32 v62, 16, v57
	v_cndmask_b32_e32 v63, v39, v40, vcc
	v_cmp_eq_u32_e32 vcc, 0, v64
	s_nop 1
	v_cndmask_b32_e32 v64, v41, v42, vcc
	v_or3_b32 v56, v56, v63, v64
	v_cmp_eq_u32_e32 vcc, 0, v62
	v_and_b32_e32 v63, 32, v57
	v_and_b32_e32 v64, 64, v57
	v_cndmask_b32_e32 v62, 1, v36, vcc
	v_cmp_eq_u32_e32 vcc, 0, v63
	s_nop 1
	v_cndmask_b32_e32 v63, v37, v38, vcc
	v_cmp_eq_u32_e32 vcc, 0, v64
	s_nop 1
	v_cndmask_b32_e32 v64, v39, v40, vcc
	v_cmp_gt_i16_sdwa vcc, sext(v57), v43 src0_sel:BYTE_0 src1_sel:DWORD
	s_nop 1
	v_cndmask_b32_e32 v57, v41, v42, vcc
	v_or_b32_e32 v57, v63, v57
	v_or3_b32 v57, v57, v62, v64
	v_cmp_eq_u32_e32 vcc, 0, v58
	v_and_b32_e32 v62, 2, v59
	v_and_b32_e32 v63, 4, v59
	v_cndmask_b32_e32 v58, 1, v36, vcc
	v_cmp_eq_u32_e32 vcc, 0, v62
	v_and_b32_e32 v64, 8, v59
	s_nop 0
	v_cndmask_b32_e32 v62, v37, v38, vcc
	v_cmp_eq_u32_e32 vcc, 0, v63
	v_or_b32_e32 v58, v58, v62
	v_and_b32_e32 v62, 16, v59
	v_cndmask_b32_e32 v63, v39, v40, vcc
	v_cmp_eq_u32_e32 vcc, 0, v64
	s_nop 1
	v_cndmask_b32_e32 v64, v41, v42, vcc
	v_or3_b32 v58, v58, v63, v64
	v_cmp_eq_u32_e32 vcc, 0, v62
	v_and_b32_e32 v63, 32, v59
	v_and_b32_e32 v64, 64, v59
	v_cndmask_b32_e32 v62, 1, v36, vcc
	v_cmp_eq_u32_e32 vcc, 0, v63
	s_nop 1
	v_cndmask_b32_e32 v63, v37, v38, vcc
	v_cmp_eq_u32_e32 vcc, 0, v64
	s_nop 1
	v_cndmask_b32_e32 v64, v39, v40, vcc
	v_cmp_gt_i16_sdwa vcc, sext(v59), v43 src0_sel:BYTE_0 src1_sel:DWORD
	s_nop 1
	v_cndmask_b32_e32 v59, v41, v42, vcc
	v_or_b32_e32 v59, v63, v59
	v_or3_b32 v59, v59, v62, v64
	v_mov_b32_e32 v62, 0
	v_dot4c_i32_i8_e32 v62, v52, v21
	v_dot4c_i32_i8_e32 v62, v53, v22
	;; [unrolled: 1-line block ×8, first 2 shown]
	v_cvt_f32_f16_e32 v32, v60
	v_cvt_f32_i32_e32 v18, v61
	v_cmp_le_u32_e32 vcc, s5, v34
	v_cvt_f32_i32_e32 v19, v62
	v_pk_mul_f32 v[16:17], v[20:21], v[32:33] op_sel_hi:[0,1]
	v_pk_fma_f32 v[12:13], v[16:17], v[18:19], v[12:13]
	v_add_u32_e32 v16, s9, v35
	v_mad_u64_u32 v[60:61], s[22:23], v16, 36, v[28:29]
	global_load_dword v62, v[60:61], off offset:32
	global_load_dwordx4 v[16:19], v[60:61], off offset:16
	global_load_dwordx4 v[20:23], v[60:61], off
	v_mov_b32_e32 v60, 0
	v_mov_b32_e32 v61, 0
	s_add_i32 s9, s9, 64
	s_waitcnt vmcnt(0)
	v_dot4c_i32_i8_e32 v60, v44, v21
	v_dot4c_i32_i8_e32 v61, v52, v21
	v_dot4c_i32_i8_e32 v60, v45, v22
	v_dot4c_i32_i8_e32 v61, v53, v22
	v_dot4c_i32_i8_e32 v60, v46, v23
	v_dot4c_i32_i8_e32 v61, v54, v23
	v_dot4c_i32_i8_e32 v60, v47, v16
	v_dot4c_i32_i8_e32 v61, v55, v16
	v_dot4c_i32_i8_e32 v60, v48, v17
	v_dot4c_i32_i8_e32 v61, v56, v17
	v_dot4c_i32_i8_e32 v60, v49, v18
	v_dot4c_i32_i8_e32 v61, v57, v18
	v_dot4c_i32_i8_e32 v60, v50, v19
	v_dot4c_i32_i8_e32 v61, v58, v19
	v_cvt_f32_f16_e32 v20, v20
	v_dot4c_i32_i8_e32 v60, v51, v62
	v_dot4c_i32_i8_e32 v61, v59, v62
	v_pk_mul_f32 v[16:17], v[20:21], v[32:33] op_sel_hi:[0,1]
	s_nop 0
	v_cvt_f32_i32_e32 v18, v60
	v_cvt_f32_i32_e32 v19, v61
	v_pk_fma_f32 v[14:15], v[16:17], v[18:19], v[14:15]
	v_add_u32_e32 v16, s11, v35
	v_mad_u64_u32 v[60:61], s[22:23], v16, 36, v[28:29]
	global_load_dword v62, v[60:61], off offset:32
	global_load_dwordx4 v[16:19], v[60:61], off offset:16
	global_load_dwordx4 v[20:23], v[60:61], off
	v_mov_b32_e32 v60, 0
	v_mov_b32_e32 v61, 0
	s_add_i32 s11, s11, 64
	s_waitcnt vmcnt(0)
	v_dot4c_i32_i8_e32 v60, v44, v21
	v_dot4c_i32_i8_e32 v61, v52, v21
	v_dot4c_i32_i8_e32 v60, v45, v22
	v_dot4c_i32_i8_e32 v61, v53, v22
	v_dot4c_i32_i8_e32 v60, v46, v23
	v_dot4c_i32_i8_e32 v61, v54, v23
	v_dot4c_i32_i8_e32 v60, v47, v16
	v_dot4c_i32_i8_e32 v61, v55, v16
	v_dot4c_i32_i8_e32 v60, v48, v17
	v_dot4c_i32_i8_e32 v61, v56, v17
	v_dot4c_i32_i8_e32 v60, v49, v18
	v_dot4c_i32_i8_e32 v61, v57, v18
	v_dot4c_i32_i8_e32 v60, v50, v19
	v_dot4c_i32_i8_e32 v61, v58, v19
	v_cvt_f32_f16_e32 v20, v20
	v_dot4c_i32_i8_e32 v60, v51, v62
	v_dot4c_i32_i8_e32 v61, v59, v62
	v_pk_mul_f32 v[16:17], v[20:21], v[32:33] op_sel_hi:[0,1]
	s_nop 0
	v_cvt_f32_i32_e32 v18, v60
	v_cvt_f32_i32_e32 v19, v61
	;; [unrolled: 31-line block ×5, first 2 shown]
	v_pk_fma_f32 v[6:7], v[16:17], v[18:19], v[6:7]
	v_add_u32_e32 v16, s25, v35
	v_mad_u64_u32 v[60:61], s[22:23], v16, 36, v[28:29]
	global_load_dword v62, v[60:61], off offset:32
	global_load_dwordx4 v[16:19], v[60:61], off offset:16
	global_load_dwordx4 v[20:23], v[60:61], off
	v_mov_b32_e32 v60, 0
	v_mov_b32_e32 v61, 0
	s_add_i32 s25, s25, 64
	s_waitcnt vmcnt(0)
	v_dot4c_i32_i8_e32 v60, v44, v21
	v_dot4c_i32_i8_e32 v61, v52, v21
	;; [unrolled: 1-line block ×14, first 2 shown]
	v_cvt_f32_f16_e32 v20, v20
	v_dot4c_i32_i8_e32 v60, v51, v62
	v_dot4c_i32_i8_e32 v61, v59, v62
	v_mov_b32_e32 v23, 0
	v_pk_mul_f32 v[16:17], v[20:21], v[32:33] op_sel_hi:[0,1]
	v_cvt_f32_i32_e32 v18, v60
	v_cvt_f32_i32_e32 v19, v61
	v_pk_fma_f32 v[0:1], v[16:17], v[18:19], v[0:1]
	v_add_u32_e32 v16, s24, v35
	v_mad_u64_u32 v[16:17], s[22:23], v16, 36, v[28:29]
	global_load_dword v22, v[16:17], off offset:32
	global_load_dwordx4 v[18:21], v[16:17], off offset:16
	global_load_dwordx4 v[60:63], v[16:17], off
	s_add_i32 s24, s24, 64
	s_or_b64 s[12:13], vcc, s[12:13]
	s_waitcnt vmcnt(0)
	v_dot4c_i32_i8_e32 v23, v44, v61
	v_mov_b32_e32 v44, 0
	v_dot4c_i32_i8_e32 v44, v52, v61
	v_dot4c_i32_i8_e32 v23, v45, v62
	;; [unrolled: 1-line block ×13, first 2 shown]
	v_cvt_f32_f16_e32 v16, v60
	v_dot4c_i32_i8_e32 v23, v51, v22
	v_dot4c_i32_i8_e32 v44, v59, v22
	v_pk_mul_f32 v[16:17], v[16:17], v[32:33] op_sel_hi:[0,1]
	s_nop 0
	v_cvt_f32_i32_e32 v18, v23
	v_cvt_f32_i32_e32 v19, v44
	v_pk_fma_f32 v[2:3], v[16:17], v[18:19], v[2:3]
	s_andn2_b64 exec, exec, s[12:13]
	s_cbranch_execnz .LBB11_2
; %bb.3:
	s_or_b64 exec, exec, s[12:13]
	scratch_store_dwordx4 off, v[12:15], off
	scratch_store_dwordx4 off, v[8:11], off offset:16
	scratch_store_dwordx4 off, v[4:7], off offset:32
	scratch_store_dwordx4 off, v[0:3], off offset:48
.LBB11_4:
	s_or_b64 exec, exec, s[6:7]
	s_mov_b32 s5, 0
	v_cmp_eq_u32_e32 vcc, 0, v25
	s_waitcnt lgkmcnt(0)
	; wave barrier
	s_and_saveexec_b64 s[6:7], vcc
	s_cbranch_execz .LBB11_21
; %bb.5:
	scratch_load_dwordx2 v[2:3], off, off
	v_mbcnt_lo_u32_b32 v0, -1, 0
	v_mbcnt_hi_u32_b32 v12, -1, v0
	s_load_dwordx2 s[6:7], s[0:1], 0x38
	s_mul_i32 s0, s3, s14
	v_or_b32_e32 v1, s2, v24
	v_and_b32_e32 v0, 64, v12
	s_mul_i32 s4, s4, s18
	s_add_i32 s2, s0, s2
	v_cmp_gt_u32_e64 s[0:1], s10, v1
	v_xor_b32_e32 v1, 32, v12
	v_add_u32_e32 v13, 64, v0
	s_add_i32 s4, s2, s4
	v_cmp_lt_i32_e64 s[2:3], v1, v13
	v_cmp_gt_u32_e32 vcc, 2, v24
	s_nop 0
	v_cndmask_b32_e64 v0, v12, v1, s[2:3]
	v_lshlrev_b32_e32 v0, 2, v0
	v_xor_b32_e32 v1, 16, v12
	v_cmp_lt_i32_e64 s[2:3], v1, v13
	s_waitcnt vmcnt(0)
	ds_bpermute_b32 v4, v0, v2
	ds_bpermute_b32 v5, v0, v3
	v_cndmask_b32_e64 v1, v12, v1, s[2:3]
	v_lshlrev_b32_e32 v1, 2, v1
	s_waitcnt lgkmcnt(0)
	v_pk_add_f32 v[4:5], v[2:3], v[4:5]
	ds_bpermute_b32 v6, v1, v4
	ds_bpermute_b32 v7, v1, v5
	v_xor_b32_e32 v2, 8, v12
	v_cmp_lt_i32_e64 s[2:3], v2, v13
	v_xor_b32_e32 v3, 4, v12
	s_waitcnt lgkmcnt(0)
	v_pk_add_f32 v[4:5], v[4:5], v[6:7]
	v_cndmask_b32_e64 v2, v12, v2, s[2:3]
	v_lshlrev_b32_e32 v2, 2, v2
	ds_bpermute_b32 v6, v2, v4
	ds_bpermute_b32 v7, v2, v5
	v_cmp_lt_i32_e64 s[2:3], v3, v13
	s_waitcnt lgkmcnt(0)
	v_pk_add_f32 v[6:7], v[4:5], v[6:7]
	v_cndmask_b32_e64 v3, v12, v3, s[2:3]
	v_lshlrev_b32_e32 v3, 2, v3
	ds_bpermute_b32 v8, v3, v6
	ds_bpermute_b32 v9, v3, v7
	v_xor_b32_e32 v4, 2, v12
	v_cmp_lt_i32_e64 s[2:3], v4, v13
	v_xor_b32_e32 v5, 1, v12
	s_waitcnt lgkmcnt(0)
	v_pk_add_f32 v[8:9], v[6:7], v[8:9]
	v_cndmask_b32_e64 v4, v12, v4, s[2:3]
	v_lshlrev_b32_e32 v4, 2, v4
	ds_bpermute_b32 v10, v4, v8
	ds_bpermute_b32 v11, v4, v9
	v_cmp_lt_i32_e64 s[2:3], v5, v13
	s_waitcnt lgkmcnt(0)
	v_pk_add_f32 v[8:9], v[8:9], v[10:11]
	v_cndmask_b32_e64 v5, v12, v5, s[2:3]
	v_lshlrev_b32_e32 v6, 2, v5
	ds_bpermute_b32 v10, v6, v8
	ds_bpermute_b32 v11, v6, v9
	s_lshl_b64 s[2:3], s[4:5], 2
	s_add_u32 s2, s6, s2
	s_addc_u32 s3, s7, s3
	s_and_b64 s[0:1], vcc, s[0:1]
	s_waitcnt lgkmcnt(0)
	v_pk_add_f32 v[8:9], v[8:9], v[10:11]
	v_lshlrev_b32_e32 v5, 2, v24
	scratch_store_dwordx2 off, v[8:9], off
	s_and_saveexec_b64 s[4:5], s[0:1]
	s_cbranch_execz .LBB11_7
; %bb.6:
	scratch_load_dword v7, v5, off
	s_waitcnt vmcnt(0)
	global_store_dword v5, v7, s[2:3]
.LBB11_7:
	s_or_b64 exec, exec, s[4:5]
	scratch_load_dwordx2 v[8:9], off, off offset:8
	s_waitcnt vmcnt(0)
	ds_bpermute_b32 v10, v0, v8
	ds_bpermute_b32 v11, v0, v9
	s_waitcnt lgkmcnt(0)
	v_pk_add_f32 v[8:9], v[8:9], v[10:11]
	ds_bpermute_b32 v10, v1, v8
	ds_bpermute_b32 v11, v1, v9
	s_waitcnt lgkmcnt(0)
	v_pk_add_f32 v[8:9], v[8:9], v[10:11]
	;; [unrolled: 4-line block ×6, first 2 shown]
	scratch_store_dwordx2 off, v[8:9], off offset:8
	s_and_saveexec_b64 s[4:5], s[0:1]
	s_cbranch_execz .LBB11_9
; %bb.8:
	scratch_load_dword v7, v5, off offset:8
	v_add_u32_e32 v8, s10, v24
	v_mov_b32_e32 v9, 0
	v_lshl_add_u64 v[8:9], v[8:9], 2, s[2:3]
	s_waitcnt vmcnt(0)
	global_store_dword v[8:9], v7, off
.LBB11_9:
	s_or_b64 exec, exec, s[4:5]
	scratch_load_dwordx2 v[8:9], off, off offset:16
	s_waitcnt vmcnt(0)
	ds_bpermute_b32 v10, v0, v8
	ds_bpermute_b32 v11, v0, v9
	s_waitcnt lgkmcnt(0)
	v_pk_add_f32 v[8:9], v[8:9], v[10:11]
	ds_bpermute_b32 v10, v1, v8
	ds_bpermute_b32 v11, v1, v9
	s_waitcnt lgkmcnt(0)
	v_pk_add_f32 v[8:9], v[8:9], v[10:11]
	;; [unrolled: 4-line block ×6, first 2 shown]
	scratch_store_dwordx2 off, v[8:9], off offset:16
	s_and_saveexec_b64 s[4:5], s[0:1]
	s_cbranch_execz .LBB11_11
; %bb.10:
	scratch_load_dword v7, v5, off offset:16
	v_lshl_or_b32 v8, s10, 1, v24
	v_mov_b32_e32 v9, 0
	v_lshl_add_u64 v[8:9], v[8:9], 2, s[2:3]
	s_waitcnt vmcnt(0)
	global_store_dword v[8:9], v7, off
.LBB11_11:
	s_or_b64 exec, exec, s[4:5]
	scratch_load_dwordx2 v[8:9], off, off offset:24
	s_waitcnt vmcnt(0)
	ds_bpermute_b32 v10, v0, v8
	ds_bpermute_b32 v11, v0, v9
	s_waitcnt lgkmcnt(0)
	v_pk_add_f32 v[8:9], v[8:9], v[10:11]
	ds_bpermute_b32 v10, v1, v8
	ds_bpermute_b32 v11, v1, v9
	s_waitcnt lgkmcnt(0)
	v_pk_add_f32 v[8:9], v[8:9], v[10:11]
	;; [unrolled: 4-line block ×6, first 2 shown]
	scratch_store_dwordx2 off, v[8:9], off offset:24
	s_and_saveexec_b64 s[4:5], s[0:1]
	s_cbranch_execz .LBB11_13
; %bb.12:
	scratch_load_dword v7, v5, off offset:24
	v_mad_u64_u32 v[8:9], s[6:7], s10, 3, v[24:25]
	v_mov_b32_e32 v9, 0
	v_lshl_add_u64 v[8:9], v[8:9], 2, s[2:3]
	s_waitcnt vmcnt(0)
	global_store_dword v[8:9], v7, off
.LBB11_13:
	s_or_b64 exec, exec, s[4:5]
	scratch_load_dwordx2 v[8:9], off, off offset:32
	s_waitcnt vmcnt(0)
	ds_bpermute_b32 v10, v0, v8
	ds_bpermute_b32 v11, v0, v9
	s_waitcnt lgkmcnt(0)
	v_pk_add_f32 v[8:9], v[8:9], v[10:11]
	ds_bpermute_b32 v10, v1, v8
	ds_bpermute_b32 v11, v1, v9
	s_waitcnt lgkmcnt(0)
	v_pk_add_f32 v[8:9], v[8:9], v[10:11]
	ds_bpermute_b32 v10, v2, v8
	ds_bpermute_b32 v11, v2, v9
	s_waitcnt lgkmcnt(0)
	v_pk_add_f32 v[8:9], v[8:9], v[10:11]
	ds_bpermute_b32 v10, v3, v8
	ds_bpermute_b32 v11, v3, v9
	s_waitcnt lgkmcnt(0)
	v_pk_add_f32 v[8:9], v[8:9], v[10:11]
	ds_bpermute_b32 v10, v4, v8
	ds_bpermute_b32 v11, v4, v9
	s_waitcnt lgkmcnt(0)
	v_pk_add_f32 v[8:9], v[8:9], v[10:11]
	ds_bpermute_b32 v10, v6, v8
	ds_bpermute_b32 v11, v6, v9
	s_waitcnt lgkmcnt(0)
	v_pk_add_f32 v[8:9], v[8:9], v[10:11]
	scratch_store_dwordx2 off, v[8:9], off offset:32
	s_and_saveexec_b64 s[4:5], s[0:1]
	s_cbranch_execz .LBB11_15
; %bb.14:
	scratch_load_dword v7, v5, off offset:32
	v_lshl_or_b32 v8, s10, 2, v24
	v_mov_b32_e32 v9, 0
	v_lshl_add_u64 v[8:9], v[8:9], 2, s[2:3]
	s_waitcnt vmcnt(0)
	global_store_dword v[8:9], v7, off
.LBB11_15:
	s_or_b64 exec, exec, s[4:5]
	scratch_load_dwordx2 v[8:9], off, off offset:40
	s_waitcnt vmcnt(0)
	ds_bpermute_b32 v10, v0, v8
	ds_bpermute_b32 v11, v0, v9
	s_waitcnt lgkmcnt(0)
	v_pk_add_f32 v[8:9], v[8:9], v[10:11]
	ds_bpermute_b32 v10, v1, v8
	ds_bpermute_b32 v11, v1, v9
	s_waitcnt lgkmcnt(0)
	v_pk_add_f32 v[8:9], v[8:9], v[10:11]
	;; [unrolled: 4-line block ×6, first 2 shown]
	scratch_store_dwordx2 off, v[8:9], off offset:40
	s_and_saveexec_b64 s[4:5], s[0:1]
	s_cbranch_execz .LBB11_17
; %bb.16:
	scratch_load_dword v7, v5, off offset:40
	v_mad_u64_u32 v[8:9], s[6:7], s10, 5, v[24:25]
	v_mov_b32_e32 v9, 0
	v_lshl_add_u64 v[8:9], v[8:9], 2, s[2:3]
	s_waitcnt vmcnt(0)
	global_store_dword v[8:9], v7, off
.LBB11_17:
	s_or_b64 exec, exec, s[4:5]
	scratch_load_dwordx2 v[8:9], off, off offset:48
	s_waitcnt vmcnt(0)
	ds_bpermute_b32 v10, v0, v8
	ds_bpermute_b32 v11, v0, v9
	s_waitcnt lgkmcnt(0)
	v_pk_add_f32 v[8:9], v[8:9], v[10:11]
	ds_bpermute_b32 v10, v1, v8
	ds_bpermute_b32 v11, v1, v9
	s_waitcnt lgkmcnt(0)
	v_pk_add_f32 v[8:9], v[8:9], v[10:11]
	;; [unrolled: 4-line block ×6, first 2 shown]
	scratch_store_dwordx2 off, v[8:9], off offset:48
	s_and_saveexec_b64 s[4:5], s[0:1]
	s_cbranch_execz .LBB11_19
; %bb.18:
	scratch_load_dword v7, v5, off offset:48
	s_mul_i32 s6, s10, 6
	v_or_b32_e32 v8, s6, v24
	v_mov_b32_e32 v9, 0
	v_lshl_add_u64 v[8:9], v[8:9], 2, s[2:3]
	s_waitcnt vmcnt(0)
	global_store_dword v[8:9], v7, off
.LBB11_19:
	s_or_b64 exec, exec, s[4:5]
	scratch_load_dwordx2 v[8:9], off, off offset:56
	s_waitcnt vmcnt(0)
	ds_bpermute_b32 v10, v0, v8
	ds_bpermute_b32 v11, v0, v9
	s_waitcnt lgkmcnt(0)
	v_pk_add_f32 v[8:9], v[8:9], v[10:11]
	ds_bpermute_b32 v0, v1, v8
	ds_bpermute_b32 v1, v1, v9
	s_waitcnt lgkmcnt(0)
	v_pk_add_f32 v[0:1], v[8:9], v[0:1]
	;; [unrolled: 4-line block ×6, first 2 shown]
	scratch_store_dwordx2 off, v[0:1], off offset:56
	s_and_b64 exec, exec, s[0:1]
	s_cbranch_execz .LBB11_21
; %bb.20:
	scratch_load_dword v2, v5, off offset:56
	v_mad_u64_u32 v[0:1], s[0:1], s10, 7, v[24:25]
	v_mov_b32_e32 v1, 0
	v_lshl_add_u64 v[0:1], v[0:1], 2, s[2:3]
	s_waitcnt vmcnt(0)
	global_store_dword v[0:1], v2, off
.LBB11_21:
	s_endpgm
	.section	.rodata,"a",@progbits
	.p2align	6, 0x0
	.amdhsa_kernel _ZL13mul_mat_vec_qIL9ggml_type41ELi8ELb0ELb0EEvPKvS2_PKi31ggml_cuda_mm_fusion_args_devicePfj15HIP_vector_typeIjLj3EEjjjS8_jjjS8_jjjj
		.amdhsa_group_segment_fixed_size 0
		.amdhsa_private_segment_fixed_size 80
		.amdhsa_kernarg_size 144
		.amdhsa_user_sgpr_count 2
		.amdhsa_user_sgpr_dispatch_ptr 0
		.amdhsa_user_sgpr_queue_ptr 0
		.amdhsa_user_sgpr_kernarg_segment_ptr 1
		.amdhsa_user_sgpr_dispatch_id 0
		.amdhsa_user_sgpr_kernarg_preload_length 0
		.amdhsa_user_sgpr_kernarg_preload_offset 0
		.amdhsa_user_sgpr_private_segment_size 0
		.amdhsa_uses_dynamic_stack 0
		.amdhsa_enable_private_segment 1
		.amdhsa_system_sgpr_workgroup_id_x 1
		.amdhsa_system_sgpr_workgroup_id_y 1
		.amdhsa_system_sgpr_workgroup_id_z 1
		.amdhsa_system_sgpr_workgroup_info 0
		.amdhsa_system_vgpr_workitem_id 1
		.amdhsa_next_free_vgpr 65
		.amdhsa_next_free_sgpr 29
		.amdhsa_accum_offset 68
		.amdhsa_reserve_vcc 1
		.amdhsa_float_round_mode_32 0
		.amdhsa_float_round_mode_16_64 0
		.amdhsa_float_denorm_mode_32 3
		.amdhsa_float_denorm_mode_16_64 3
		.amdhsa_dx10_clamp 1
		.amdhsa_ieee_mode 1
		.amdhsa_fp16_overflow 0
		.amdhsa_tg_split 0
		.amdhsa_exception_fp_ieee_invalid_op 0
		.amdhsa_exception_fp_denorm_src 0
		.amdhsa_exception_fp_ieee_div_zero 0
		.amdhsa_exception_fp_ieee_overflow 0
		.amdhsa_exception_fp_ieee_underflow 0
		.amdhsa_exception_fp_ieee_inexact 0
		.amdhsa_exception_int_div_zero 0
	.end_amdhsa_kernel
	.section	.text._ZL13mul_mat_vec_qIL9ggml_type41ELi8ELb0ELb0EEvPKvS2_PKi31ggml_cuda_mm_fusion_args_devicePfj15HIP_vector_typeIjLj3EEjjjS8_jjjS8_jjjj,"axG",@progbits,_ZL13mul_mat_vec_qIL9ggml_type41ELi8ELb0ELb0EEvPKvS2_PKi31ggml_cuda_mm_fusion_args_devicePfj15HIP_vector_typeIjLj3EEjjjS8_jjjS8_jjjj,comdat
.Lfunc_end11:
	.size	_ZL13mul_mat_vec_qIL9ggml_type41ELi8ELb0ELb0EEvPKvS2_PKi31ggml_cuda_mm_fusion_args_devicePfj15HIP_vector_typeIjLj3EEjjjS8_jjjS8_jjjj, .Lfunc_end11-_ZL13mul_mat_vec_qIL9ggml_type41ELi8ELb0ELb0EEvPKvS2_PKi31ggml_cuda_mm_fusion_args_devicePfj15HIP_vector_typeIjLj3EEjjjS8_jjjS8_jjjj
                                        ; -- End function
	.section	.AMDGPU.csdata,"",@progbits
; Kernel info:
; codeLenInByte = 5116
; NumSgprs: 35
; NumVgprs: 65
; NumAgprs: 0
; TotalNumVgprs: 65
; ScratchSize: 80
; MemoryBound: 0
; FloatMode: 240
; IeeeMode: 1
; LDSByteSize: 0 bytes/workgroup (compile time only)
; SGPRBlocks: 4
; VGPRBlocks: 8
; NumSGPRsForWavesPerEU: 35
; NumVGPRsForWavesPerEU: 65
; AccumOffset: 68
; Occupancy: 7
; WaveLimiterHint : 0
; COMPUTE_PGM_RSRC2:SCRATCH_EN: 1
; COMPUTE_PGM_RSRC2:USER_SGPR: 2
; COMPUTE_PGM_RSRC2:TRAP_HANDLER: 0
; COMPUTE_PGM_RSRC2:TGID_X_EN: 1
; COMPUTE_PGM_RSRC2:TGID_Y_EN: 1
; COMPUTE_PGM_RSRC2:TGID_Z_EN: 1
; COMPUTE_PGM_RSRC2:TIDIG_COMP_CNT: 1
; COMPUTE_PGM_RSRC3_GFX90A:ACCUM_OFFSET: 16
; COMPUTE_PGM_RSRC3_GFX90A:TG_SPLIT: 0
	.section	.text._ZL17mul_mat_vec_q_moeIL9ggml_type2ELi2EEvPKvS2_PKiPfj15HIP_vector_typeIjLj3EEjjjjjjjjj,"axG",@progbits,_ZL17mul_mat_vec_q_moeIL9ggml_type2ELi2EEvPKvS2_PKiPfj15HIP_vector_typeIjLj3EEjjjjjjjjj,comdat
	.globl	_ZL17mul_mat_vec_q_moeIL9ggml_type2ELi2EEvPKvS2_PKiPfj15HIP_vector_typeIjLj3EEjjjjjjjjj ; -- Begin function _ZL17mul_mat_vec_q_moeIL9ggml_type2ELi2EEvPKvS2_PKiPfj15HIP_vector_typeIjLj3EEjjjjjjjjj
	.p2align	8
	.type	_ZL17mul_mat_vec_q_moeIL9ggml_type2ELi2EEvPKvS2_PKiPfj15HIP_vector_typeIjLj3EEjjjjjjjjj,@function
_ZL17mul_mat_vec_q_moeIL9ggml_type2ELi2EEvPKvS2_PKiPfj15HIP_vector_typeIjLj3EEjjjjjjjjj: ; @_ZL17mul_mat_vec_q_moeIL9ggml_type2ELi2EEvPKvS2_PKiPfj15HIP_vector_typeIjLj3EEjjjjjjjjj
; %bb.0:
	s_load_dwordx8 s[4:11], s[0:1], 0x30
	v_bfe_u32 v10, v0, 10, 10
	s_waitcnt lgkmcnt(0)
	v_cmp_gt_u32_e32 vcc, s11, v10
	s_and_saveexec_b64 s[12:13], vcc
	s_cbranch_execz .LBB12_7
; %bb.1:
	s_load_dword s11, s[0:1], 0x20
	s_load_dword s20, s[0:1], 0x50
	s_load_dwordx8 s[12:19], s[0:1], 0x0
	v_and_b32_e32 v11, 0x3ff, v0
	v_lshrrev_b32_e32 v12, 1, v11
	s_waitcnt lgkmcnt(0)
	s_lshr_b32 s11, s11, 5
	s_lshl_b32 s2, s2, 1
	v_cmp_gt_u32_e32 vcc, s11, v12
	v_mov_b32_e32 v1, 0
	v_mov_b32_e32 v0, 0
	s_and_saveexec_b64 s[24:25], vcc
	s_cbranch_execz .LBB12_5
; %bb.2:
	v_mul_lo_u32 v2, v10, s20
	v_mov_b32_e32 v0, s16
	v_mov_b32_e32 v1, s17
	v_add_u32_e32 v2, s3, v2
	v_mov_b32_e32 v3, 0
	v_lshl_add_u64 v[0:1], v[2:3], 2, v[0:1]
	global_load_dword v1, v[0:1], off
	s_load_dwordx4 s[20:23], s[0:1], 0x24
	v_mul_lo_u32 v0, v10, s6
	v_lshlrev_b32_e32 v2, 2, v11
	v_lshrrev_b32_e32 v13, 1, v11
	v_mad_u64_u32 v[8:9], s[26:27], v0, 36, 0
	s_waitcnt lgkmcnt(0)
	s_mul_hi_u32 s20, s20, s3
	s_add_i32 s20, s3, s20
	s_lshr_b32 s20, s20, s21
	s_mul_i32 s20, s20, s22
	s_sub_i32 s20, s3, s20
	s_mul_i32 s9, s20, s9
	s_mul_hi_u32 s20, s9, 36
	s_mul_i32 s9, s9, 36
	s_add_u32 s14, s14, s9
	s_addc_u32 s15, s15, s20
	s_add_i32 s9, s2, 1
	s_mul_i32 s6, s2, s5
	v_and_b32_e32 v6, 1, v11
	v_and_b32_e32 v4, 4, v2
	v_mad_u64_u32 v[8:9], s[26:27], v13, 36, v[8:9]
	s_mul_i32 s5, s5, s9
	s_mov_b64 s[0:1], 0
	v_mov_b32_e32 v5, 4.0
	s_mov_b64 s[16:17], 0x480
	v_mov_b32_e32 v7, v3
	v_mov_b32_e32 v0, v3
	v_lshlrev_b32_e32 v2, 3, v6
	v_lshlrev_b32_e32 v6, 1, v4
	v_lshl_add_u64 v[8:9], s[14:15], 0, v[8:9]
	s_waitcnt vmcnt(0)
	v_mul_lo_u32 v1, v1, s8
	v_add_u32_e32 v13, s5, v1
	v_add_u32_e32 v14, s6, v1
	v_mov_b32_e32 v1, v3
.LBB12_3:                               ; =>This Inner Loop Header: Depth=1
	v_lshl_add_u64 v[16:17], v[8:9], 0, v[2:3]
	v_add_u32_e32 v4, v14, v12
	v_add_u32_e32 v15, v13, v12
	global_load_dwordx2 v[18:19], v[16:17], off offset:4
	global_load_dwordx2 v[20:21], v[16:17], off offset:20
	v_mad_i64_i32 v[16:17], s[8:9], v4, 18, s[12:13]
	v_mad_i64_i32 v[22:23], s[8:9], v15, 18, s[12:13]
	v_lshl_add_u64 v[24:25], v[16:17], 0, v[6:7]
	v_lshl_add_u64 v[26:27], v[22:23], 0, v[6:7]
	global_load_dword v4, v[24:25], off offset:2
	global_load_dword v15, v[24:25], off offset:6
	;; [unrolled: 1-line block ×4, first 2 shown]
	global_load_dword v30, v[8:9], off
	global_load_ushort v31, v[22:23], off
	global_load_ushort v32, v[16:17], off
	v_mov_b32_e32 v22, 0
	v_mov_b32_e32 v23, 0
	v_add_u32_e32 v12, 32, v12
	v_cmp_le_u32_e32 vcc, s11, v12
	v_lshl_add_u64 v[8:9], v[8:9], 0, s[16:17]
	s_or_b64 s[0:1], vcc, s[0:1]
	s_waitcnt vmcnt(6)
	v_and_b32_e32 v24, 0xf0f0f0f, v4
	v_lshrrev_b32_e32 v4, 4, v4
	v_dot4c_i32_i8_e32 v22, v24, v18
	s_waitcnt vmcnt(3)
	v_and_b32_e32 v26, 0xf0f0f0f, v29
	v_lshrrev_b32_e32 v27, 4, v29
	v_and_b32_e32 v24, 0xf0f0f0f, v27
	v_dot4c_i32_i8_e32 v23, v26, v18
	v_and_b32_e32 v29, 0xf0f0f0f, v28
	v_lshrrev_b32_e32 v28, 4, v28
	v_and_b32_e32 v4, 0xf0f0f0f, v4
	v_dot4c_i32_i8_e32 v23, v24, v20
	;; [unrolled: 4-line block ×3, first 2 shown]
	v_dot4c_i32_i8_e32 v23, v29, v19
	v_and_b32_e32 v15, 0xf0f0f0f, v15
	v_dot4c_i32_i8_e32 v22, v25, v19
	v_dot4c_i32_i8_e32 v23, v18, v21
	s_waitcnt vmcnt(2)
	v_cvt_f32_f16_sdwa v17, v30 dst_sel:DWORD dst_unused:UNUSED_PAD src0_sel:WORD_1
	v_cvt_f32_f16_e32 v16, v30
	v_dot4c_i32_i8_e32 v22, v15, v21
	v_cvt_f32_i32_e32 v4, v23
	v_pk_mul_f32 v[16:17], v[4:5], v[16:17]
	s_nop 0
	v_cvt_f32_i32_e32 v15, v22
	v_fma_mix_f32 v4, v30, v15, -v17 op_sel_hi:[1,0,0]
	v_sub_f32_e32 v15, v16, v17
	s_waitcnt vmcnt(0)
	v_fma_mix_f32 v0, v4, v32, v0 op_sel_hi:[0,1,0]
	v_fma_mix_f32 v1, v15, v31, v1 op_sel_hi:[0,1,0]
	s_andn2_b64 exec, exec, s[0:1]
	s_cbranch_execnz .LBB12_3
; %bb.4:
	s_or_b64 exec, exec, s[0:1]
.LBB12_5:
	s_or_b64 exec, exec, s[24:25]
	v_mbcnt_lo_u32_b32 v2, -1, 0
	v_mbcnt_hi_u32_b32 v4, -1, v2
	v_and_b32_e32 v2, 64, v4
	v_add_u32_e32 v5, 64, v2
	v_xor_b32_e32 v2, 32, v4
	v_cmp_lt_i32_e32 vcc, v2, v5
	v_xor_b32_e32 v6, 16, v4
	s_nop 0
	v_cndmask_b32_e32 v2, v4, v2, vcc
	v_lshlrev_b32_e32 v3, 2, v2
	ds_bpermute_b32 v2, v3, v0
	ds_bpermute_b32 v3, v3, v1
	v_cmp_lt_i32_e32 vcc, v6, v5
	s_waitcnt lgkmcnt(0)
	v_pk_add_f32 v[0:1], v[0:1], v[2:3]
	v_cndmask_b32_e32 v6, v4, v6, vcc
	v_lshlrev_b32_e32 v6, 2, v6
	ds_bpermute_b32 v2, v6, v0
	ds_bpermute_b32 v3, v6, v1
	v_xor_b32_e32 v6, 8, v4
	v_cmp_lt_i32_e32 vcc, v6, v5
	s_waitcnt lgkmcnt(0)
	v_pk_add_f32 v[0:1], v[0:1], v[2:3]
	v_cndmask_b32_e32 v6, v4, v6, vcc
	v_lshlrev_b32_e32 v6, 2, v6
	ds_bpermute_b32 v2, v6, v0
	ds_bpermute_b32 v3, v6, v1
	v_xor_b32_e32 v6, 4, v4
	;; [unrolled: 8-line block ×4, first 2 shown]
	v_cmp_lt_i32_e32 vcc, v6, v5
	s_waitcnt lgkmcnt(0)
	v_pk_add_f32 v[0:1], v[0:1], v[2:3]
	v_cndmask_b32_e32 v4, v4, v6, vcc
	v_lshlrev_b32_e32 v4, 2, v4
	ds_bpermute_b32 v2, v4, v0
	ds_bpermute_b32 v3, v4, v1
	v_add_u32_e32 v4, s2, v11
	v_cmp_gt_u32_e32 vcc, 2, v11
	v_cmp_gt_u32_e64 s[0:1], s4, v4
	s_and_b64 s[0:1], vcc, s[0:1]
	s_and_b64 exec, exec, s[0:1]
	s_cbranch_execz .LBB12_7
; %bb.6:
	v_cmp_eq_u32_e32 vcc, 1, v11
	s_mul_i32 s3, s3, s10
	v_mov_b32_e32 v4, s18
	s_waitcnt lgkmcnt(0)
	v_cndmask_b32_e32 v2, v2, v3, vcc
	v_cndmask_b32_e32 v0, v0, v1, vcc
	v_add_f32_e32 v2, v0, v2
	v_mul_lo_u32 v0, v10, s7
	v_or_b32_e32 v1, s2, v11
	v_mov_b32_e32 v5, s19
	v_add3_u32 v0, v1, v0, s3
	v_mov_b32_e32 v1, 0
	v_lshl_add_u64 v[0:1], v[0:1], 2, v[4:5]
	global_store_dword v[0:1], v2, off
.LBB12_7:
	s_endpgm
	.section	.rodata,"a",@progbits
	.p2align	6, 0x0
	.amdhsa_kernel _ZL17mul_mat_vec_q_moeIL9ggml_type2ELi2EEvPKvS2_PKiPfj15HIP_vector_typeIjLj3EEjjjjjjjjj
		.amdhsa_group_segment_fixed_size 0
		.amdhsa_private_segment_fixed_size 0
		.amdhsa_kernarg_size 84
		.amdhsa_user_sgpr_count 2
		.amdhsa_user_sgpr_dispatch_ptr 0
		.amdhsa_user_sgpr_queue_ptr 0
		.amdhsa_user_sgpr_kernarg_segment_ptr 1
		.amdhsa_user_sgpr_dispatch_id 0
		.amdhsa_user_sgpr_kernarg_preload_length 0
		.amdhsa_user_sgpr_kernarg_preload_offset 0
		.amdhsa_user_sgpr_private_segment_size 0
		.amdhsa_uses_dynamic_stack 0
		.amdhsa_enable_private_segment 0
		.amdhsa_system_sgpr_workgroup_id_x 1
		.amdhsa_system_sgpr_workgroup_id_y 1
		.amdhsa_system_sgpr_workgroup_id_z 0
		.amdhsa_system_sgpr_workgroup_info 0
		.amdhsa_system_vgpr_workitem_id 1
		.amdhsa_next_free_vgpr 33
		.amdhsa_next_free_sgpr 28
		.amdhsa_accum_offset 36
		.amdhsa_reserve_vcc 1
		.amdhsa_float_round_mode_32 0
		.amdhsa_float_round_mode_16_64 0
		.amdhsa_float_denorm_mode_32 3
		.amdhsa_float_denorm_mode_16_64 3
		.amdhsa_dx10_clamp 1
		.amdhsa_ieee_mode 1
		.amdhsa_fp16_overflow 0
		.amdhsa_tg_split 0
		.amdhsa_exception_fp_ieee_invalid_op 0
		.amdhsa_exception_fp_denorm_src 0
		.amdhsa_exception_fp_ieee_div_zero 0
		.amdhsa_exception_fp_ieee_overflow 0
		.amdhsa_exception_fp_ieee_underflow 0
		.amdhsa_exception_fp_ieee_inexact 0
		.amdhsa_exception_int_div_zero 0
	.end_amdhsa_kernel
	.section	.text._ZL17mul_mat_vec_q_moeIL9ggml_type2ELi2EEvPKvS2_PKiPfj15HIP_vector_typeIjLj3EEjjjjjjjjj,"axG",@progbits,_ZL17mul_mat_vec_q_moeIL9ggml_type2ELi2EEvPKvS2_PKiPfj15HIP_vector_typeIjLj3EEjjjjjjjjj,comdat
.Lfunc_end12:
	.size	_ZL17mul_mat_vec_q_moeIL9ggml_type2ELi2EEvPKvS2_PKiPfj15HIP_vector_typeIjLj3EEjjjjjjjjj, .Lfunc_end12-_ZL17mul_mat_vec_q_moeIL9ggml_type2ELi2EEvPKvS2_PKiPfj15HIP_vector_typeIjLj3EEjjjjjjjjj
                                        ; -- End function
	.section	.AMDGPU.csdata,"",@progbits
; Kernel info:
; codeLenInByte = 1044
; NumSgprs: 34
; NumVgprs: 33
; NumAgprs: 0
; TotalNumVgprs: 33
; ScratchSize: 0
; MemoryBound: 0
; FloatMode: 240
; IeeeMode: 1
; LDSByteSize: 0 bytes/workgroup (compile time only)
; SGPRBlocks: 4
; VGPRBlocks: 4
; NumSGPRsForWavesPerEU: 34
; NumVGPRsForWavesPerEU: 33
; AccumOffset: 36
; Occupancy: 8
; WaveLimiterHint : 1
; COMPUTE_PGM_RSRC2:SCRATCH_EN: 0
; COMPUTE_PGM_RSRC2:USER_SGPR: 2
; COMPUTE_PGM_RSRC2:TRAP_HANDLER: 0
; COMPUTE_PGM_RSRC2:TGID_X_EN: 1
; COMPUTE_PGM_RSRC2:TGID_Y_EN: 1
; COMPUTE_PGM_RSRC2:TGID_Z_EN: 0
; COMPUTE_PGM_RSRC2:TIDIG_COMP_CNT: 1
; COMPUTE_PGM_RSRC3_GFX90A:ACCUM_OFFSET: 8
; COMPUTE_PGM_RSRC3_GFX90A:TG_SPLIT: 0
	.section	.text._ZL13mul_mat_vec_qIL9ggml_type2ELi1ELb1ELb1EEvPKvS2_PKi31ggml_cuda_mm_fusion_args_devicePfj15HIP_vector_typeIjLj3EEjjjS8_jjjS8_jjjj,"axG",@progbits,_ZL13mul_mat_vec_qIL9ggml_type2ELi1ELb1ELb1EEvPKvS2_PKi31ggml_cuda_mm_fusion_args_devicePfj15HIP_vector_typeIjLj3EEjjjS8_jjjS8_jjjj,comdat
	.globl	_ZL13mul_mat_vec_qIL9ggml_type2ELi1ELb1ELb1EEvPKvS2_PKi31ggml_cuda_mm_fusion_args_devicePfj15HIP_vector_typeIjLj3EEjjjS8_jjjS8_jjjj ; -- Begin function _ZL13mul_mat_vec_qIL9ggml_type2ELi1ELb1ELb1EEvPKvS2_PKi31ggml_cuda_mm_fusion_args_devicePfj15HIP_vector_typeIjLj3EEjjjS8_jjjS8_jjjj
	.p2align	8
	.type	_ZL13mul_mat_vec_qIL9ggml_type2ELi1ELb1ELb1EEvPKvS2_PKi31ggml_cuda_mm_fusion_args_devicePfj15HIP_vector_typeIjLj3EEjjjS8_jjjS8_jjjj,@function
_ZL13mul_mat_vec_qIL9ggml_type2ELi1ELb1ELb1EEvPKvS2_PKi31ggml_cuda_mm_fusion_args_devicePfj15HIP_vector_typeIjLj3EEjjjS8_jjjS8_jjjj: ; @_ZL13mul_mat_vec_qIL9ggml_type2ELi1ELb1ELb1EEvPKvS2_PKi31ggml_cuda_mm_fusion_args_devicePfj15HIP_vector_typeIjLj3EEjjjS8_jjjS8_jjjj
; %bb.0:
	s_load_dwordx8 s[16:23], s[2:3], 0x0
	s_load_dwordx4 s[36:39], s[2:3], 0x20
	s_load_dwordx4 s[40:43], s[2:3], 0x40
	;; [unrolled: 1-line block ×3, first 2 shown]
	s_mov_b32 s14, s5
	s_waitcnt lgkmcnt(0)
	s_cmp_lg_u64 s[20:21], 0
	s_cselect_b64 s[8:9], -1, 0
	s_cmp_eq_u64 s[20:21], 0
	s_mov_b64 s[10:11], 0
	s_cbranch_scc1 .LBB13_5
; %bb.1:
	s_mov_b32 s15, 0
	s_lshl_b64 s[12:13], s[14:15], 2
	s_add_u32 s12, s20, s12
	s_addc_u32 s13, s21, s13
	s_load_dword s44, s[12:13], 0x0
	s_load_dword s33, s[2:3], 0x50
	;; [unrolled: 1-line block ×3, first 2 shown]
	s_andn2_b64 vcc, exec, s[10:11]
	s_cbranch_vccnz .LBB13_3
.LBB13_2:
	s_load_dwordx2 s[10:11], s[2:3], 0x5c
	s_waitcnt lgkmcnt(0)
	s_mul_hi_u32 s5, s10, s14
	s_add_i32 s5, s14, s5
	s_lshr_b32 s44, s5, s11
.LBB13_3:
	s_andn2_b64 vcc, exec, s[8:9]
	s_cbranch_vccnz .LBB13_6
; %bb.4:
	s_mul_hi_u32 s5, s41, s14
	s_add_i32 s5, s14, s5
	s_lshr_b32 s5, s5, s42
	s_mul_i32 s5, s5, s43
	s_sub_i32 s41, s14, s5
	s_waitcnt lgkmcnt(0)
	s_mov_b32 s15, s44
	s_branch .LBB13_7
.LBB13_5:
                                        ; implicit-def: $sgpr44
	s_load_dword s33, s[2:3], 0x50
	s_load_dword s45, s[2:3], 0x78
	s_branch .LBB13_2
.LBB13_6:
	s_mov_b32 s15, s14
	s_mov_b32 s41, s14
.LBB13_7:
	s_load_dword s7, s[2:3], 0x58
	s_load_dwordx4 s[28:31], s[2:3], 0x80
	s_lshl_b32 s20, s4, 1
	s_cmp_eq_u64 s[22:23], 0
	v_and_b32_e32 v19, 0x3ff, v0
	v_bfe_u32 v24, v0, 10, 10
	s_cselect_b64 s[8:9], -1, 0
	s_and_b64 vcc, exec, s[8:9]
	v_mov_b32_e32 v20, 0
	v_cmp_gt_u32_e64 s[4:5], 2, v19
	v_cmp_eq_u32_e64 s[10:11], 0, v24
	v_or_b32_e32 v1, s20, v19
	v_mov_b32_e32 v21, 0
	s_cbranch_vccnz .LBB13_11
; %bb.8:
	s_waitcnt lgkmcnt(0)
	v_cmp_gt_u32_e32 vcc, s7, v1
	s_and_b64 s[4:5], s[4:5], vcc
	s_mov_b32 s13, 0
	s_and_b64 s[10:11], s[4:5], s[10:11]
	v_mov_b32_e32 v21, 0
	s_and_saveexec_b64 s[4:5], s[10:11]
	s_cbranch_execz .LBB13_10
; %bb.9:
	s_mul_i32 s12, s6, s30
	s_lshl_b64 s[10:11], s[12:13], 2
	s_add_u32 s21, s22, s10
	s_mul_i32 s12, s15, s26
	s_addc_u32 s22, s23, s11
	s_lshl_b64 s[10:11], s[12:13], 2
	s_add_u32 s12, s21, s10
	s_addc_u32 s13, s22, s11
	s_ashr_i32 s21, s20, 31
	s_lshl_b64 s[10:11], s[20:21], 2
	s_add_u32 s10, s12, s10
	s_addc_u32 s11, s13, s11
	v_lshlrev_b32_e32 v2, 2, v19
	global_load_dword v21, v2, s[10:11]
.LBB13_10:
	s_or_b64 exec, exec, s[4:5]
.LBB13_11:
	s_cmp_lg_u64 s[36:37], 0
	s_cselect_b64 s[22:23], -1, 0
	s_cmp_eq_u64 s[36:37], 0
	s_cselect_b64 s[34:35], -1, 0
	s_cmp_lg_u64 s[38:39], 0
	s_cselect_b64 s[4:5], -1, 0
	s_and_b64 s[10:11], s[4:5], s[22:23]
	s_andn2_b64 vcc, exec, s[10:11]
	s_cbranch_vccnz .LBB13_15
; %bb.12:
	v_cmp_gt_u32_e32 vcc, 2, v19
	s_waitcnt lgkmcnt(0)
	v_cmp_gt_u32_e64 s[12:13], s7, v1
	v_cmp_eq_u32_e64 s[10:11], 0, v24
	s_and_b64 s[12:13], vcc, s[12:13]
	s_mov_b32 s43, 0
	s_and_b64 s[12:13], s[12:13], s[10:11]
	v_mov_b32_e32 v20, 0
	s_and_saveexec_b64 s[10:11], s[12:13]
	s_cbranch_execz .LBB13_14
; %bb.13:
	s_mul_i32 s42, s6, s30
	s_lshl_b64 s[12:13], s[42:43], 2
	s_add_u32 s21, s38, s12
	s_mul_i32 s42, s15, s26
	s_addc_u32 s31, s39, s13
	s_lshl_b64 s[12:13], s[42:43], 2
	s_add_u32 s15, s21, s12
	s_addc_u32 s31, s31, s13
	s_ashr_i32 s21, s20, 31
	s_lshl_b64 s[12:13], s[20:21], 2
	s_add_u32 s12, s15, s12
	s_addc_u32 s13, s31, s13
	v_lshlrev_b32_e32 v1, 2, v19
	global_load_dword v20, v1, s[12:13]
.LBB13_14:
	s_or_b64 exec, exec, s[10:11]
.LBB13_15:
	s_load_dwordx2 s[0:1], s[0:1], 0x4
	v_bfe_u32 v1, v0, 20, 10
	v_lshlrev_b32_e32 v0, 6, v24
	s_lshr_b32 s15, s40, 5
	v_mov_b32_e32 v28, 0
	s_waitcnt lgkmcnt(0)
	s_lshr_b32 s0, s0, 16
	v_mul_u32_u24_e32 v2, s1, v24
	s_mul_i32 s0, s0, s1
	v_mad_u32_u24 v2, s0, v19, v2
	v_add_lshl_u32 v1, v2, v1, 3
	v_add_u32_e32 v23, 0x800, v1
	v_add_u32_e32 v22, 0x400, v1
	v_add_u16_e32 v1, v0, v19
	v_lshrrev_b16_e32 v25, 1, v1
	v_cmp_gt_u32_e32 vcc, s15, v25
	v_lshlrev_b32_e32 v18, 2, v19
	v_mov_b32_e32 v29, 0
	v_mov_b32_e32 v27, 0
	;; [unrolled: 1-line block ×3, first 2 shown]
	ds_write2_b32 v23, v28, v28 offset1:1
	ds_write2_b32 v22, v28, v28 offset1:1
	s_and_saveexec_b64 s[10:11], vcc
	s_cbranch_execz .LBB13_26
; %bb.16:
	s_mul_hi_u32 s12, s27, s6
	s_mul_i32 s0, s6, s29
	s_add_i32 s12, s6, s12
	s_mul_i32 s1, s41, s25
	s_lshr_b32 s12, s12, s45
	s_mul_hi_u32 s25, s0, 36
	s_mul_i32 s0, s0, 36
	s_add_u32 s0, s18, s0
	s_mul_hi_u32 s21, s1, 36
	s_mul_i32 s1, s1, 36
	s_addc_u32 s18, s19, s25
	v_add_u32_e32 v4, v0, v19
	s_add_u32 s0, s0, s1
	v_lshrrev_b32_e32 v4, 1, v4
	s_addc_u32 s1, s18, s21
	v_mad_u64_u32 v[4:5], s[0:1], v4, 36, s[0:1]
	s_mul_i32 s13, s44, s24
	s_mul_i32 s12, s12, s28
	s_add_i32 s0, s20, 1
	v_and_b32_e32 v0, 4, v18
	v_mov_b32_e32 v1, 0
	s_mul_i32 s24, s20, s33
	v_and_b32_e32 v2, 1, v19
	s_add_i32 s27, s12, s13
	s_mul_i32 s33, s33, s0
	v_cndmask_b32_e64 v6, 0, 1, s[34:35]
	v_lshlrev_b32_e32 v2, 3, v2
	v_mov_b32_e32 v3, v1
	s_add_i32 s21, s27, s33
	s_add_i32 s27, s27, s24
	s_mov_b64 s[12:13], 0
	v_lshlrev_b32_e32 v0, 1, v0
	v_mov_b32_e32 v7, 4.0
	v_cmp_ne_u32_e64 s[0:1], 1, v6
	s_mov_b64 s[18:19], 0x900
	v_mov_b32_e32 v26, v1
	v_mov_b32_e32 v27, v1
	;; [unrolled: 1-line block ×6, first 2 shown]
	s_branch .LBB13_18
.LBB13_17:                              ;   in Loop: Header=BB13_18 Depth=1
	s_waitcnt vmcnt(1)
	v_and_b32_e32 v13, 0xf0f0f0f, v16
	v_lshrrev_b32_e32 v16, 4, v16
	v_mov_b32_e32 v33, v1
	v_and_b32_e32 v16, 0xf0f0f0f, v16
	v_dot4c_i32_i8_e32 v33, v13, v10
	v_dot4c_i32_i8_e32 v33, v16, v8
	v_and_b32_e32 v8, 0xf0f0f0f, v17
	v_lshrrev_b32_e32 v10, 4, v17
	v_and_b32_e32 v10, 0xf0f0f0f, v10
	v_dot4c_i32_i8_e32 v33, v8, v11
	v_dot4c_i32_i8_e32 v33, v10, v9
	v_add_u32_e32 v25, 64, v25
	v_cmp_le_u32_e32 vcc, s15, v25
	s_or_b64 s[12:13], vcc, s[12:13]
	v_cvt_f32_i32_e32 v8, v33
	v_lshl_add_u64 v[4:5], v[4:5], 0, s[18:19]
	v_fma_f32 v8, v12, v8, -v15
	s_waitcnt vmcnt(0)
	v_fma_mix_f32 v27, v8, v6, v27 op_sel_hi:[0,1,0]
	v_sub_f32_e32 v6, v14, v15
	v_fma_mix_f32 v28, v6, v32, v28 op_sel_hi:[0,1,0]
	s_andn2_b64 exec, exec, s[12:13]
	s_cbranch_execz .LBB13_25
.LBB13_18:                              ; =>This Inner Loop Header: Depth=1
	v_lshl_add_u64 v[12:13], v[4:5], 0, v[2:3]
	global_load_dwordx2 v[10:11], v[12:13], off offset:4
	global_load_dwordx2 v[8:9], v[12:13], off offset:20
	global_load_dword v15, v[4:5], off
	v_add_u32_e32 v16, s27, v25
	v_mad_i64_i32 v[12:13], s[24:25], v16, 18, s[16:17]
	v_lshl_add_u64 v[34:35], v[12:13], 0, v[0:1]
	global_load_dword v6, v[34:35], off offset:6
	global_load_dword v14, v[34:35], off offset:2
	global_load_ushort v32, v[12:13], off
	s_and_b64 vcc, exec, s[0:1]
	s_waitcnt vmcnt(3)
	v_cvt_f32_f16_sdwa v13, v15 dst_sel:DWORD dst_unused:UNUSED_PAD src0_sel:WORD_1
	v_cvt_f32_f16_e32 v12, v15
	s_cbranch_vccnz .LBB13_20
; %bb.19:                               ;   in Loop: Header=BB13_18 Depth=1
	s_mov_b64 s[24:25], 0
	s_branch .LBB13_21
.LBB13_20:                              ;   in Loop: Header=BB13_18 Depth=1
	s_mov_b64 s[24:25], -1
                                        ; implicit-def: $vgpr31
.LBB13_21:                              ;   in Loop: Header=BB13_18 Depth=1
	s_waitcnt vmcnt(1)
	v_and_b32_e32 v15, 0xf0f0f0f, v14
	v_lshrrev_b32_e32 v14, 4, v14
	v_mov_b32_e32 v17, v1
	v_and_b32_e32 v14, 0xf0f0f0f, v14
	v_dot4c_i32_i8_e32 v17, v15, v10
	v_dot4c_i32_i8_e32 v17, v14, v8
	v_and_b32_e32 v14, 0xf0f0f0f, v6
	v_lshrrev_b32_e32 v6, 4, v6
	v_and_b32_e32 v6, 0xf0f0f0f, v6
	v_dot4c_i32_i8_e32 v17, v14, v11
	v_dot4c_i32_i8_e32 v17, v6, v9
	s_andn2_b64 vcc, exec, s[24:25]
	s_nop 1
	v_cvt_f32_i32_e32 v6, v17
	v_pk_mul_f32 v[14:15], v[6:7], v[12:13]
	s_cbranch_vccnz .LBB13_23
; %bb.22:                               ;   in Loop: Header=BB13_18 Depth=1
	v_mad_i64_i32 v[16:17], s[24:25], v16, 18, s[36:37]
	v_lshl_add_u64 v[34:35], v[16:17], 0, v[0:1]
	global_load_dword v6, v[34:35], off offset:2
	global_load_dword v13, v[34:35], off offset:6
	global_load_ushort v31, v[16:17], off
	v_mov_b32_e32 v16, v1
	s_waitcnt vmcnt(2)
	v_and_b32_e32 v17, 0xf0f0f0f, v6
	v_lshrrev_b32_e32 v6, 4, v6
	v_and_b32_e32 v6, 0xf0f0f0f, v6
	v_dot4c_i32_i8_e32 v16, v17, v10
	s_waitcnt vmcnt(1)
	v_and_b32_e32 v33, 0xf0f0f0f, v13
	v_lshrrev_b32_e32 v13, 4, v13
	v_dot4c_i32_i8_e32 v16, v6, v8
	v_and_b32_e32 v6, 0xf0f0f0f, v13
	v_dot4c_i32_i8_e32 v16, v33, v11
	v_dot4c_i32_i8_e32 v16, v6, v9
	s_nop 2
	v_cvt_f32_i32_e32 v6, v16
	v_fma_f32 v6, v12, v6, -v15
	s_waitcnt vmcnt(0)
	v_fma_mix_f32 v31, v6, v31, v29 op_sel_hi:[0,1,0]
	v_mov_b32_e32 v29, v31
.LBB13_23:                              ;   in Loop: Header=BB13_18 Depth=1
	v_add_u32_e32 v13, s21, v25
	v_mad_i64_i32 v[34:35], s[24:25], v13, 18, s[16:17]
	v_lshl_add_u64 v[36:37], v[34:35], 0, v[0:1]
	global_load_dwordx2 v[16:17], v[36:37], off offset:2
	global_load_ushort v6, v[34:35], off
	s_andn2_b64 vcc, exec, s[22:23]
	s_cbranch_vccnz .LBB13_17
; %bb.24:                               ;   in Loop: Header=BB13_18 Depth=1
	v_mad_i64_i32 v[34:35], s[24:25], v13, 18, s[36:37]
	v_lshl_add_u64 v[36:37], v[34:35], 0, v[0:1]
	global_load_dword v13, v[36:37], off offset:2
	global_load_dword v30, v[36:37], off offset:6
	global_load_ushort v33, v[34:35], off
	v_mov_b32_e32 v34, v1
	s_waitcnt vmcnt(2)
	v_and_b32_e32 v35, 0xf0f0f0f, v13
	v_lshrrev_b32_e32 v13, 4, v13
	v_and_b32_e32 v13, 0xf0f0f0f, v13
	v_dot4c_i32_i8_e32 v34, v35, v10
	s_waitcnt vmcnt(1)
	v_and_b32_e32 v36, 0xf0f0f0f, v30
	v_lshrrev_b32_e32 v30, 4, v30
	v_dot4c_i32_i8_e32 v34, v13, v8
	v_and_b32_e32 v13, 0xf0f0f0f, v30
	v_dot4c_i32_i8_e32 v34, v36, v11
	v_dot4c_i32_i8_e32 v34, v13, v9
	s_nop 2
	v_cvt_f32_i32_e32 v13, v34
	v_fma_f32 v13, v12, v13, -v15
	s_waitcnt vmcnt(0)
	v_fma_mix_f32 v30, v13, v33, v26 op_sel_hi:[0,1,0]
	v_mov_b32_e32 v26, v30
	s_branch .LBB13_17
.LBB13_25:
	s_or_b64 exec, exec, s[12:13]
	ds_write2_b32 v23, v28, v27 offset1:1
	ds_write2_b32 v22, v31, v30 offset1:1
.LBB13_26:
	s_or_b64 exec, exec, s[10:11]
	s_load_dword s12, s[2:3], 0x30
; %bb.27:
	s_mov_b32 s13, 0
	v_cmp_eq_u32_e64 s[0:1], 0, v24
	v_cmp_ne_u32_e32 vcc, 0, v24
	s_and_saveexec_b64 s[10:11], vcc
	s_cbranch_execz .LBB13_32
; %bb.28:
	v_add_u32_e32 v0, -1, v24
	v_lshl_or_b32 v1, v0, 9, v18
	s_and_b64 vcc, exec, s[22:23]
	ds_write_b32 v1, v28
	s_cbranch_vccz .LBB13_30
; %bb.29:
	s_movk_i32 s13, 0x200
	ds_write2st64_b32 v1, v27, v29 offset0:1 offset1:2
	s_branch .LBB13_31
.LBB13_30:
	v_mov_b32_e32 v26, v27
.LBB13_31:
	v_lshlrev_b32_e32 v0, 9, v0
	v_add3_u32 v0, s13, v0, v18
	ds_write_b32 v0, v26 offset:256
.LBB13_32:
	s_or_b64 exec, exec, s[10:11]
	s_waitcnt lgkmcnt(0)
	s_barrier
	s_and_saveexec_b64 s[10:11], s[0:1]
	s_cbranch_execz .LBB13_65
; %bb.33:
	ds_read_b32 v1, v18
	ds_read_b32 v2, v23
	v_cndmask_b32_e64 v0, 0, 1, s[22:23]
	v_cmp_ne_u32_e64 s[0:1], 1, v0
	s_andn2_b64 vcc, exec, s[22:23]
	s_cbranch_vccnz .LBB13_35
; %bb.34:
	ds_read_b32 v0, v18 offset:512
	ds_read_b32 v3, v22
	s_waitcnt lgkmcnt(0)
	v_add_f32_e32 v0, v0, v3
	ds_write_b32 v22, v0
.LBB13_35:
	v_mbcnt_lo_u32_b32 v0, -1, 0
	v_mbcnt_hi_u32_b32 v5, -1, v0
	v_and_b32_e32 v0, 64, v5
	v_add_u32_e32 v6, 64, v0
	v_xor_b32_e32 v0, 32, v5
	v_cmp_lt_i32_e32 vcc, v0, v6
	s_waitcnt lgkmcnt(0)
	v_add_f32_e32 v2, v1, v2
	v_xor_b32_e32 v1, 16, v5
	v_cndmask_b32_e32 v0, v5, v0, vcc
	v_lshlrev_b32_e32 v0, 2, v0
	ds_bpermute_b32 v3, v0, v2
	v_cmp_lt_i32_e32 vcc, v1, v6
	v_xor_b32_e32 v9, 1, v5
	s_waitcnt lgkmcnt(0)
	v_add_f32_e32 v3, v2, v3
	v_cndmask_b32_e32 v1, v5, v1, vcc
	v_lshlrev_b32_e32 v1, 2, v1
	ds_bpermute_b32 v4, v1, v3
	v_xor_b32_e32 v2, 8, v5
	v_cmp_lt_i32_e32 vcc, v2, v6
	s_waitcnt lgkmcnt(0)
	v_add_f32_e32 v4, v3, v4
	v_cndmask_b32_e32 v2, v5, v2, vcc
	v_lshlrev_b32_e32 v2, 2, v2
	ds_bpermute_b32 v7, v2, v4
	v_xor_b32_e32 v3, 4, v5
	v_cmp_lt_i32_e32 vcc, v3, v6
	;; [unrolled: 7-line block ×3, first 2 shown]
	s_waitcnt lgkmcnt(0)
	v_add_f32_e32 v7, v7, v8
	v_cndmask_b32_e32 v4, v5, v4, vcc
	v_lshlrev_b32_e32 v4, 2, v4
	ds_bpermute_b32 v8, v4, v7
	v_cmp_lt_i32_e32 vcc, v9, v6
	s_waitcnt lgkmcnt(0)
	v_add_f32_e32 v6, v7, v8
	v_cndmask_b32_e32 v5, v5, v9, vcc
	v_lshlrev_b32_e32 v5, 2, v5
	ds_bpermute_b32 v7, v5, v6
	s_and_b64 vcc, exec, s[0:1]
	s_waitcnt lgkmcnt(0)
	v_add_f32_e32 v6, v6, v7
	ds_write_b32 v23, v6
	s_cbranch_vccnz .LBB13_37
; %bb.36:
	ds_read_b32 v6, v22
	s_waitcnt lgkmcnt(0)
	ds_bpermute_b32 v7, v0, v6
	s_waitcnt lgkmcnt(0)
	v_add_f32_e32 v6, v6, v7
	ds_bpermute_b32 v7, v1, v6
	s_waitcnt lgkmcnt(0)
	v_add_f32_e32 v6, v6, v7
	;; [unrolled: 3-line block ×6, first 2 shown]
	ds_write_b32 v22, v6
.LBB13_37:
	ds_read_b32 v6, v18 offset:256
	ds_read_b32 v7, v23 offset:4
	s_and_b64 vcc, exec, s[0:1]
	s_cbranch_vccnz .LBB13_39
; %bb.38:
	ds_read_b32 v8, v18 offset:768
	ds_read_b32 v9, v22 offset:4
	s_waitcnt lgkmcnt(0)
	v_add_f32_e32 v8, v8, v9
	ds_write_b32 v22, v8 offset:4
.LBB13_39:
	s_waitcnt lgkmcnt(0)
	v_add_f32_e32 v6, v6, v7
	ds_bpermute_b32 v7, v0, v6
	s_and_b64 vcc, exec, s[0:1]
	s_waitcnt lgkmcnt(0)
	v_add_f32_e32 v6, v6, v7
	ds_bpermute_b32 v7, v1, v6
	s_waitcnt lgkmcnt(0)
	v_add_f32_e32 v6, v6, v7
	ds_bpermute_b32 v7, v2, v6
	;; [unrolled: 3-line block ×5, first 2 shown]
	s_waitcnt lgkmcnt(0)
	v_add_f32_e32 v6, v6, v7
	ds_write_b32 v23, v6 offset:4
	s_cbranch_vccnz .LBB13_41
; %bb.40:
	ds_read_b32 v6, v22 offset:4
	s_waitcnt lgkmcnt(0)
	ds_bpermute_b32 v0, v0, v6
	s_waitcnt lgkmcnt(0)
	v_add_f32_e32 v0, v6, v0
	ds_bpermute_b32 v1, v1, v0
	s_waitcnt lgkmcnt(0)
	v_add_f32_e32 v0, v0, v1
	;; [unrolled: 3-line block ×6, first 2 shown]
	ds_write_b32 v22, v0 offset:4
.LBB13_41:
	v_add_u32_e32 v0, s20, v19
	v_cmp_gt_u32_e32 vcc, 2, v19
	v_cmp_gt_u32_e64 s[10:11], s7, v0
	s_and_b64 s[10:11], vcc, s[10:11]
	s_and_b64 exec, exec, s[10:11]
	s_cbranch_execz .LBB13_65
; %bb.42:
	v_lshl_add_u32 v0, v19, 2, v23
	ds_read_b32 v0, v0
	s_and_b64 vcc, exec, s[0:1]
	s_waitcnt vmcnt(0) lgkmcnt(0)
	v_add_f32_e32 v1, v21, v0
	v_cndmask_b32_e64 v0, v1, v0, s[8:9]
	s_cbranch_vccnz .LBB13_64
; %bb.43:
	v_lshl_add_u32 v1, v19, 2, v22
	ds_read_b32 v1, v1
	s_cmp_lt_i32 s12, 2
	s_mov_b64 s[0:1], 0
	s_waitcnt lgkmcnt(0)
	v_add_f32_e32 v2, v20, v1
	v_cndmask_b32_e64 v1, v1, v2, s[4:5]
	s_cbranch_scc1 .LBB13_47
; %bb.44:
	s_cmp_gt_i32 s12, 2
	s_cbranch_scc0 .LBB13_48
; %bb.45:
	s_cmp_eq_u32 s12, 3
	s_cbranch_scc0 .LBB13_49
; %bb.46:
	v_max_f32_e32 v2, v1, v1
	v_min_f32_e32 v4, 0x40e00000, v2
	v_mul_f32_e32 v3, 0xbfd9db23, v4
	s_mov_b32 s4, 0x3fb8aa3b
	v_mul_f32_e32 v2, 0x3fb8aa3b, v3
	v_fma_f32 v5, v3, s4, -v2
	v_rndne_f32_e32 v6, v2
	v_fmamk_f32 v5, v3, 0x32a5705f, v5
	v_sub_f32_e32 v2, v2, v6
	v_add_f32_e32 v2, v2, v5
	v_exp_f32_e32 v5, v2
	v_cvt_i32_f32_e32 v6, v6
	s_mov_b32 s4, 0xc2ce8ed0
	v_max_f32_e32 v2, v0, v0
	v_cmp_ngt_f32_e32 vcc, s4, v3
	v_ldexp_f32 v5, v5, v6
	s_mov_b32 s4, 0x42b17218
	v_min_f32_e32 v2, 0x40e00000, v2
	v_cndmask_b32_e32 v5, 0, v5, vcc
	v_mov_b32_e32 v6, 0x7f800000
	v_cmp_nlt_f32_e32 vcc, s4, v3
	v_max_f32_e32 v2, 0xc0e00000, v2
	s_nop 0
	v_cndmask_b32_e32 v3, v6, v5, vcc
	v_pk_add_f32 v[2:3], v[2:3], 1.0 op_sel_hi:[1,0]
	s_nop 0
	v_div_scale_f32 v5, s[4:5], v3, v3, v4
	v_rcp_f32_e32 v6, v5
	s_mov_b64 s[4:5], 0
	v_fma_f32 v7, -v5, v6, 1.0
	v_fmac_f32_e32 v6, v7, v6
	v_div_scale_f32 v7, vcc, v4, v3, v4
	v_mul_f32_e32 v8, v7, v6
	v_fma_f32 v9, -v5, v8, v7
	v_fmac_f32_e32 v8, v9, v6
	v_fma_f32 v5, -v5, v8, v7
	v_div_fmas_f32 v5, v5, v6, v8
	v_div_fixup_f32 v3, v5, v3, v4
	v_mul_f32_e32 v2, v2, v3
	s_branch .LBB13_50
.LBB13_47:
                                        ; implicit-def: $vgpr2
	s_mov_b64 s[4:5], 0
	s_cbranch_execnz .LBB13_54
	s_branch .LBB13_55
.LBB13_48:
	s_mov_b64 s[8:9], -1
	s_mov_b64 s[4:5], 0
                                        ; implicit-def: $vgpr2
	s_branch .LBB13_51
.LBB13_49:
	s_mov_b64 s[4:5], -1
                                        ; implicit-def: $vgpr2
.LBB13_50:
	s_mov_b64 s[8:9], 0
.LBB13_51:
	s_and_b64 vcc, exec, s[8:9]
	s_cbranch_vccz .LBB13_53
; %bb.52:
	v_mul_f32_e32 v2, 0xbfb8aa3b, v1
	s_mov_b32 s7, 0xbfb8aa3b
	v_rndne_f32_e32 v3, v2
	v_sub_f32_e32 v4, v2, v3
	v_fma_f32 v2, v1, s7, -v2
	v_fmamk_f32 v2, v1, 0xb2a5705f, v2
	v_add_f32_e32 v2, v4, v2
	v_exp_f32_e32 v2, v2
	v_cvt_i32_f32_e32 v3, v3
	s_mov_b32 s7, 0x42ce8ed0
	v_cmp_nlt_f32_e32 vcc, s7, v1
	s_mov_b32 s7, 0xc2b17218
	v_ldexp_f32 v2, v2, v3
	v_cndmask_b32_e32 v2, 0, v2, vcc
	v_mov_b32_e32 v3, 0x7f800000
	v_cmp_ngt_f32_e32 vcc, s7, v1
	s_nop 1
	v_cndmask_b32_e32 v2, v3, v2, vcc
	v_add_f32_e32 v2, 1.0, v2
	v_div_scale_f32 v3, s[8:9], v2, v2, v1
	v_rcp_f32_e32 v4, v3
	s_nop 0
	v_fma_f32 v5, -v3, v4, 1.0
	v_fmac_f32_e32 v4, v5, v4
	v_div_scale_f32 v5, vcc, v1, v2, v1
	v_mul_f32_e32 v6, v5, v4
	v_fma_f32 v7, -v3, v6, v5
	v_fmac_f32_e32 v6, v7, v4
	v_fma_f32 v3, -v3, v6, v5
	v_div_fmas_f32 v3, v3, v4, v6
	v_div_fixup_f32 v2, v3, v2, v1
	v_mul_f32_e32 v2, v0, v2
.LBB13_53:
	s_branch .LBB13_55
.LBB13_54:
	s_cmp_lg_u32 s12, 1
	s_mov_b64 s[0:1], -1
	s_cselect_b64 s[4:5], -1, 0
                                        ; implicit-def: $vgpr2
.LBB13_55:
	s_andn2_b64 vcc, exec, s[4:5]
	s_cbranch_vccz .LBB13_57
; %bb.56:
	s_andn2_b64 vcc, exec, s[0:1]
	s_cbranch_vccz .LBB13_58
	s_branch .LBB13_63
.LBB13_57:
	v_mul_f32_e32 v2, v0, v1
	s_cbranch_execnz .LBB13_63
.LBB13_58:
	v_mul_f32_e32 v3, 0x3d372713, v1
	v_mul_f32_e32 v2, 0x3f4c422a, v1
	v_fma_f32 v3, v1, v3, 1.0
	v_mul_f32_e32 v2, v2, v3
	s_mov_b32 s0, 0x3f200000
	v_cmp_nlt_f32_e64 s[0:1], |v2|, s0
                                        ; implicit-def: $vgpr3
	s_and_saveexec_b64 s[4:5], s[0:1]
	s_xor_b64 s[0:1], exec, s[4:5]
	s_cbranch_execz .LBB13_60
; %bb.59:
	v_add_f32_e64 v3, |v2|, |v2|
	v_mul_f32_e32 v4, 0x3fb8aa3b, v3
	s_mov_b32 s4, 0x3fb8aa3b
	v_rndne_f32_e32 v5, v4
	v_sub_f32_e32 v6, v4, v5
	v_fma_f32 v4, v3, s4, -v4
	v_fmamk_f32 v4, v3, 0x32a5705f, v4
	v_add_f32_e32 v4, v6, v4
	v_exp_f32_e32 v4, v4
	v_cvt_i32_f32_e32 v5, v5
	s_mov_b32 s4, 0xc2ce8ed0
	v_cmp_ngt_f32_e32 vcc, s4, v3
	s_mov_b32 s4, 0x42b17218
	v_ldexp_f32 v4, v4, v5
	v_cndmask_b32_e32 v4, 0, v4, vcc
	v_mov_b32_e32 v5, 0x7f800000
	v_cmp_nlt_f32_e32 vcc, s4, v3
	s_nop 1
	v_cndmask_b32_e32 v3, v5, v4, vcc
	v_add_f32_e32 v3, 1.0, v3
	v_rcp_f32_e32 v3, v3
	s_nop 0
	v_fma_f32 v3, v3, -2.0, 1.0
.LBB13_60:
	s_andn2_saveexec_b64 s[0:1], s[0:1]
; %bb.61:
	v_mul_f32_e32 v3, v2, v2
	v_mov_b32_e32 v4, 0x3ca908c9
	v_fmac_f32_e32 v4, 0xbbbac73d, v3
	v_fmaak_f32 v4, v3, v4, 0xbd5c1c4e
	v_fmaak_f32 v4, v3, v4, 0x3e088382
	;; [unrolled: 1-line block ×3, first 2 shown]
	v_mul_f32_e64 v4, |v2|, v4
	v_fma_f32 v3, v3, v4, |v2|
; %bb.62:
	s_or_b64 exec, exec, s[0:1]
	s_brev_b32 s0, -2
	v_bfi_b32 v2, s0, v3, v2
	v_mul_f32_e32 v1, 0.5, v1
	v_add_f32_e32 v2, 1.0, v2
	v_mul_f32_e32 v1, v1, v2
	v_mul_f32_e32 v2, v0, v1
.LBB13_63:
	v_mov_b32_e32 v0, v2
.LBB13_64:
	s_load_dwordx2 s[0:1], s[2:3], 0x38
	s_mul_i32 s4, s14, s26
	s_mul_i32 s6, s6, s30
	s_add_i32 s2, s4, s20
	s_add_i32 s2, s2, s6
	s_mov_b32 s3, 0
	s_lshl_b64 s[2:3], s[2:3], 2
	s_waitcnt lgkmcnt(0)
	s_add_u32 s0, s0, s2
	s_addc_u32 s1, s1, s3
	global_store_dword v18, v0, s[0:1]
.LBB13_65:
	s_endpgm
	.section	.rodata,"a",@progbits
	.p2align	6, 0x0
	.amdhsa_kernel _ZL13mul_mat_vec_qIL9ggml_type2ELi1ELb1ELb1EEvPKvS2_PKi31ggml_cuda_mm_fusion_args_devicePfj15HIP_vector_typeIjLj3EEjjjS8_jjjS8_jjjj
		.amdhsa_group_segment_fixed_size 3072
		.amdhsa_private_segment_fixed_size 0
		.amdhsa_kernarg_size 144
		.amdhsa_user_sgpr_count 4
		.amdhsa_user_sgpr_dispatch_ptr 1
		.amdhsa_user_sgpr_queue_ptr 0
		.amdhsa_user_sgpr_kernarg_segment_ptr 1
		.amdhsa_user_sgpr_dispatch_id 0
		.amdhsa_user_sgpr_kernarg_preload_length 0
		.amdhsa_user_sgpr_kernarg_preload_offset 0
		.amdhsa_user_sgpr_private_segment_size 0
		.amdhsa_uses_dynamic_stack 0
		.amdhsa_enable_private_segment 0
		.amdhsa_system_sgpr_workgroup_id_x 1
		.amdhsa_system_sgpr_workgroup_id_y 1
		.amdhsa_system_sgpr_workgroup_id_z 1
		.amdhsa_system_sgpr_workgroup_info 0
		.amdhsa_system_vgpr_workitem_id 2
		.amdhsa_next_free_vgpr 38
		.amdhsa_next_free_sgpr 46
		.amdhsa_accum_offset 40
		.amdhsa_reserve_vcc 1
		.amdhsa_float_round_mode_32 0
		.amdhsa_float_round_mode_16_64 0
		.amdhsa_float_denorm_mode_32 3
		.amdhsa_float_denorm_mode_16_64 3
		.amdhsa_dx10_clamp 1
		.amdhsa_ieee_mode 1
		.amdhsa_fp16_overflow 0
		.amdhsa_tg_split 0
		.amdhsa_exception_fp_ieee_invalid_op 0
		.amdhsa_exception_fp_denorm_src 0
		.amdhsa_exception_fp_ieee_div_zero 0
		.amdhsa_exception_fp_ieee_overflow 0
		.amdhsa_exception_fp_ieee_underflow 0
		.amdhsa_exception_fp_ieee_inexact 0
		.amdhsa_exception_int_div_zero 0
	.end_amdhsa_kernel
	.section	.text._ZL13mul_mat_vec_qIL9ggml_type2ELi1ELb1ELb1EEvPKvS2_PKi31ggml_cuda_mm_fusion_args_devicePfj15HIP_vector_typeIjLj3EEjjjS8_jjjS8_jjjj,"axG",@progbits,_ZL13mul_mat_vec_qIL9ggml_type2ELi1ELb1ELb1EEvPKvS2_PKi31ggml_cuda_mm_fusion_args_devicePfj15HIP_vector_typeIjLj3EEjjjS8_jjjS8_jjjj,comdat
.Lfunc_end13:
	.size	_ZL13mul_mat_vec_qIL9ggml_type2ELi1ELb1ELb1EEvPKvS2_PKi31ggml_cuda_mm_fusion_args_devicePfj15HIP_vector_typeIjLj3EEjjjS8_jjjS8_jjjj, .Lfunc_end13-_ZL13mul_mat_vec_qIL9ggml_type2ELi1ELb1ELb1EEvPKvS2_PKi31ggml_cuda_mm_fusion_args_devicePfj15HIP_vector_typeIjLj3EEjjjS8_jjjS8_jjjj
                                        ; -- End function
	.section	.AMDGPU.csdata,"",@progbits
; Kernel info:
; codeLenInByte = 3340
; NumSgprs: 52
; NumVgprs: 38
; NumAgprs: 0
; TotalNumVgprs: 38
; ScratchSize: 0
; MemoryBound: 0
; FloatMode: 240
; IeeeMode: 1
; LDSByteSize: 3072 bytes/workgroup (compile time only)
; SGPRBlocks: 6
; VGPRBlocks: 4
; NumSGPRsForWavesPerEU: 52
; NumVGPRsForWavesPerEU: 38
; AccumOffset: 40
; Occupancy: 8
; WaveLimiterHint : 0
; COMPUTE_PGM_RSRC2:SCRATCH_EN: 0
; COMPUTE_PGM_RSRC2:USER_SGPR: 4
; COMPUTE_PGM_RSRC2:TRAP_HANDLER: 0
; COMPUTE_PGM_RSRC2:TGID_X_EN: 1
; COMPUTE_PGM_RSRC2:TGID_Y_EN: 1
; COMPUTE_PGM_RSRC2:TGID_Z_EN: 1
; COMPUTE_PGM_RSRC2:TIDIG_COMP_CNT: 2
; COMPUTE_PGM_RSRC3_GFX90A:ACCUM_OFFSET: 9
; COMPUTE_PGM_RSRC3_GFX90A:TG_SPLIT: 0
	.section	.text._ZL13mul_mat_vec_qIL9ggml_type2ELi1ELb0ELb1EEvPKvS2_PKi31ggml_cuda_mm_fusion_args_devicePfj15HIP_vector_typeIjLj3EEjjjS8_jjjS8_jjjj,"axG",@progbits,_ZL13mul_mat_vec_qIL9ggml_type2ELi1ELb0ELb1EEvPKvS2_PKi31ggml_cuda_mm_fusion_args_devicePfj15HIP_vector_typeIjLj3EEjjjS8_jjjS8_jjjj,comdat
	.globl	_ZL13mul_mat_vec_qIL9ggml_type2ELi1ELb0ELb1EEvPKvS2_PKi31ggml_cuda_mm_fusion_args_devicePfj15HIP_vector_typeIjLj3EEjjjS8_jjjS8_jjjj ; -- Begin function _ZL13mul_mat_vec_qIL9ggml_type2ELi1ELb0ELb1EEvPKvS2_PKi31ggml_cuda_mm_fusion_args_devicePfj15HIP_vector_typeIjLj3EEjjjS8_jjjS8_jjjj
	.p2align	8
	.type	_ZL13mul_mat_vec_qIL9ggml_type2ELi1ELb0ELb1EEvPKvS2_PKi31ggml_cuda_mm_fusion_args_devicePfj15HIP_vector_typeIjLj3EEjjjS8_jjjS8_jjjj,@function
_ZL13mul_mat_vec_qIL9ggml_type2ELi1ELb0ELb1EEvPKvS2_PKi31ggml_cuda_mm_fusion_args_devicePfj15HIP_vector_typeIjLj3EEjjjS8_jjjS8_jjjj: ; @_ZL13mul_mat_vec_qIL9ggml_type2ELi1ELb0ELb1EEvPKvS2_PKi31ggml_cuda_mm_fusion_args_devicePfj15HIP_vector_typeIjLj3EEjjjS8_jjjS8_jjjj
; %bb.0:
	s_load_dwordx2 s[8:9], s[2:3], 0x10
	s_load_dwordx4 s[16:19], s[2:3], 0x40
	s_mov_b32 s20, s5
	s_mov_b64 s[14:15], 0
	s_waitcnt lgkmcnt(0)
	s_cmp_lg_u64 s[8:9], 0
	s_cselect_b64 s[12:13], -1, 0
	s_cmp_eq_u64 s[8:9], 0
	s_cbranch_scc1 .LBB14_5
; %bb.1:
	s_mov_b32 s21, 0
	s_lshl_b64 s[10:11], s[20:21], 2
	s_add_u32 s8, s8, s10
	s_addc_u32 s9, s9, s11
	s_load_dword s21, s[8:9], 0x0
	s_nop 0
	s_load_dwordx4 s[8:11], s[2:3], 0x68
	s_load_dword s5, s[2:3], 0x50
	s_andn2_b64 vcc, exec, s[14:15]
	s_cbranch_vccnz .LBB14_3
.LBB14_2:
	s_load_dwordx2 s[14:15], s[2:3], 0x5c
	s_waitcnt lgkmcnt(0)
	s_mul_hi_u32 s7, s14, s20
	s_add_i32 s7, s20, s7
	s_lshr_b32 s21, s7, s15
.LBB14_3:
	s_load_dword s22, s[2:3], 0x78
	s_andn2_b64 vcc, exec, s[12:13]
	s_cbranch_vccnz .LBB14_6
; %bb.4:
	s_mul_hi_u32 s7, s17, s20
	s_add_i32 s7, s20, s7
	s_lshr_b32 s7, s7, s18
	s_mul_i32 s7, s7, s19
	s_sub_i32 s23, s20, s7
	s_branch .LBB14_7
.LBB14_5:
                                        ; implicit-def: $sgpr21
	s_load_dwordx4 s[8:11], s[2:3], 0x68
	s_load_dword s5, s[2:3], 0x50
	s_branch .LBB14_2
.LBB14_6:
	s_mov_b32 s23, s20
.LBB14_7:
	s_load_dwordx2 s[18:19], s[0:1], 0x4
	s_load_dwordx4 s[12:15], s[2:3], 0x80
	v_bfe_u32 v11, v0, 10, 10
	v_and_b32_e32 v10, 0x3ff, v0
	v_bfe_u32 v0, v0, 20, 10
	s_waitcnt lgkmcnt(0)
	s_lshr_b32 s0, s18, 16
	v_mul_u32_u24_e32 v1, s19, v11
	s_mul_i32 s0, s0, s19
	v_mad_u32_u24 v1, s0, v10, v1
	v_add_lshl_u32 v1, v1, v0, 3
	v_lshlrev_b32_e32 v2, 6, v11
	v_mov_b32_e32 v0, 0
	v_add_u32_e32 v8, 0x200, v1
	ds_write2_b32 v1, v0, v0 offset0:128 offset1:129
	v_add_u16_e32 v1, v2, v10
	s_lshr_b32 s15, s16, 5
	v_lshrrev_b16_e32 v12, 1, v1
	s_lshl_b32 s7, s4, 1
	v_cmp_gt_u32_e32 vcc, s15, v12
	v_lshlrev_b32_e32 v9, 2, v10
	v_mov_b32_e32 v1, v0
	s_and_saveexec_b64 s[0:1], vcc
	s_cbranch_execz .LBB14_11
; %bb.8:
	s_load_dwordx4 s[16:19], s[2:3], 0x0
	s_mul_i32 s4, s6, s13
	s_mul_i32 s13, s21, s8
	s_mul_hi_u32 s8, s11, s6
	s_add_i32 s8, s6, s8
	s_lshr_b32 s8, s8, s22
	s_mul_i32 s11, s8, s12
	s_mul_hi_u32 s8, s4, 36
	s_mul_i32 s4, s4, 36
	s_mul_i32 s9, s23, s9
	s_waitcnt lgkmcnt(0)
	s_add_u32 s4, s18, s4
	s_mul_hi_u32 s21, s9, 36
	s_mul_i32 s9, s9, 36
	s_addc_u32 s18, s19, s8
	v_add_u32_e32 v1, v2, v10
	s_add_u32 s8, s4, s9
	v_lshrrev_b32_e32 v1, 1, v1
	s_addc_u32 s9, s18, s21
	v_mad_u64_u32 v[4:5], s[8:9], v1, 36, s[8:9]
	s_add_i32 s8, s7, 1
	v_and_b32_e32 v0, 4, v9
	v_mov_b32_e32 v3, 0
	s_mul_i32 s12, s7, s5
	v_and_b32_e32 v2, 1, v10
	s_add_i32 s4, s11, s13
	s_mul_i32 s5, s5, s8
	v_lshlrev_b32_e32 v2, 3, v2
	s_add_i32 s11, s4, s5
	s_add_i32 s12, s4, s12
	s_mov_b64 s[4:5], 0
	v_lshlrev_b32_e32 v6, 1, v0
	v_mov_b32_e32 v7, v3
	s_mov_b64 s[8:9], 0x900
	v_mov_b32_e32 v0, v3
	v_mov_b32_e32 v1, v3
.LBB14_9:                               ; =>This Inner Loop Header: Depth=1
	v_lshl_add_u64 v[14:15], v[4:5], 0, v[2:3]
	v_add_u32_e32 v20, s12, v12
	global_load_dword v13, v[4:5], off
	v_add_u32_e32 v21, s11, v12
	global_load_dwordx2 v[16:17], v[14:15], off offset:4
	global_load_dwordx2 v[18:19], v[14:15], off offset:20
	v_mad_i64_i32 v[14:15], s[18:19], v20, 18, s[16:17]
	v_mad_i64_i32 v[20:21], s[18:19], v21, 18, s[16:17]
	v_lshl_add_u64 v[22:23], v[14:15], 0, v[6:7]
	v_lshl_add_u64 v[24:25], v[20:21], 0, v[6:7]
	global_load_dword v26, v[22:23], off offset:2
	global_load_dword v27, v[22:23], off offset:6
	;; [unrolled: 1-line block ×4, first 2 shown]
	global_load_ushort v30, v[20:21], off
	global_load_ushort v31, v[14:15], off
	v_mov_b32_e32 v15, 0
	v_mov_b32_e32 v20, 0
	v_add_u32_e32 v12, 64, v12
	v_cmp_le_u32_e32 vcc, s15, v12
	v_lshl_add_u64 v[4:5], v[4:5], 0, s[8:9]
	s_or_b64 s[4:5], vcc, s[4:5]
	s_waitcnt vmcnt(8)
	v_cvt_f32_f16_e32 v14, v13
	v_cvt_f32_f16_sdwa v13, v13 dst_sel:DWORD dst_unused:UNUSED_PAD src0_sel:WORD_1
	s_waitcnt vmcnt(5)
	v_and_b32_e32 v22, 0xf0f0f0f, v26
	v_lshrrev_b32_e32 v23, 4, v26
	s_waitcnt vmcnt(4)
	v_and_b32_e32 v24, 0xf0f0f0f, v27
	v_lshrrev_b32_e32 v25, 4, v27
	;; [unrolled: 3-line block ×3, first 2 shown]
	v_and_b32_e32 v23, 0xf0f0f0f, v23
	v_dot4c_i32_i8_e32 v15, v22, v16
	v_and_b32_e32 v22, 0xf0f0f0f, v25
	v_and_b32_e32 v25, 0xf0f0f0f, v27
	v_dot4c_i32_i8_e32 v20, v26, v16
	s_waitcnt vmcnt(2)
	v_and_b32_e32 v28, 0xf0f0f0f, v29
	v_lshrrev_b32_e32 v29, 4, v29
	v_dot4c_i32_i8_e32 v15, v23, v18
	v_dot4c_i32_i8_e32 v20, v25, v18
	v_and_b32_e32 v16, 0xf0f0f0f, v29
	v_dot4c_i32_i8_e32 v15, v24, v17
	v_dot4c_i32_i8_e32 v20, v28, v17
	;; [unrolled: 1-line block ×4, first 2 shown]
	s_waitcnt vmcnt(1)
	v_cvt_f32_f16_e32 v21, v30
	v_mul_f32_e32 v18, 4.0, v13
	v_cvt_f32_i32_e32 v16, v15
	v_cvt_f32_i32_e32 v17, v20
	s_waitcnt vmcnt(0)
	v_cvt_f32_f16_e32 v20, v31
	v_pk_fma_f32 v[14:15], v[14:15], v[16:17], v[18:19] op_sel_hi:[0,1,0] neg_lo:[0,0,1] neg_hi:[0,0,1]
	v_pk_fma_f32 v[0:1], v[14:15], v[20:21], v[0:1]
	s_andn2_b64 exec, exec, s[4:5]
	s_cbranch_execnz .LBB14_9
; %bb.10:
	s_or_b64 exec, exec, s[4:5]
	ds_write2_b32 v8, v0, v1 offset1:1
.LBB14_11:
	s_or_b64 exec, exec, s[0:1]
	v_cmp_eq_u32_e32 vcc, 0, v11
	v_cmp_ne_u32_e64 s[0:1], 0, v11
	s_and_saveexec_b64 s[4:5], s[0:1]
	s_cbranch_execz .LBB14_13
; %bb.12:
	v_lshl_or_b32 v2, v11, 9, v9
	v_add_u32_e32 v2, 0xfffffe00, v2
	ds_write2st64_b32 v2, v0, v1 offset1:1
.LBB14_13:
	s_or_b64 exec, exec, s[4:5]
	s_waitcnt lgkmcnt(0)
	s_barrier
	s_and_saveexec_b64 s[0:1], vcc
	s_cbranch_execz .LBB14_16
; %bb.14:
	v_mbcnt_lo_u32_b32 v0, -1, 0
	v_mbcnt_hi_u32_b32 v4, -1, v0
	v_and_b32_e32 v0, 64, v4
	v_add_u32_e32 v5, 64, v0
	ds_read2st64_b32 v[0:1], v9 offset1:1
	ds_read2_b32 v[2:3], v8 offset1:1
	v_xor_b32_e32 v6, 32, v4
	v_cmp_lt_i32_e32 vcc, v6, v5
	s_load_dword s0, s[2:3], 0x58
	s_mov_b32 s5, 0
	v_cndmask_b32_e32 v6, v4, v6, vcc
	v_lshlrev_b32_e32 v6, 2, v6
	s_waitcnt lgkmcnt(0)
	v_pk_add_f32 v[0:1], v[0:1], v[2:3]
	ds_bpermute_b32 v2, v6, v0
	ds_bpermute_b32 v3, v6, v1
	v_xor_b32_e32 v6, 16, v4
	v_cmp_lt_i32_e32 vcc, v6, v5
	s_waitcnt lgkmcnt(0)
	v_pk_add_f32 v[0:1], v[0:1], v[2:3]
	v_cndmask_b32_e32 v6, v4, v6, vcc
	v_lshlrev_b32_e32 v6, 2, v6
	ds_bpermute_b32 v2, v6, v0
	ds_bpermute_b32 v3, v6, v1
	v_xor_b32_e32 v6, 8, v4
	v_cmp_lt_i32_e32 vcc, v6, v5
	s_waitcnt lgkmcnt(0)
	v_pk_add_f32 v[0:1], v[0:1], v[2:3]
	v_cndmask_b32_e32 v6, v4, v6, vcc
	v_lshlrev_b32_e32 v6, 2, v6
	;; [unrolled: 8-line block ×5, first 2 shown]
	ds_bpermute_b32 v2, v4, v0
	ds_bpermute_b32 v3, v4, v1
	v_cmp_gt_u32_e32 vcc, 2, v10
	s_waitcnt lgkmcnt(0)
	v_pk_add_f32 v[0:1], v[0:1], v[2:3]
	ds_write2_b32 v8, v0, v1 offset1:1
	v_or_b32_e32 v0, s7, v10
	v_cmp_gt_u32_e64 s[0:1], s0, v0
	s_and_b64 s[0:1], vcc, s[0:1]
	s_and_b64 exec, exec, s[0:1]
	s_cbranch_execz .LBB14_16
; %bb.15:
	s_load_dwordx2 s[0:1], s[2:3], 0x38
	s_mul_i32 s2, s20, s10
	v_add_u32_e32 v0, v8, v9
	s_add_i32 s2, s2, s7
	s_mul_i32 s6, s6, s14
	ds_read_b32 v0, v0
	s_add_i32 s4, s2, s6
	s_lshl_b64 s[2:3], s[4:5], 2
	s_waitcnt lgkmcnt(0)
	s_add_u32 s0, s0, s2
	s_addc_u32 s1, s1, s3
	global_store_dword v9, v0, s[0:1]
.LBB14_16:
	s_endpgm
	.section	.rodata,"a",@progbits
	.p2align	6, 0x0
	.amdhsa_kernel _ZL13mul_mat_vec_qIL9ggml_type2ELi1ELb0ELb1EEvPKvS2_PKi31ggml_cuda_mm_fusion_args_devicePfj15HIP_vector_typeIjLj3EEjjjS8_jjjS8_jjjj
		.amdhsa_group_segment_fixed_size 1536
		.amdhsa_private_segment_fixed_size 0
		.amdhsa_kernarg_size 144
		.amdhsa_user_sgpr_count 4
		.amdhsa_user_sgpr_dispatch_ptr 1
		.amdhsa_user_sgpr_queue_ptr 0
		.amdhsa_user_sgpr_kernarg_segment_ptr 1
		.amdhsa_user_sgpr_dispatch_id 0
		.amdhsa_user_sgpr_kernarg_preload_length 0
		.amdhsa_user_sgpr_kernarg_preload_offset 0
		.amdhsa_user_sgpr_private_segment_size 0
		.amdhsa_uses_dynamic_stack 0
		.amdhsa_enable_private_segment 0
		.amdhsa_system_sgpr_workgroup_id_x 1
		.amdhsa_system_sgpr_workgroup_id_y 1
		.amdhsa_system_sgpr_workgroup_id_z 1
		.amdhsa_system_sgpr_workgroup_info 0
		.amdhsa_system_vgpr_workitem_id 2
		.amdhsa_next_free_vgpr 32
		.amdhsa_next_free_sgpr 24
		.amdhsa_accum_offset 32
		.amdhsa_reserve_vcc 1
		.amdhsa_float_round_mode_32 0
		.amdhsa_float_round_mode_16_64 0
		.amdhsa_float_denorm_mode_32 3
		.amdhsa_float_denorm_mode_16_64 3
		.amdhsa_dx10_clamp 1
		.amdhsa_ieee_mode 1
		.amdhsa_fp16_overflow 0
		.amdhsa_tg_split 0
		.amdhsa_exception_fp_ieee_invalid_op 0
		.amdhsa_exception_fp_denorm_src 0
		.amdhsa_exception_fp_ieee_div_zero 0
		.amdhsa_exception_fp_ieee_overflow 0
		.amdhsa_exception_fp_ieee_underflow 0
		.amdhsa_exception_fp_ieee_inexact 0
		.amdhsa_exception_int_div_zero 0
	.end_amdhsa_kernel
	.section	.text._ZL13mul_mat_vec_qIL9ggml_type2ELi1ELb0ELb1EEvPKvS2_PKi31ggml_cuda_mm_fusion_args_devicePfj15HIP_vector_typeIjLj3EEjjjS8_jjjS8_jjjj,"axG",@progbits,_ZL13mul_mat_vec_qIL9ggml_type2ELi1ELb0ELb1EEvPKvS2_PKi31ggml_cuda_mm_fusion_args_devicePfj15HIP_vector_typeIjLj3EEjjjS8_jjjS8_jjjj,comdat
.Lfunc_end14:
	.size	_ZL13mul_mat_vec_qIL9ggml_type2ELi1ELb0ELb1EEvPKvS2_PKi31ggml_cuda_mm_fusion_args_devicePfj15HIP_vector_typeIjLj3EEjjjS8_jjjS8_jjjj, .Lfunc_end14-_ZL13mul_mat_vec_qIL9ggml_type2ELi1ELb0ELb1EEvPKvS2_PKi31ggml_cuda_mm_fusion_args_devicePfj15HIP_vector_typeIjLj3EEjjjS8_jjjS8_jjjj
                                        ; -- End function
	.section	.AMDGPU.csdata,"",@progbits
; Kernel info:
; codeLenInByte = 1324
; NumSgprs: 30
; NumVgprs: 32
; NumAgprs: 0
; TotalNumVgprs: 32
; ScratchSize: 0
; MemoryBound: 0
; FloatMode: 240
; IeeeMode: 1
; LDSByteSize: 1536 bytes/workgroup (compile time only)
; SGPRBlocks: 3
; VGPRBlocks: 3
; NumSGPRsForWavesPerEU: 30
; NumVGPRsForWavesPerEU: 32
; AccumOffset: 32
; Occupancy: 8
; WaveLimiterHint : 0
; COMPUTE_PGM_RSRC2:SCRATCH_EN: 0
; COMPUTE_PGM_RSRC2:USER_SGPR: 4
; COMPUTE_PGM_RSRC2:TRAP_HANDLER: 0
; COMPUTE_PGM_RSRC2:TGID_X_EN: 1
; COMPUTE_PGM_RSRC2:TGID_Y_EN: 1
; COMPUTE_PGM_RSRC2:TGID_Z_EN: 1
; COMPUTE_PGM_RSRC2:TIDIG_COMP_CNT: 2
; COMPUTE_PGM_RSRC3_GFX90A:ACCUM_OFFSET: 7
; COMPUTE_PGM_RSRC3_GFX90A:TG_SPLIT: 0
	.section	.text._ZL13mul_mat_vec_qIL9ggml_type2ELi1ELb1ELb0EEvPKvS2_PKi31ggml_cuda_mm_fusion_args_devicePfj15HIP_vector_typeIjLj3EEjjjS8_jjjS8_jjjj,"axG",@progbits,_ZL13mul_mat_vec_qIL9ggml_type2ELi1ELb1ELb0EEvPKvS2_PKi31ggml_cuda_mm_fusion_args_devicePfj15HIP_vector_typeIjLj3EEjjjS8_jjjS8_jjjj,comdat
	.globl	_ZL13mul_mat_vec_qIL9ggml_type2ELi1ELb1ELb0EEvPKvS2_PKi31ggml_cuda_mm_fusion_args_devicePfj15HIP_vector_typeIjLj3EEjjjS8_jjjS8_jjjj ; -- Begin function _ZL13mul_mat_vec_qIL9ggml_type2ELi1ELb1ELb0EEvPKvS2_PKi31ggml_cuda_mm_fusion_args_devicePfj15HIP_vector_typeIjLj3EEjjjS8_jjjS8_jjjj
	.p2align	8
	.type	_ZL13mul_mat_vec_qIL9ggml_type2ELi1ELb1ELb0EEvPKvS2_PKi31ggml_cuda_mm_fusion_args_devicePfj15HIP_vector_typeIjLj3EEjjjS8_jjjS8_jjjj,@function
_ZL13mul_mat_vec_qIL9ggml_type2ELi1ELb1ELb0EEvPKvS2_PKi31ggml_cuda_mm_fusion_args_devicePfj15HIP_vector_typeIjLj3EEjjjS8_jjjS8_jjjj: ; @_ZL13mul_mat_vec_qIL9ggml_type2ELi1ELb1ELb0EEvPKvS2_PKi31ggml_cuda_mm_fusion_args_devicePfj15HIP_vector_typeIjLj3EEjjjS8_jjjS8_jjjj
; %bb.0:
	s_load_dwordx8 s[16:23], s[0:1], 0x0
	s_load_dwordx4 s[36:39], s[0:1], 0x20
	s_load_dwordx4 s[8:11], s[0:1], 0x40
	;; [unrolled: 1-line block ×3, first 2 shown]
	s_mov_b32 s14, s3
	s_waitcnt lgkmcnt(0)
	s_cmp_lg_u64 s[20:21], 0
	s_cselect_b64 s[6:7], -1, 0
	s_cmp_eq_u64 s[20:21], 0
	s_mov_b64 s[12:13], 0
	s_cbranch_scc1 .LBB15_5
; %bb.1:
	s_mov_b32 s15, 0
	s_lshl_b64 s[28:29], s[14:15], 2
	s_add_u32 s20, s20, s28
	s_addc_u32 s21, s21, s29
	s_load_dword s5, s[20:21], 0x0
	s_load_dword s15, s[0:1], 0x50
	;; [unrolled: 1-line block ×3, first 2 shown]
	s_andn2_b64 vcc, exec, s[12:13]
	s_cbranch_vccnz .LBB15_3
.LBB15_2:
	s_load_dwordx2 s[12:13], s[0:1], 0x5c
	s_waitcnt lgkmcnt(0)
	s_mul_hi_u32 s3, s12, s14
	s_add_i32 s3, s14, s3
	s_lshr_b32 s5, s3, s13
.LBB15_3:
	s_andn2_b64 vcc, exec, s[6:7]
	s_cbranch_vccnz .LBB15_6
; %bb.4:
	s_mul_hi_u32 s3, s9, s14
	s_add_i32 s3, s14, s3
	s_lshr_b32 s3, s3, s10
	s_mul_i32 s3, s3, s11
	s_sub_i32 s34, s14, s3
	s_waitcnt lgkmcnt(0)
	s_mov_b32 s3, s5
	s_branch .LBB15_7
.LBB15_5:
                                        ; implicit-def: $sgpr5
	s_load_dword s15, s[0:1], 0x50
	s_load_dword s33, s[0:1], 0x78
	s_branch .LBB15_2
.LBB15_6:
	s_mov_b32 s3, s14
	s_mov_b32 s34, s14
.LBB15_7:
	s_load_dwordx4 s[28:31], s[0:1], 0x80
	v_bfe_u32 v20, v0, 10, 10
	v_and_b32_e32 v17, 0x3ff, v0
	s_cmp_lg_u64 s[22:23], 0
	v_or_b32_e32 v0, v20, v17
	s_cselect_b64 s[12:13], -1, 0
	v_cmp_eq_u32_e32 vcc, 0, v0
	s_mov_b32 s21, 0
	s_and_b64 s[40:41], vcc, s[12:13]
	v_mov_b32_e32 v18, 0
	s_mul_i32 s10, s3, s26
	v_lshlrev_b32_e32 v16, 2, v17
	v_mov_b32_e32 v19, 0
	s_and_saveexec_b64 s[6:7], s[40:41]
	s_cbranch_execz .LBB15_9
; %bb.8:
	s_waitcnt lgkmcnt(0)
	s_mul_i32 s20, s4, s30
	s_lshl_b64 s[40:41], s[20:21], 2
	s_add_u32 s3, s22, s40
	s_mov_b32 s11, s21
	s_addc_u32 s9, s23, s41
	s_lshl_b64 s[20:21], s[10:11], 2
	s_add_u32 s11, s3, s20
	s_addc_u32 s9, s9, s21
	s_ashr_i32 s3, s2, 31
	s_lshl_b64 s[20:21], s[2:3], 2
	s_add_u32 s20, s11, s20
	s_addc_u32 s21, s9, s21
	global_load_dword v19, v16, s[20:21]
.LBB15_9:
	s_or_b64 exec, exec, s[6:7]
	s_cmp_lg_u64 s[36:37], 0
	s_cselect_b64 s[20:21], -1, 0
	s_cmp_lg_u64 s[38:39], 0
	s_cselect_b64 s[6:7], -1, 0
	s_and_b64 s[22:23], s[6:7], s[20:21]
	s_and_b64 s[40:41], vcc, s[22:23]
	s_and_saveexec_b64 s[22:23], s[40:41]
	s_cbranch_execz .LBB15_11
; %bb.10:
	s_waitcnt lgkmcnt(0)
	s_mul_i32 s40, s4, s30
	s_mov_b32 s41, 0
	s_lshl_b64 s[42:43], s[40:41], 2
	s_add_u32 s3, s38, s42
	s_mov_b32 s11, s41
	s_addc_u32 s9, s39, s43
	s_lshl_b64 s[10:11], s[10:11], 2
	s_add_u32 s31, s3, s10
	s_addc_u32 s9, s9, s11
	s_ashr_i32 s3, s2, 31
	s_lshl_b64 s[10:11], s[2:3], 2
	s_add_u32 s10, s31, s10
	s_addc_u32 s11, s9, s11
	global_load_dword v18, v16, s[10:11]
.LBB15_11:
	s_or_b64 exec, exec, s[22:23]
	v_lshlrev_b32_e32 v0, 6, v20
	v_xor_b32_e32 v2, v0, v17
	v_and_b32_e32 v1, v0, v17
	v_lshrrev_b16_e32 v2, 1, v2
	s_lshr_b32 s3, s8, 5
	v_add_u16_e32 v23, v1, v2
	v_cndmask_b32_e64 v1, 0, 1, s[20:21]
	v_cmp_gt_u32_e32 vcc, s3, v23
	v_mov_b32_e32 v22, 0
	v_cmp_ne_u32_e64 s[8:9], 1, v1
	v_mov_b32_e32 v21, 0
	s_and_saveexec_b64 s[10:11], vcc
	s_cbranch_execz .LBB15_17
; %bb.12:
	s_mul_hi_u32 s22, s27, s4
	s_add_i32 s22, s4, s22
	s_waitcnt lgkmcnt(0)
	s_lshr_b32 s22, s22, s33
	s_mul_i32 s5, s5, s24
	s_mul_i32 s22, s22, s28
	;; [unrolled: 1-line block ×4, first 2 shown]
	s_add_i32 s5, s22, s5
	s_add_i32 s5, s5, s15
	s_mul_hi_u32 s22, s20, 36
	s_mul_i32 s20, s20, 36
	s_mul_i32 s21, s34, s25
	s_add_u32 s18, s18, s20
	s_mul_hi_u32 s15, s21, 36
	s_mul_i32 s21, s21, 36
	s_addc_u32 s19, s19, s22
	v_add_u32_e32 v2, v0, v17
	s_add_u32 s18, s18, s21
	v_lshrrev_b32_e32 v2, 1, v2
	s_addc_u32 s19, s19, s15
	v_and_b32_e32 v4, 4, v16
	v_mov_b32_e32 v1, 0
	v_and_b32_e32 v0, 1, v17
	v_mad_u64_u32 v[2:3], s[18:19], v2, 36, s[18:19]
	v_lshlrev_b32_e32 v0, 3, v0
	s_mov_b64 s[18:19], 0
	v_lshlrev_b32_e32 v4, 1, v4
	v_mov_b32_e32 v5, v1
	v_mov_b32_e32 v7, 4.0
	s_mov_b64 s[20:21], 0x900
	v_mov_b32_e32 v22, v1
	v_mov_b32_e32 v21, v1
	s_branch .LBB15_14
.LBB15_13:                              ;   in Loop: Header=BB15_14 Depth=1
	v_add_u32_e32 v23, 64, v23
	v_sub_f32_e32 v6, v14, v15
	v_cmp_le_u32_e32 vcc, s3, v23
	s_waitcnt vmcnt(0)
	v_fma_mix_f32 v22, v6, v24, v22 op_sel_hi:[0,1,0]
	s_or_b64 s[18:19], vcc, s[18:19]
	v_lshl_add_u64 v[2:3], v[2:3], 0, s[20:21]
	s_andn2_b64 exec, exec, s[18:19]
	s_cbranch_execz .LBB15_16
.LBB15_14:                              ; =>This Inner Loop Header: Depth=1
	v_add_u32_e32 v25, s5, v23
	v_mad_i64_i32 v[12:13], s[22:23], v25, 18, s[16:17]
	v_lshl_add_u64 v[8:9], v[12:13], 0, v[4:5]
	global_load_dword v26, v[2:3], off
	global_load_dword v6, v[8:9], off offset:2
	global_load_dword v27, v[8:9], off offset:6
	v_lshl_add_u64 v[14:15], v[2:3], 0, v[0:1]
	global_load_dwordx2 v[10:11], v[14:15], off offset:4
	global_load_dwordx2 v[8:9], v[14:15], off offset:20
	global_load_ushort v24, v[12:13], off
	v_mov_b32_e32 v12, 0
	s_and_b64 vcc, exec, s[8:9]
	s_waitcnt vmcnt(5)
	v_cvt_f32_f16_sdwa v13, v26 dst_sel:DWORD dst_unused:UNUSED_PAD src0_sel:WORD_1
	s_waitcnt vmcnt(4)
	v_and_b32_e32 v14, 0xf0f0f0f, v6
	v_lshrrev_b32_e32 v6, 4, v6
	v_and_b32_e32 v6, 0xf0f0f0f, v6
	s_waitcnt vmcnt(2)
	v_dot4c_i32_i8_e32 v12, v14, v10
	v_and_b32_e32 v15, 0xf0f0f0f, v27
	v_lshrrev_b32_e32 v27, 4, v27
	s_waitcnt vmcnt(1)
	v_dot4c_i32_i8_e32 v12, v6, v8
	v_and_b32_e32 v14, 0xf0f0f0f, v27
	v_dot4c_i32_i8_e32 v12, v15, v11
	v_dot4c_i32_i8_e32 v12, v14, v9
	s_nop 2
	v_cvt_f32_i32_e32 v6, v12
	v_cvt_f32_f16_e32 v12, v26
	v_pk_mul_f32 v[14:15], v[6:7], v[12:13]
	s_cbranch_vccnz .LBB15_13
; %bb.15:                               ;   in Loop: Header=BB15_14 Depth=1
	v_mad_i64_i32 v[26:27], s[22:23], v25, 18, s[36:37]
	v_lshl_add_u64 v[28:29], v[26:27], 0, v[4:5]
	global_load_dword v6, v[28:29], off offset:2
	global_load_dword v13, v[28:29], off offset:6
	global_load_ushort v25, v[26:27], off
	v_mov_b32_e32 v26, 0
	s_waitcnt vmcnt(2)
	v_and_b32_e32 v27, 0xf0f0f0f, v6
	v_lshrrev_b32_e32 v6, 4, v6
	v_and_b32_e32 v6, 0xf0f0f0f, v6
	v_dot4c_i32_i8_e32 v26, v27, v10
	s_waitcnt vmcnt(1)
	v_and_b32_e32 v28, 0xf0f0f0f, v13
	v_lshrrev_b32_e32 v13, 4, v13
	v_dot4c_i32_i8_e32 v26, v6, v8
	v_and_b32_e32 v6, 0xf0f0f0f, v13
	v_dot4c_i32_i8_e32 v26, v28, v11
	v_dot4c_i32_i8_e32 v26, v6, v9
	s_nop 2
	v_cvt_f32_i32_e32 v6, v26
	v_fma_f32 v6, v12, v6, -v15
	s_waitcnt vmcnt(0)
	v_fma_mix_f32 v21, v6, v25, v21 op_sel_hi:[0,1,0]
	s_branch .LBB15_13
.LBB15_16:
	s_or_b64 exec, exec, s[18:19]
.LBB15_17:
	s_or_b64 exec, exec, s[10:11]
	s_load_dword s3, s[0:1], 0x30
	v_cmp_eq_u32_e64 s[10:11], 0, v20
	v_cmp_ne_u32_e32 vcc, 0, v20
	s_and_saveexec_b64 s[16:17], vcc
	s_cbranch_execz .LBB15_20
; %bb.18:
	v_add_u32_e32 v0, -1, v20
	v_lshl_add_u32 v0, v0, 8, v16
	s_and_b64 vcc, exec, s[8:9]
	ds_write_b32 v0, v22
	s_cbranch_vccnz .LBB15_20
; %bb.19:
	ds_write_b32 v0, v21 offset:256
.LBB15_20:
	s_or_b64 exec, exec, s[16:17]
	s_waitcnt lgkmcnt(0)
	s_barrier
	s_and_saveexec_b64 s[16:17], s[10:11]
	s_cbranch_execz .LBB15_49
; %bb.21:
	ds_read_b32 v0, v16
	s_and_b64 vcc, exec, s[8:9]
	s_cbranch_vccnz .LBB15_23
; %bb.22:
	ds_read_b32 v1, v16 offset:256
	s_waitcnt lgkmcnt(0)
	v_add_f32_e32 v21, v21, v1
.LBB15_23:
	s_waitcnt lgkmcnt(0)
	v_add_f32_e32 v1, v22, v0
	v_mbcnt_lo_u32_b32 v0, -1, 0
	v_mbcnt_hi_u32_b32 v4, -1, v0
	v_and_b32_e32 v0, 64, v4
	v_add_u32_e32 v7, 64, v0
	v_xor_b32_e32 v0, 32, v4
	v_cmp_lt_i32_e32 vcc, v0, v7
	v_xor_b32_e32 v3, 16, v4
	v_xor_b32_e32 v5, 8, v4
	v_cndmask_b32_e32 v0, v4, v0, vcc
	v_lshlrev_b32_e32 v0, 2, v0
	ds_bpermute_b32 v2, v0, v1
	v_cmp_lt_i32_e32 vcc, v3, v7
	v_xor_b32_e32 v6, 4, v4
	v_xor_b32_e32 v8, 2, v4
	v_xor_b32_e32 v9, 1, v4
	s_waitcnt lgkmcnt(0)
	v_add_f32_e32 v2, v1, v2
	v_cndmask_b32_e32 v1, v4, v3, vcc
	v_lshlrev_b32_e32 v1, 2, v1
	ds_bpermute_b32 v3, v1, v2
	v_cmp_lt_i32_e32 vcc, v5, v7
	s_waitcnt lgkmcnt(0)
	v_add_f32_e32 v2, v2, v3
	v_cndmask_b32_e32 v3, v4, v5, vcc
	v_lshlrev_b32_e32 v3, 2, v3
	ds_bpermute_b32 v5, v3, v2
	v_cmp_lt_i32_e32 vcc, v6, v7
	;; [unrolled: 6-line block ×4, first 2 shown]
	s_waitcnt lgkmcnt(0)
	v_add_f32_e32 v2, v2, v8
	v_cndmask_b32_e32 v4, v4, v9, vcc
	v_lshlrev_b32_e32 v7, 2, v4
	ds_bpermute_b32 v4, v7, v2
	s_and_b64 vcc, exec, s[8:9]
	s_cbranch_vccnz .LBB15_25
; %bb.24:
	ds_bpermute_b32 v0, v0, v21
	s_waitcnt lgkmcnt(0)
	v_add_f32_e32 v0, v21, v0
	ds_bpermute_b32 v1, v1, v0
	s_waitcnt lgkmcnt(0)
	v_add_f32_e32 v0, v0, v1
	;; [unrolled: 3-line block ×6, first 2 shown]
.LBB15_25:
	v_cmp_eq_u32_e32 vcc, 0, v17
	s_and_b64 exec, exec, vcc
	s_cbranch_execz .LBB15_49
; %bb.26:
	s_waitcnt lgkmcnt(0)
	v_add_f32_e32 v0, v2, v4
	s_waitcnt vmcnt(0)
	v_add_f32_e32 v1, v19, v0
	s_and_b64 vcc, exec, s[8:9]
	v_cndmask_b32_e64 v0, v0, v1, s[12:13]
	s_cbranch_vccnz .LBB15_48
; %bb.27:
	v_add_f32_e32 v1, v18, v21
	v_cndmask_b32_e64 v1, v21, v1, s[6:7]
	s_cmp_lt_i32 s3, 2
	s_mov_b64 s[6:7], 0
	s_cbranch_scc1 .LBB15_31
; %bb.28:
	s_cmp_gt_i32 s3, 2
	s_cbranch_scc0 .LBB15_32
; %bb.29:
	s_cmp_eq_u32 s3, 3
	s_cbranch_scc0 .LBB15_33
; %bb.30:
	v_max_f32_e32 v2, v1, v1
	v_min_f32_e32 v4, 0x40e00000, v2
	v_mul_f32_e32 v3, 0xbfd9db23, v4
	s_mov_b32 s5, 0x3fb8aa3b
	v_mul_f32_e32 v2, 0x3fb8aa3b, v3
	v_fma_f32 v5, v3, s5, -v2
	v_rndne_f32_e32 v6, v2
	v_fmamk_f32 v5, v3, 0x32a5705f, v5
	v_sub_f32_e32 v2, v2, v6
	v_add_f32_e32 v2, v2, v5
	v_exp_f32_e32 v5, v2
	v_cvt_i32_f32_e32 v6, v6
	s_mov_b32 s5, 0xc2ce8ed0
	v_max_f32_e32 v2, v0, v0
	v_cmp_ngt_f32_e32 vcc, s5, v3
	v_ldexp_f32 v5, v5, v6
	s_mov_b32 s5, 0x42b17218
	v_min_f32_e32 v2, 0x40e00000, v2
	v_cndmask_b32_e32 v5, 0, v5, vcc
	v_mov_b32_e32 v6, 0x7f800000
	v_cmp_nlt_f32_e32 vcc, s5, v3
	v_max_f32_e32 v2, 0xc0e00000, v2
	s_nop 0
	v_cndmask_b32_e32 v3, v6, v5, vcc
	v_pk_add_f32 v[2:3], v[2:3], 1.0 op_sel_hi:[1,0]
	s_nop 0
	v_div_scale_f32 v5, s[8:9], v3, v3, v4
	v_rcp_f32_e32 v6, v5
	s_mov_b64 s[8:9], 0
	v_fma_f32 v7, -v5, v6, 1.0
	v_fmac_f32_e32 v6, v7, v6
	v_div_scale_f32 v7, vcc, v4, v3, v4
	v_mul_f32_e32 v8, v7, v6
	v_fma_f32 v9, -v5, v8, v7
	v_fmac_f32_e32 v8, v9, v6
	v_fma_f32 v5, -v5, v8, v7
	v_div_fmas_f32 v5, v5, v6, v8
	v_div_fixup_f32 v3, v5, v3, v4
	v_mul_f32_e32 v2, v2, v3
	s_branch .LBB15_34
.LBB15_31:
                                        ; implicit-def: $vgpr2
	s_mov_b64 s[8:9], 0
	s_cbranch_execnz .LBB15_38
	s_branch .LBB15_39
.LBB15_32:
	s_mov_b64 s[10:11], -1
	s_mov_b64 s[8:9], 0
                                        ; implicit-def: $vgpr2
	s_branch .LBB15_35
.LBB15_33:
	s_mov_b64 s[8:9], -1
                                        ; implicit-def: $vgpr2
.LBB15_34:
	s_mov_b64 s[10:11], 0
.LBB15_35:
	s_and_b64 vcc, exec, s[10:11]
	s_cbranch_vccz .LBB15_37
; %bb.36:
	v_mul_f32_e32 v2, 0xbfb8aa3b, v1
	s_mov_b32 s5, 0xbfb8aa3b
	v_rndne_f32_e32 v3, v2
	v_sub_f32_e32 v4, v2, v3
	v_fma_f32 v2, v1, s5, -v2
	v_fmamk_f32 v2, v1, 0xb2a5705f, v2
	v_add_f32_e32 v2, v4, v2
	v_exp_f32_e32 v2, v2
	v_cvt_i32_f32_e32 v3, v3
	s_mov_b32 s5, 0x42ce8ed0
	v_cmp_nlt_f32_e32 vcc, s5, v1
	s_mov_b32 s5, 0xc2b17218
	v_ldexp_f32 v2, v2, v3
	v_cndmask_b32_e32 v2, 0, v2, vcc
	v_mov_b32_e32 v3, 0x7f800000
	v_cmp_ngt_f32_e32 vcc, s5, v1
	s_nop 1
	v_cndmask_b32_e32 v2, v3, v2, vcc
	v_add_f32_e32 v2, 1.0, v2
	v_div_scale_f32 v3, s[10:11], v2, v2, v1
	v_rcp_f32_e32 v4, v3
	s_nop 0
	v_fma_f32 v5, -v3, v4, 1.0
	v_fmac_f32_e32 v4, v5, v4
	v_div_scale_f32 v5, vcc, v1, v2, v1
	v_mul_f32_e32 v6, v5, v4
	v_fma_f32 v7, -v3, v6, v5
	v_fmac_f32_e32 v6, v7, v4
	v_fma_f32 v3, -v3, v6, v5
	v_div_fmas_f32 v3, v3, v4, v6
	v_div_fixup_f32 v2, v3, v2, v1
	v_mul_f32_e32 v2, v0, v2
.LBB15_37:
	s_branch .LBB15_39
.LBB15_38:
	s_cmp_lg_u32 s3, 1
	s_mov_b64 s[6:7], -1
	s_cselect_b64 s[8:9], -1, 0
                                        ; implicit-def: $vgpr2
.LBB15_39:
	s_andn2_b64 vcc, exec, s[8:9]
	s_cbranch_vccz .LBB15_41
; %bb.40:
	s_andn2_b64 vcc, exec, s[6:7]
	s_cbranch_vccz .LBB15_42
	s_branch .LBB15_47
.LBB15_41:
	v_mul_f32_e32 v2, v0, v1
	s_cbranch_execnz .LBB15_47
.LBB15_42:
	v_mul_f32_e32 v3, 0x3d372713, v1
	v_mul_f32_e32 v2, 0x3f4c422a, v1
	v_fma_f32 v3, v1, v3, 1.0
	v_mul_f32_e32 v2, v2, v3
	s_mov_b32 s3, 0x3f200000
	v_cmp_nlt_f32_e64 s[6:7], |v2|, s3
                                        ; implicit-def: $vgpr3
	s_and_saveexec_b64 s[8:9], s[6:7]
	s_xor_b64 s[6:7], exec, s[8:9]
	s_cbranch_execz .LBB15_44
; %bb.43:
	v_add_f32_e64 v3, |v2|, |v2|
	v_mul_f32_e32 v4, 0x3fb8aa3b, v3
	s_mov_b32 s3, 0x3fb8aa3b
	v_rndne_f32_e32 v5, v4
	v_sub_f32_e32 v6, v4, v5
	v_fma_f32 v4, v3, s3, -v4
	v_fmamk_f32 v4, v3, 0x32a5705f, v4
	v_add_f32_e32 v4, v6, v4
	v_exp_f32_e32 v4, v4
	v_cvt_i32_f32_e32 v5, v5
	s_mov_b32 s3, 0xc2ce8ed0
	v_cmp_ngt_f32_e32 vcc, s3, v3
	s_mov_b32 s3, 0x42b17218
	v_ldexp_f32 v4, v4, v5
	v_cndmask_b32_e32 v4, 0, v4, vcc
	v_mov_b32_e32 v5, 0x7f800000
	v_cmp_nlt_f32_e32 vcc, s3, v3
	s_nop 1
	v_cndmask_b32_e32 v3, v5, v4, vcc
	v_add_f32_e32 v3, 1.0, v3
	v_rcp_f32_e32 v3, v3
	s_nop 0
	v_fma_f32 v3, v3, -2.0, 1.0
.LBB15_44:
	s_andn2_saveexec_b64 s[6:7], s[6:7]
; %bb.45:
	v_mul_f32_e32 v3, v2, v2
	v_mov_b32_e32 v4, 0x3ca908c9
	v_fmac_f32_e32 v4, 0xbbbac73d, v3
	v_fmaak_f32 v4, v3, v4, 0xbd5c1c4e
	v_fmaak_f32 v4, v3, v4, 0x3e088382
	;; [unrolled: 1-line block ×3, first 2 shown]
	v_mul_f32_e64 v4, |v2|, v4
	v_fma_f32 v3, v3, v4, |v2|
; %bb.46:
	s_or_b64 exec, exec, s[6:7]
	s_brev_b32 s3, -2
	v_bfi_b32 v2, s3, v3, v2
	v_mul_f32_e32 v1, 0.5, v1
	v_add_f32_e32 v2, 1.0, v2
	v_mul_f32_e32 v1, v1, v2
	v_mul_f32_e32 v2, v0, v1
.LBB15_47:
	v_mov_b32_e32 v0, v2
.LBB15_48:
	s_load_dwordx2 s[0:1], s[0:1], 0x38
	s_mul_i32 s3, s14, s26
	s_mul_i32 s4, s4, s30
	s_add_i32 s2, s3, s2
	s_add_i32 s2, s2, s4
	s_mov_b32 s3, 0
	s_lshl_b64 s[2:3], s[2:3], 2
	s_waitcnt lgkmcnt(0)
	s_add_u32 s0, s0, s2
	s_addc_u32 s1, s1, s3
	global_store_dword v16, v0, s[0:1]
.LBB15_49:
	s_endpgm
	.section	.rodata,"a",@progbits
	.p2align	6, 0x0
	.amdhsa_kernel _ZL13mul_mat_vec_qIL9ggml_type2ELi1ELb1ELb0EEvPKvS2_PKi31ggml_cuda_mm_fusion_args_devicePfj15HIP_vector_typeIjLj3EEjjjS8_jjjS8_jjjj
		.amdhsa_group_segment_fixed_size 512
		.amdhsa_private_segment_fixed_size 0
		.amdhsa_kernarg_size 144
		.amdhsa_user_sgpr_count 2
		.amdhsa_user_sgpr_dispatch_ptr 0
		.amdhsa_user_sgpr_queue_ptr 0
		.amdhsa_user_sgpr_kernarg_segment_ptr 1
		.amdhsa_user_sgpr_dispatch_id 0
		.amdhsa_user_sgpr_kernarg_preload_length 0
		.amdhsa_user_sgpr_kernarg_preload_offset 0
		.amdhsa_user_sgpr_private_segment_size 0
		.amdhsa_uses_dynamic_stack 0
		.amdhsa_enable_private_segment 0
		.amdhsa_system_sgpr_workgroup_id_x 1
		.amdhsa_system_sgpr_workgroup_id_y 1
		.amdhsa_system_sgpr_workgroup_id_z 1
		.amdhsa_system_sgpr_workgroup_info 0
		.amdhsa_system_vgpr_workitem_id 1
		.amdhsa_next_free_vgpr 30
		.amdhsa_next_free_sgpr 44
		.amdhsa_accum_offset 32
		.amdhsa_reserve_vcc 1
		.amdhsa_float_round_mode_32 0
		.amdhsa_float_round_mode_16_64 0
		.amdhsa_float_denorm_mode_32 3
		.amdhsa_float_denorm_mode_16_64 3
		.amdhsa_dx10_clamp 1
		.amdhsa_ieee_mode 1
		.amdhsa_fp16_overflow 0
		.amdhsa_tg_split 0
		.amdhsa_exception_fp_ieee_invalid_op 0
		.amdhsa_exception_fp_denorm_src 0
		.amdhsa_exception_fp_ieee_div_zero 0
		.amdhsa_exception_fp_ieee_overflow 0
		.amdhsa_exception_fp_ieee_underflow 0
		.amdhsa_exception_fp_ieee_inexact 0
		.amdhsa_exception_int_div_zero 0
	.end_amdhsa_kernel
	.section	.text._ZL13mul_mat_vec_qIL9ggml_type2ELi1ELb1ELb0EEvPKvS2_PKi31ggml_cuda_mm_fusion_args_devicePfj15HIP_vector_typeIjLj3EEjjjS8_jjjS8_jjjj,"axG",@progbits,_ZL13mul_mat_vec_qIL9ggml_type2ELi1ELb1ELb0EEvPKvS2_PKi31ggml_cuda_mm_fusion_args_devicePfj15HIP_vector_typeIjLj3EEjjjS8_jjjS8_jjjj,comdat
.Lfunc_end15:
	.size	_ZL13mul_mat_vec_qIL9ggml_type2ELi1ELb1ELb0EEvPKvS2_PKi31ggml_cuda_mm_fusion_args_devicePfj15HIP_vector_typeIjLj3EEjjjS8_jjjS8_jjjj, .Lfunc_end15-_ZL13mul_mat_vec_qIL9ggml_type2ELi1ELb1ELb0EEvPKvS2_PKi31ggml_cuda_mm_fusion_args_devicePfj15HIP_vector_typeIjLj3EEjjjS8_jjjS8_jjjj
                                        ; -- End function
	.section	.AMDGPU.csdata,"",@progbits
; Kernel info:
; codeLenInByte = 2396
; NumSgprs: 50
; NumVgprs: 30
; NumAgprs: 0
; TotalNumVgprs: 30
; ScratchSize: 0
; MemoryBound: 0
; FloatMode: 240
; IeeeMode: 1
; LDSByteSize: 512 bytes/workgroup (compile time only)
; SGPRBlocks: 6
; VGPRBlocks: 3
; NumSGPRsForWavesPerEU: 50
; NumVGPRsForWavesPerEU: 30
; AccumOffset: 32
; Occupancy: 8
; WaveLimiterHint : 0
; COMPUTE_PGM_RSRC2:SCRATCH_EN: 0
; COMPUTE_PGM_RSRC2:USER_SGPR: 2
; COMPUTE_PGM_RSRC2:TRAP_HANDLER: 0
; COMPUTE_PGM_RSRC2:TGID_X_EN: 1
; COMPUTE_PGM_RSRC2:TGID_Y_EN: 1
; COMPUTE_PGM_RSRC2:TGID_Z_EN: 1
; COMPUTE_PGM_RSRC2:TIDIG_COMP_CNT: 1
; COMPUTE_PGM_RSRC3_GFX90A:ACCUM_OFFSET: 7
; COMPUTE_PGM_RSRC3_GFX90A:TG_SPLIT: 0
	.section	.text._ZL13mul_mat_vec_qIL9ggml_type2ELi1ELb0ELb0EEvPKvS2_PKi31ggml_cuda_mm_fusion_args_devicePfj15HIP_vector_typeIjLj3EEjjjS8_jjjS8_jjjj,"axG",@progbits,_ZL13mul_mat_vec_qIL9ggml_type2ELi1ELb0ELb0EEvPKvS2_PKi31ggml_cuda_mm_fusion_args_devicePfj15HIP_vector_typeIjLj3EEjjjS8_jjjS8_jjjj,comdat
	.globl	_ZL13mul_mat_vec_qIL9ggml_type2ELi1ELb0ELb0EEvPKvS2_PKi31ggml_cuda_mm_fusion_args_devicePfj15HIP_vector_typeIjLj3EEjjjS8_jjjS8_jjjj ; -- Begin function _ZL13mul_mat_vec_qIL9ggml_type2ELi1ELb0ELb0EEvPKvS2_PKi31ggml_cuda_mm_fusion_args_devicePfj15HIP_vector_typeIjLj3EEjjjS8_jjjS8_jjjj
	.p2align	8
	.type	_ZL13mul_mat_vec_qIL9ggml_type2ELi1ELb0ELb0EEvPKvS2_PKi31ggml_cuda_mm_fusion_args_devicePfj15HIP_vector_typeIjLj3EEjjjS8_jjjS8_jjjj,@function
_ZL13mul_mat_vec_qIL9ggml_type2ELi1ELb0ELb0EEvPKvS2_PKi31ggml_cuda_mm_fusion_args_devicePfj15HIP_vector_typeIjLj3EEjjjS8_jjjS8_jjjj: ; @_ZL13mul_mat_vec_qIL9ggml_type2ELi1ELb0ELb0EEvPKvS2_PKi31ggml_cuda_mm_fusion_args_devicePfj15HIP_vector_typeIjLj3EEjjjS8_jjjS8_jjjj
; %bb.0:
	s_load_dwordx2 s[8:9], s[0:1], 0x10
	s_load_dwordx4 s[16:19], s[0:1], 0x40
	s_mov_b32 s20, s3
	s_mov_b64 s[12:13], 0
	s_waitcnt lgkmcnt(0)
	s_cmp_lg_u64 s[8:9], 0
	s_cselect_b64 s[6:7], -1, 0
	s_cmp_eq_u64 s[8:9], 0
	s_cbranch_scc1 .LBB16_5
; %bb.1:
	s_mov_b32 s21, 0
	s_lshl_b64 s[10:11], s[20:21], 2
	s_add_u32 s8, s8, s10
	s_addc_u32 s9, s9, s11
	s_load_dword s5, s[8:9], 0x0
	s_nop 0
	s_load_dwordx4 s[8:11], s[0:1], 0x68
	s_load_dword s21, s[0:1], 0x50
	s_andn2_b64 vcc, exec, s[12:13]
	s_cbranch_vccnz .LBB16_3
.LBB16_2:
	s_load_dwordx2 s[12:13], s[0:1], 0x5c
	s_waitcnt lgkmcnt(0)
	s_mul_hi_u32 s3, s12, s20
	s_add_i32 s3, s20, s3
	s_lshr_b32 s5, s3, s13
.LBB16_3:
	s_load_dword s22, s[0:1], 0x78
	s_andn2_b64 vcc, exec, s[6:7]
	s_cbranch_vccnz .LBB16_6
; %bb.4:
	s_mul_hi_u32 s3, s17, s20
	s_add_i32 s3, s20, s3
	s_lshr_b32 s3, s3, s18
	s_mul_i32 s3, s3, s19
	s_sub_i32 s23, s20, s3
	s_branch .LBB16_7
.LBB16_5:
                                        ; implicit-def: $sgpr5
	s_load_dwordx4 s[8:11], s[0:1], 0x68
	s_load_dword s21, s[0:1], 0x50
	s_branch .LBB16_2
.LBB16_6:
	s_mov_b32 s23, s20
.LBB16_7:
	s_load_dwordx4 s[12:15], s[0:1], 0x80
	v_bfe_u32 v10, v0, 10, 10
	v_lshlrev_b32_e32 v1, 6, v10
	v_and_b32_e32 v8, 0x3ff, v0
	v_add_u16_e32 v0, v1, v8
	s_lshr_b32 s3, s16, 5
	v_lshrrev_b16_e32 v11, 1, v0
	v_cmp_gt_u32_e32 vcc, s3, v11
	v_mov_b32_e32 v12, 0
	v_lshlrev_b32_e32 v9, 2, v8
	s_and_saveexec_b64 s[6:7], vcc
	s_cbranch_execz .LBB16_11
; %bb.8:
	s_waitcnt lgkmcnt(0)
	s_mul_i32 s5, s5, s8
	s_mul_hi_u32 s8, s11, s4
	s_load_dwordx4 s[16:19], s[0:1], 0x0
	s_add_i32 s8, s4, s8
	s_lshr_b32 s8, s8, s22
	s_mul_i32 s8, s8, s12
	s_mul_i32 s13, s4, s13
	;; [unrolled: 1-line block ×3, first 2 shown]
	s_add_i32 s5, s8, s5
	s_add_i32 s5, s5, s15
	s_mul_hi_u32 s8, s13, 36
	s_mul_i32 s13, s13, 36
	s_mul_i32 s9, s23, s9
	s_waitcnt lgkmcnt(0)
	s_add_u32 s12, s18, s13
	s_mul_hi_u32 s11, s9, 36
	s_mul_i32 s9, s9, 36
	s_addc_u32 s13, s19, s8
	v_add_u32_e32 v2, v1, v8
	s_add_u32 s8, s12, s9
	v_lshrrev_b32_e32 v2, 1, v2
	s_addc_u32 s9, s13, s11
	v_and_b32_e32 v4, 4, v9
	v_mov_b32_e32 v1, 0
	v_and_b32_e32 v0, 1, v8
	v_mad_u64_u32 v[2:3], s[8:9], v2, 36, s[8:9]
	v_lshlrev_b32_e32 v0, 3, v0
	s_mov_b64 s[8:9], 0
	v_lshlrev_b32_e32 v4, 1, v4
	v_mov_b32_e32 v5, v1
	v_mov_b32_e32 v7, 4.0
	s_mov_b64 s[12:13], 0x900
	v_mov_b32_e32 v12, v1
.LBB16_9:                               ; =>This Inner Loop Header: Depth=1
	v_add_u32_e32 v6, s5, v11
	v_lshl_add_u64 v[14:15], v[2:3], 0, v[0:1]
	v_mad_i64_i32 v[16:17], s[18:19], v6, 18, s[16:17]
	global_load_dwordx2 v[18:19], v[14:15], off offset:4
	global_load_dwordx2 v[20:21], v[14:15], off offset:20
	v_lshl_add_u64 v[14:15], v[16:17], 0, v[4:5]
	global_load_dword v6, v[14:15], off offset:2
	global_load_dword v13, v[14:15], off offset:6
	global_load_dword v22, v[2:3], off
	global_load_ushort v23, v[16:17], off
	v_mov_b32_e32 v16, 0
	v_add_u32_e32 v11, 64, v11
	v_cmp_le_u32_e32 vcc, s3, v11
	v_lshl_add_u64 v[2:3], v[2:3], 0, s[12:13]
	s_or_b64 s[8:9], vcc, s[8:9]
	s_waitcnt vmcnt(3)
	v_and_b32_e32 v17, 0xf0f0f0f, v6
	v_lshrrev_b32_e32 v6, 4, v6
	v_and_b32_e32 v6, 0xf0f0f0f, v6
	v_dot4c_i32_i8_e32 v16, v17, v18
	s_waitcnt vmcnt(1)
	v_cvt_f32_f16_sdwa v15, v22 dst_sel:DWORD dst_unused:UNUSED_PAD src0_sel:WORD_1
	v_cvt_f32_f16_e32 v14, v22
	v_and_b32_e32 v22, 0xf0f0f0f, v13
	v_lshrrev_b32_e32 v13, 4, v13
	v_dot4c_i32_i8_e32 v16, v6, v20
	v_and_b32_e32 v13, 0xf0f0f0f, v13
	v_dot4c_i32_i8_e32 v16, v22, v19
	v_dot4c_i32_i8_e32 v16, v13, v21
	s_nop 2
	v_cvt_f32_i32_e32 v6, v16
	v_pk_mul_f32 v[14:15], v[6:7], v[14:15]
	s_nop 0
	v_sub_f32_e32 v6, v14, v15
	s_waitcnt vmcnt(0)
	v_fma_mix_f32 v12, v6, v23, v12 op_sel_hi:[0,1,0]
	s_andn2_b64 exec, exec, s[8:9]
	s_cbranch_execnz .LBB16_9
; %bb.10:
	s_or_b64 exec, exec, s[8:9]
.LBB16_11:
	s_or_b64 exec, exec, s[6:7]
	v_cmp_eq_u32_e32 vcc, 0, v10
	v_cmp_ne_u32_e64 s[6:7], 0, v10
	s_waitcnt lgkmcnt(0)
	s_and_saveexec_b64 s[8:9], s[6:7]
	s_cbranch_execz .LBB16_13
; %bb.12:
	v_lshlrev_b32_e32 v0, 8, v10
	s_movk_i32 s3, 0xff00
	v_add3_u32 v0, v0, v9, s3
	ds_write_b32 v0, v12
.LBB16_13:
	s_or_b64 exec, exec, s[8:9]
	s_waitcnt lgkmcnt(0)
	s_barrier
	s_and_saveexec_b64 s[6:7], vcc
	s_cbranch_execz .LBB16_16
; %bb.14:
	v_mbcnt_lo_u32_b32 v1, -1, 0
	ds_read_b32 v0, v9
	v_mbcnt_hi_u32_b32 v1, -1, v1
	v_and_b32_e32 v2, 64, v1
	v_add_u32_e32 v2, 64, v2
	v_xor_b32_e32 v3, 32, v1
	v_cmp_lt_i32_e32 vcc, v3, v2
	s_waitcnt lgkmcnt(0)
	v_add_f32_e32 v0, v12, v0
	s_mov_b32 s3, 0
	v_cndmask_b32_e32 v3, v1, v3, vcc
	v_lshlrev_b32_e32 v3, 2, v3
	ds_bpermute_b32 v3, v3, v0
	s_waitcnt lgkmcnt(0)
	v_add_f32_e32 v0, v0, v3
	v_xor_b32_e32 v3, 16, v1
	v_cmp_lt_i32_e32 vcc, v3, v2
	s_nop 1
	v_cndmask_b32_e32 v3, v1, v3, vcc
	v_lshlrev_b32_e32 v3, 2, v3
	ds_bpermute_b32 v3, v3, v0
	s_waitcnt lgkmcnt(0)
	v_add_f32_e32 v0, v0, v3
	v_xor_b32_e32 v3, 8, v1
	v_cmp_lt_i32_e32 vcc, v3, v2
	s_nop 1
	;; [unrolled: 8-line block ×5, first 2 shown]
	v_cndmask_b32_e32 v1, v1, v3, vcc
	v_lshlrev_b32_e32 v1, 2, v1
	ds_bpermute_b32 v1, v1, v0
	v_cmp_eq_u32_e32 vcc, 0, v8
	s_and_b64 exec, exec, vcc
	s_cbranch_execz .LBB16_16
; %bb.15:
	s_load_dwordx2 s[0:1], s[0:1], 0x38
	s_mul_i32 s5, s20, s10
	s_mul_i32 s4, s4, s14
	s_add_i32 s2, s5, s2
	s_add_i32 s2, s2, s4
	s_lshl_b64 s[2:3], s[2:3], 2
	s_waitcnt lgkmcnt(0)
	s_add_u32 s0, s0, s2
	s_addc_u32 s1, s1, s3
	v_mov_b32_e32 v2, 0
	v_add_f32_e32 v0, v0, v1
	global_store_dword v2, v0, s[0:1]
.LBB16_16:
	s_endpgm
	.section	.rodata,"a",@progbits
	.p2align	6, 0x0
	.amdhsa_kernel _ZL13mul_mat_vec_qIL9ggml_type2ELi1ELb0ELb0EEvPKvS2_PKi31ggml_cuda_mm_fusion_args_devicePfj15HIP_vector_typeIjLj3EEjjjS8_jjjS8_jjjj
		.amdhsa_group_segment_fixed_size 256
		.amdhsa_private_segment_fixed_size 0
		.amdhsa_kernarg_size 144
		.amdhsa_user_sgpr_count 2
		.amdhsa_user_sgpr_dispatch_ptr 0
		.amdhsa_user_sgpr_queue_ptr 0
		.amdhsa_user_sgpr_kernarg_segment_ptr 1
		.amdhsa_user_sgpr_dispatch_id 0
		.amdhsa_user_sgpr_kernarg_preload_length 0
		.amdhsa_user_sgpr_kernarg_preload_offset 0
		.amdhsa_user_sgpr_private_segment_size 0
		.amdhsa_uses_dynamic_stack 0
		.amdhsa_enable_private_segment 0
		.amdhsa_system_sgpr_workgroup_id_x 1
		.amdhsa_system_sgpr_workgroup_id_y 1
		.amdhsa_system_sgpr_workgroup_id_z 1
		.amdhsa_system_sgpr_workgroup_info 0
		.amdhsa_system_vgpr_workitem_id 1
		.amdhsa_next_free_vgpr 24
		.amdhsa_next_free_sgpr 24
		.amdhsa_accum_offset 24
		.amdhsa_reserve_vcc 1
		.amdhsa_float_round_mode_32 0
		.amdhsa_float_round_mode_16_64 0
		.amdhsa_float_denorm_mode_32 3
		.amdhsa_float_denorm_mode_16_64 3
		.amdhsa_dx10_clamp 1
		.amdhsa_ieee_mode 1
		.amdhsa_fp16_overflow 0
		.amdhsa_tg_split 0
		.amdhsa_exception_fp_ieee_invalid_op 0
		.amdhsa_exception_fp_denorm_src 0
		.amdhsa_exception_fp_ieee_div_zero 0
		.amdhsa_exception_fp_ieee_overflow 0
		.amdhsa_exception_fp_ieee_underflow 0
		.amdhsa_exception_fp_ieee_inexact 0
		.amdhsa_exception_int_div_zero 0
	.end_amdhsa_kernel
	.section	.text._ZL13mul_mat_vec_qIL9ggml_type2ELi1ELb0ELb0EEvPKvS2_PKi31ggml_cuda_mm_fusion_args_devicePfj15HIP_vector_typeIjLj3EEjjjS8_jjjS8_jjjj,"axG",@progbits,_ZL13mul_mat_vec_qIL9ggml_type2ELi1ELb0ELb0EEvPKvS2_PKi31ggml_cuda_mm_fusion_args_devicePfj15HIP_vector_typeIjLj3EEjjjS8_jjjS8_jjjj,comdat
.Lfunc_end16:
	.size	_ZL13mul_mat_vec_qIL9ggml_type2ELi1ELb0ELb0EEvPKvS2_PKi31ggml_cuda_mm_fusion_args_devicePfj15HIP_vector_typeIjLj3EEjjjS8_jjjS8_jjjj, .Lfunc_end16-_ZL13mul_mat_vec_qIL9ggml_type2ELi1ELb0ELb0EEvPKvS2_PKi31ggml_cuda_mm_fusion_args_devicePfj15HIP_vector_typeIjLj3EEjjjS8_jjjS8_jjjj
                                        ; -- End function
	.section	.AMDGPU.csdata,"",@progbits
; Kernel info:
; codeLenInByte = 1008
; NumSgprs: 30
; NumVgprs: 24
; NumAgprs: 0
; TotalNumVgprs: 24
; ScratchSize: 0
; MemoryBound: 0
; FloatMode: 240
; IeeeMode: 1
; LDSByteSize: 256 bytes/workgroup (compile time only)
; SGPRBlocks: 3
; VGPRBlocks: 2
; NumSGPRsForWavesPerEU: 30
; NumVGPRsForWavesPerEU: 24
; AccumOffset: 24
; Occupancy: 8
; WaveLimiterHint : 0
; COMPUTE_PGM_RSRC2:SCRATCH_EN: 0
; COMPUTE_PGM_RSRC2:USER_SGPR: 2
; COMPUTE_PGM_RSRC2:TRAP_HANDLER: 0
; COMPUTE_PGM_RSRC2:TGID_X_EN: 1
; COMPUTE_PGM_RSRC2:TGID_Y_EN: 1
; COMPUTE_PGM_RSRC2:TGID_Z_EN: 1
; COMPUTE_PGM_RSRC2:TIDIG_COMP_CNT: 1
; COMPUTE_PGM_RSRC3_GFX90A:ACCUM_OFFSET: 5
; COMPUTE_PGM_RSRC3_GFX90A:TG_SPLIT: 0
	.section	.text._ZL13mul_mat_vec_qIL9ggml_type2ELi2ELb0ELb0EEvPKvS2_PKi31ggml_cuda_mm_fusion_args_devicePfj15HIP_vector_typeIjLj3EEjjjS8_jjjS8_jjjj,"axG",@progbits,_ZL13mul_mat_vec_qIL9ggml_type2ELi2ELb0ELb0EEvPKvS2_PKi31ggml_cuda_mm_fusion_args_devicePfj15HIP_vector_typeIjLj3EEjjjS8_jjjS8_jjjj,comdat
	.globl	_ZL13mul_mat_vec_qIL9ggml_type2ELi2ELb0ELb0EEvPKvS2_PKi31ggml_cuda_mm_fusion_args_devicePfj15HIP_vector_typeIjLj3EEjjjS8_jjjS8_jjjj ; -- Begin function _ZL13mul_mat_vec_qIL9ggml_type2ELi2ELb0ELb0EEvPKvS2_PKi31ggml_cuda_mm_fusion_args_devicePfj15HIP_vector_typeIjLj3EEjjjS8_jjjS8_jjjj
	.p2align	8
	.type	_ZL13mul_mat_vec_qIL9ggml_type2ELi2ELb0ELb0EEvPKvS2_PKi31ggml_cuda_mm_fusion_args_devicePfj15HIP_vector_typeIjLj3EEjjjS8_jjjS8_jjjj,@function
_ZL13mul_mat_vec_qIL9ggml_type2ELi2ELb0ELb0EEvPKvS2_PKi31ggml_cuda_mm_fusion_args_devicePfj15HIP_vector_typeIjLj3EEjjjS8_jjjS8_jjjj: ; @_ZL13mul_mat_vec_qIL9ggml_type2ELi2ELb0ELb0EEvPKvS2_PKi31ggml_cuda_mm_fusion_args_devicePfj15HIP_vector_typeIjLj3EEjjjS8_jjjS8_jjjj
; %bb.0:
	s_load_dwordx2 s[20:21], s[0:1], 0x4
	s_load_dword s7, s[2:3], 0x40
	s_load_dwordx4 s[8:11], s[2:3], 0x50
	s_load_dword s25, s[2:3], 0x60
	s_load_dwordx4 s[12:15], s[2:3], 0x68
	;; [unrolled: 2-line block ×3, first 2 shown]
	s_waitcnt lgkmcnt(0)
	s_lshr_b32 s0, s20, 16
	v_bfe_u32 v14, v0, 10, 10
	v_and_b32_e32 v12, 0x3ff, v0
	s_mul_i32 s0, s0, s21
	v_mul_u32_u24_e32 v1, s21, v14
	v_lshlrev_b32_e32 v5, 6, v14
	v_mad_u32_u24 v1, s0, v12, v1
	v_bfe_u32 v0, v0, 20, 10
	v_add_u16_e32 v6, v5, v12
	v_add_lshl_u32 v4, v1, v0, 4
	s_lshr_b32 s7, s7, 5
	v_mov_b32_e32 v0, 0
	v_lshrrev_b16_e32 v15, 1, v6
	v_add_u32_e32 v13, 0x400, v4
	s_lshl_b32 s4, s4, 1
	v_mov_b32_e32 v1, v0
	v_mov_b32_e32 v2, v0
	;; [unrolled: 1-line block ×3, first 2 shown]
	v_cmp_gt_u32_e32 vcc, s7, v15
	ds_write_b128 v4, v[0:3] offset:1024
	s_and_saveexec_b64 s[0:1], vcc
	s_cbranch_execz .LBB17_4
; %bb.1:
	s_load_dwordx4 s[20:23], s[2:3], 0x0
	s_mul_i32 s17, s6, s17
	s_mul_hi_u32 s19, s17, 36
	s_mul_i32 s17, s17, 36
	s_mul_i32 s13, s5, s13
	s_waitcnt lgkmcnt(0)
	s_add_u32 s17, s22, s17
	s_addc_u32 s19, s23, s19
	s_mul_hi_u32 s23, s13, 36
	s_mul_i32 s13, s13, 36
	s_add_u32 s22, s17, s13
	s_mul_hi_u32 s11, s11, s5
	s_addc_u32 s23, s19, s23
	s_add_i32 s11, s5, s11
	s_lshr_b32 s11, s11, s25
	s_mul_i32 s11, s11, s12
	s_mul_hi_u32 s12, s15, s6
	s_add_i32 s12, s6, s12
	v_and_b32_e32 v1, 1, v12
	s_lshr_b32 s12, s12, s24
	v_lshlrev_b32_e32 v4, 3, v1
	v_lshrrev_b16_e32 v1, 1, v6
	s_mul_i32 s15, s12, s16
	v_lshlrev_b32_e32 v0, 1, v12
	v_mad_u64_u32 v[6:7], s[12:13], v1, 36, s[22:23]
	v_and_b32_e32 v0, 2, v0
	s_add_i32 s12, s4, 1
	v_lshlrev_b32_e32 v2, 1, v0
	v_mov_b32_e32 v5, 0
	s_mul_i32 s16, s4, s8
	s_add_i32 s11, s15, s11
	s_mul_i32 s8, s8, s12
	s_add_i32 s8, s11, s8
	s_add_i32 s11, s11, s16
	s_mov_b64 s[12:13], 0
	v_lshlrev_b32_e32 v8, 1, v2
	v_lshlrev_b32_e32 v10, 2, v0
	s_mov_b64 s[16:17], 0x900
	v_mov_b32_e32 v9, v5
	v_mov_b32_e32 v11, v5
	;; [unrolled: 1-line block ×6, first 2 shown]
.LBB17_2:                               ; =>This Inner Loop Header: Depth=1
	v_add_u32_e32 v22, s11, v15
	v_lshl_add_u64 v[16:17], v[6:7], 0, v[4:5]
	global_load_dword v36, v[6:7], off
	v_add_u32_e32 v23, s8, v15
	v_add_u32_e32 v24, s9, v15
	global_load_dwordx2 v[18:19], v[16:17], off offset:4
	global_load_dwordx2 v[20:21], v[16:17], off offset:20
	v_mad_i64_i32 v[16:17], s[24:25], v22, 18, s[20:21]
	v_mad_i64_i32 v[22:23], s[24:25], v23, 18, s[20:21]
	v_mad_u64_u32 v[24:25], s[24:25], v24, 36, s[22:23]
	v_lshl_add_u64 v[26:27], v[16:17], 0, v[8:9]
	v_lshl_add_u64 v[28:29], v[22:23], 0, v[8:9]
	;; [unrolled: 1-line block ×3, first 2 shown]
	global_load_dword v37, v[26:27], off offset:2
	global_load_dword v38, v[26:27], off offset:6
	;; [unrolled: 1-line block ×4, first 2 shown]
	global_load_dwordx2 v[32:33], v[30:31], off offset:20
	global_load_dword v41, v[24:25], off
	global_load_dwordx2 v[34:35], v[30:31], off offset:4
	global_load_ushort v42, v[22:23], off
	global_load_ushort v43, v[16:17], off
	v_mov_b32_e32 v17, 0
	v_mov_b32_e32 v23, 0
	v_mov_b32_e32 v27, 0
	v_mov_b32_e32 v28, 0
	v_add_u32_e32 v15, 64, v15
	v_cmp_le_u32_e32 vcc, s7, v15
	v_lshl_add_u64 v[6:7], v[6:7], 0, s[16:17]
	s_or_b64 s[12:13], vcc, s[12:13]
	s_waitcnt vmcnt(11)
	v_cvt_f32_f16_e32 v16, v36
	v_cvt_f32_f16_sdwa v26, v36 dst_sel:DWORD dst_unused:UNUSED_PAD src0_sel:WORD_1
	s_waitcnt vmcnt(8)
	v_and_b32_e32 v29, 0xf0f0f0f, v37
	v_lshrrev_b32_e32 v30, 4, v37
	s_waitcnt vmcnt(7)
	v_and_b32_e32 v31, 0xf0f0f0f, v38
	v_lshrrev_b32_e32 v36, 4, v38
	;; [unrolled: 3-line block ×3, first 2 shown]
	v_and_b32_e32 v30, 0xf0f0f0f, v30
	v_dot4c_i32_i8_e32 v17, v29, v18
	v_and_b32_e32 v38, 0xf0f0f0f, v38
	v_dot4c_i32_i8_e32 v23, v37, v18
	s_waitcnt vmcnt(2)
	v_dot4c_i32_i8_e32 v27, v29, v34
	v_dot4c_i32_i8_e32 v28, v37, v34
	v_and_b32_e32 v39, 0xf0f0f0f, v40
	v_lshrrev_b32_e32 v40, 4, v40
	v_dot4c_i32_i8_e32 v17, v30, v20
	v_dot4c_i32_i8_e32 v23, v38, v20
	v_dot4c_i32_i8_e32 v27, v30, v32
	v_dot4c_i32_i8_e32 v28, v38, v32
	v_and_b32_e32 v36, 0xf0f0f0f, v36
	v_and_b32_e32 v18, 0xf0f0f0f, v40
	v_dot4c_i32_i8_e32 v17, v31, v19
	v_dot4c_i32_i8_e32 v23, v39, v19
	;; [unrolled: 1-line block ×4, first 2 shown]
	v_cvt_f32_f16_e32 v22, v41
	v_cvt_f32_f16_sdwa v41, v41 dst_sel:DWORD dst_unused:UNUSED_PAD src0_sel:WORD_1
	v_dot4c_i32_i8_e32 v17, v36, v21
	v_dot4c_i32_i8_e32 v23, v18, v21
	;; [unrolled: 1-line block ×4, first 2 shown]
	v_cvt_f32_i32_e32 v18, v17
	v_cvt_f32_i32_e32 v19, v23
	;; [unrolled: 1-line block ×4, first 2 shown]
	s_waitcnt vmcnt(1)
	v_cvt_f32_f16_e32 v25, v42
	s_waitcnt vmcnt(0)
	v_cvt_f32_f16_e32 v24, v43
	v_mul_f32_e32 v26, 4.0, v26
	v_mul_f32_e32 v28, 4.0, v41
	v_pk_fma_f32 v[16:17], v[16:17], v[18:19], v[26:27] op_sel_hi:[0,1,0] neg_lo:[0,0,1] neg_hi:[0,0,1]
	v_pk_fma_f32 v[18:19], v[22:23], v[20:21], v[28:29] op_sel_hi:[0,1,0] neg_lo:[0,0,1] neg_hi:[0,0,1]
	v_pk_fma_f32 v[2:3], v[16:17], v[24:25], v[2:3]
	v_pk_fma_f32 v[0:1], v[18:19], v[24:25], v[0:1]
	s_andn2_b64 exec, exec, s[12:13]
	s_cbranch_execnz .LBB17_2
; %bb.3:
	s_or_b64 exec, exec, s[12:13]
	v_mov_b32_e32 v4, v0
	v_mov_b32_e32 v5, v1
	ds_write_b128 v13, v[2:5]
.LBB17_4:
	s_or_b64 exec, exec, s[0:1]
	v_cmp_eq_u32_e32 vcc, 0, v14
	v_cmp_ne_u32_e64 s[0:1], 0, v14
	v_lshlrev_b32_e32 v4, 2, v12
	s_and_saveexec_b64 s[8:9], s[0:1]
	s_cbranch_execz .LBB17_6
; %bb.5:
	v_lshl_or_b32 v5, v14, 10, v4
	v_add_u32_e32 v5, 0xfffffc00, v5
	ds_write2st64_b32 v5, v2, v3 offset1:1
	ds_write2st64_b32 v5, v0, v1 offset0:2 offset1:3
.LBB17_6:
	s_or_b64 exec, exec, s[8:9]
	s_waitcnt lgkmcnt(0)
	s_barrier
	s_and_saveexec_b64 s[0:1], vcc
	s_cbranch_execz .LBB17_11
; %bb.7:
	v_mbcnt_lo_u32_b32 v0, -1, 0
	v_mbcnt_hi_u32_b32 v14, -1, v0
	ds_read2st64_b32 v[2:3], v4 offset1:1
	ds_read_b64 v[6:7], v13
	v_and_b32_e32 v0, 64, v14
	v_add_u32_e32 v15, 64, v0
	v_xor_b32_e32 v0, 32, v14
	v_cmp_lt_i32_e32 vcc, v0, v15
	s_waitcnt lgkmcnt(0)
	v_pk_add_f32 v[2:3], v[2:3], v[6:7]
	v_xor_b32_e32 v1, 16, v14
	v_cndmask_b32_e32 v0, v14, v0, vcc
	v_lshlrev_b32_e32 v0, 2, v0
	ds_bpermute_b32 v6, v0, v2
	ds_bpermute_b32 v7, v0, v3
	v_cmp_lt_i32_e32 vcc, v1, v15
	v_xor_b32_e32 v5, 2, v14
	s_load_dwordx2 s[0:1], s[2:3], 0x38
	v_cndmask_b32_e32 v1, v14, v1, vcc
	v_lshlrev_b32_e32 v1, 2, v1
	s_waitcnt lgkmcnt(0)
	v_pk_add_f32 v[6:7], v[2:3], v[6:7]
	ds_bpermute_b32 v8, v1, v6
	ds_bpermute_b32 v9, v1, v7
	v_xor_b32_e32 v2, 8, v14
	v_cmp_lt_i32_e32 vcc, v2, v15
	v_xor_b32_e32 v3, 4, v14
	s_mul_i32 s2, s5, s14
	v_cndmask_b32_e32 v2, v14, v2, vcc
	v_lshlrev_b32_e32 v2, 2, v2
	s_waitcnt lgkmcnt(0)
	v_pk_add_f32 v[6:7], v[6:7], v[8:9]
	ds_bpermute_b32 v8, v2, v6
	ds_bpermute_b32 v9, v2, v7
	v_cmp_lt_i32_e32 vcc, v3, v15
	s_mul_i32 s6, s6, s18
	s_add_i32 s2, s2, s4
	v_cndmask_b32_e32 v3, v14, v3, vcc
	v_lshlrev_b32_e32 v3, 2, v3
	s_waitcnt lgkmcnt(0)
	v_pk_add_f32 v[6:7], v[6:7], v[8:9]
	ds_bpermute_b32 v8, v3, v6
	ds_bpermute_b32 v9, v3, v7
	v_cmp_lt_i32_e32 vcc, v5, v15
	s_add_i32 s2, s2, s6
	s_mov_b32 s3, 0
	v_cndmask_b32_e32 v5, v14, v5, vcc
	v_lshlrev_b32_e32 v5, 2, v5
	s_waitcnt lgkmcnt(0)
	v_pk_add_f32 v[8:9], v[6:7], v[8:9]
	ds_bpermute_b32 v10, v5, v8
	ds_bpermute_b32 v11, v5, v9
	v_xor_b32_e32 v6, 1, v14
	v_cmp_lt_i32_e32 vcc, v6, v15
	s_lshl_b64 s[2:3], s[2:3], 2
	s_add_u32 s2, s0, s2
	v_cndmask_b32_e32 v6, v14, v6, vcc
	v_lshlrev_b32_e32 v6, 2, v6
	s_waitcnt lgkmcnt(0)
	v_pk_add_f32 v[8:9], v[8:9], v[10:11]
	ds_bpermute_b32 v10, v6, v8
	ds_bpermute_b32 v11, v6, v9
	v_or_b32_e32 v7, s4, v12
	s_addc_u32 s3, s1, s3
	v_cmp_gt_u32_e32 vcc, 2, v12
	v_cmp_gt_u32_e64 s[0:1], s10, v7
	s_and_b64 s[0:1], vcc, s[0:1]
	s_waitcnt lgkmcnt(0)
	v_pk_add_f32 v[8:9], v[8:9], v[10:11]
	ds_write_b64 v13, v[8:9]
	s_and_saveexec_b64 s[4:5], s[0:1]
	s_cbranch_execz .LBB17_9
; %bb.8:
	v_add_u32_e32 v7, v13, v4
	ds_read_b32 v7, v7
	s_waitcnt lgkmcnt(0)
	global_store_dword v4, v7, s[2:3]
.LBB17_9:
	s_or_b64 exec, exec, s[4:5]
	ds_read2st64_b32 v[8:9], v4 offset0:2 offset1:3
	ds_read_b64 v[10:11], v13 offset:8
	s_waitcnt lgkmcnt(0)
	v_pk_add_f32 v[8:9], v[8:9], v[10:11]
	ds_bpermute_b32 v10, v0, v8
	ds_bpermute_b32 v11, v0, v9
	s_waitcnt lgkmcnt(0)
	v_pk_add_f32 v[8:9], v[8:9], v[10:11]
	ds_bpermute_b32 v0, v1, v8
	ds_bpermute_b32 v1, v1, v9
	;; [unrolled: 4-line block ×6, first 2 shown]
	s_waitcnt lgkmcnt(0)
	v_pk_add_f32 v[0:1], v[0:1], v[2:3]
	ds_write_b64 v13, v[0:1] offset:8
	s_and_b64 exec, exec, s[0:1]
	s_cbranch_execz .LBB17_11
; %bb.10:
	v_lshl_add_u32 v0, v12, 2, v13
	ds_read_b32 v2, v0 offset:8
	v_add_u32_e32 v0, s10, v12
	v_mov_b32_e32 v1, 0
	v_lshl_add_u64 v[0:1], v[0:1], 2, s[2:3]
	s_waitcnt lgkmcnt(0)
	global_store_dword v[0:1], v2, off
.LBB17_11:
	s_endpgm
	.section	.rodata,"a",@progbits
	.p2align	6, 0x0
	.amdhsa_kernel _ZL13mul_mat_vec_qIL9ggml_type2ELi2ELb0ELb0EEvPKvS2_PKi31ggml_cuda_mm_fusion_args_devicePfj15HIP_vector_typeIjLj3EEjjjS8_jjjS8_jjjj
		.amdhsa_group_segment_fixed_size 3072
		.amdhsa_private_segment_fixed_size 0
		.amdhsa_kernarg_size 144
		.amdhsa_user_sgpr_count 4
		.amdhsa_user_sgpr_dispatch_ptr 1
		.amdhsa_user_sgpr_queue_ptr 0
		.amdhsa_user_sgpr_kernarg_segment_ptr 1
		.amdhsa_user_sgpr_dispatch_id 0
		.amdhsa_user_sgpr_kernarg_preload_length 0
		.amdhsa_user_sgpr_kernarg_preload_offset 0
		.amdhsa_user_sgpr_private_segment_size 0
		.amdhsa_uses_dynamic_stack 0
		.amdhsa_enable_private_segment 0
		.amdhsa_system_sgpr_workgroup_id_x 1
		.amdhsa_system_sgpr_workgroup_id_y 1
		.amdhsa_system_sgpr_workgroup_id_z 1
		.amdhsa_system_sgpr_workgroup_info 0
		.amdhsa_system_vgpr_workitem_id 2
		.amdhsa_next_free_vgpr 44
		.amdhsa_next_free_sgpr 26
		.amdhsa_accum_offset 44
		.amdhsa_reserve_vcc 1
		.amdhsa_float_round_mode_32 0
		.amdhsa_float_round_mode_16_64 0
		.amdhsa_float_denorm_mode_32 3
		.amdhsa_float_denorm_mode_16_64 3
		.amdhsa_dx10_clamp 1
		.amdhsa_ieee_mode 1
		.amdhsa_fp16_overflow 0
		.amdhsa_tg_split 0
		.amdhsa_exception_fp_ieee_invalid_op 0
		.amdhsa_exception_fp_denorm_src 0
		.amdhsa_exception_fp_ieee_div_zero 0
		.amdhsa_exception_fp_ieee_overflow 0
		.amdhsa_exception_fp_ieee_underflow 0
		.amdhsa_exception_fp_ieee_inexact 0
		.amdhsa_exception_int_div_zero 0
	.end_amdhsa_kernel
	.section	.text._ZL13mul_mat_vec_qIL9ggml_type2ELi2ELb0ELb0EEvPKvS2_PKi31ggml_cuda_mm_fusion_args_devicePfj15HIP_vector_typeIjLj3EEjjjS8_jjjS8_jjjj,"axG",@progbits,_ZL13mul_mat_vec_qIL9ggml_type2ELi2ELb0ELb0EEvPKvS2_PKi31ggml_cuda_mm_fusion_args_devicePfj15HIP_vector_typeIjLj3EEjjjS8_jjjS8_jjjj,comdat
.Lfunc_end17:
	.size	_ZL13mul_mat_vec_qIL9ggml_type2ELi2ELb0ELb0EEvPKvS2_PKi31ggml_cuda_mm_fusion_args_devicePfj15HIP_vector_typeIjLj3EEjjjS8_jjjS8_jjjj, .Lfunc_end17-_ZL13mul_mat_vec_qIL9ggml_type2ELi2ELb0ELb0EEvPKvS2_PKi31ggml_cuda_mm_fusion_args_devicePfj15HIP_vector_typeIjLj3EEjjjS8_jjjS8_jjjj
                                        ; -- End function
	.section	.AMDGPU.csdata,"",@progbits
; Kernel info:
; codeLenInByte = 1612
; NumSgprs: 32
; NumVgprs: 44
; NumAgprs: 0
; TotalNumVgprs: 44
; ScratchSize: 0
; MemoryBound: 0
; FloatMode: 240
; IeeeMode: 1
; LDSByteSize: 3072 bytes/workgroup (compile time only)
; SGPRBlocks: 3
; VGPRBlocks: 5
; NumSGPRsForWavesPerEU: 32
; NumVGPRsForWavesPerEU: 44
; AccumOffset: 44
; Occupancy: 8
; WaveLimiterHint : 0
; COMPUTE_PGM_RSRC2:SCRATCH_EN: 0
; COMPUTE_PGM_RSRC2:USER_SGPR: 4
; COMPUTE_PGM_RSRC2:TRAP_HANDLER: 0
; COMPUTE_PGM_RSRC2:TGID_X_EN: 1
; COMPUTE_PGM_RSRC2:TGID_Y_EN: 1
; COMPUTE_PGM_RSRC2:TGID_Z_EN: 1
; COMPUTE_PGM_RSRC2:TIDIG_COMP_CNT: 2
; COMPUTE_PGM_RSRC3_GFX90A:ACCUM_OFFSET: 10
; COMPUTE_PGM_RSRC3_GFX90A:TG_SPLIT: 0
	.section	.text._ZL13mul_mat_vec_qIL9ggml_type2ELi3ELb0ELb0EEvPKvS2_PKi31ggml_cuda_mm_fusion_args_devicePfj15HIP_vector_typeIjLj3EEjjjS8_jjjS8_jjjj,"axG",@progbits,_ZL13mul_mat_vec_qIL9ggml_type2ELi3ELb0ELb0EEvPKvS2_PKi31ggml_cuda_mm_fusion_args_devicePfj15HIP_vector_typeIjLj3EEjjjS8_jjjS8_jjjj,comdat
	.globl	_ZL13mul_mat_vec_qIL9ggml_type2ELi3ELb0ELb0EEvPKvS2_PKi31ggml_cuda_mm_fusion_args_devicePfj15HIP_vector_typeIjLj3EEjjjS8_jjjS8_jjjj ; -- Begin function _ZL13mul_mat_vec_qIL9ggml_type2ELi3ELb0ELb0EEvPKvS2_PKi31ggml_cuda_mm_fusion_args_devicePfj15HIP_vector_typeIjLj3EEjjjS8_jjjS8_jjjj
	.p2align	8
	.type	_ZL13mul_mat_vec_qIL9ggml_type2ELi3ELb0ELb0EEvPKvS2_PKi31ggml_cuda_mm_fusion_args_devicePfj15HIP_vector_typeIjLj3EEjjjS8_jjjS8_jjjj,@function
_ZL13mul_mat_vec_qIL9ggml_type2ELi3ELb0ELb0EEvPKvS2_PKi31ggml_cuda_mm_fusion_args_devicePfj15HIP_vector_typeIjLj3EEjjjS8_jjjS8_jjjj: ; @_ZL13mul_mat_vec_qIL9ggml_type2ELi3ELb0ELb0EEvPKvS2_PKi31ggml_cuda_mm_fusion_args_devicePfj15HIP_vector_typeIjLj3EEjjjS8_jjjS8_jjjj
; %bb.0:
	v_bfe_u32 v15, v0, 10, 10
	v_and_b32_e32 v14, 0x3ff, v0
	v_mov_b32_e32 v0, 0
	v_lshlrev_b32_e32 v8, 6, v15
	v_mov_b32_e32 v1, v0
	v_mov_b32_e32 v2, v0
	;; [unrolled: 1-line block ×3, first 2 shown]
	s_load_dword s6, s[0:1], 0x40
	s_load_dwordx4 s[8:11], s[0:1], 0x50
	s_load_dword s25, s[0:1], 0x60
	s_load_dwordx4 s[12:15], s[0:1], 0x68
	;; [unrolled: 2-line block ×3, first 2 shown]
	scratch_store_dwordx2 off, v[0:1], off offset:16
	scratch_store_dwordx4 off, v[0:3], off
	s_lshl_b32 s5, s2, 1
	s_waitcnt lgkmcnt(0)
	s_lshr_b32 s2, s6, 5
	v_add_u16_e32 v1, v8, v14
	v_lshrrev_b16_e32 v16, 1, v1
	v_cmp_gt_u32_e32 vcc, s2, v16
	v_mov_b32_e32 v1, v0
	v_mov_b32_e32 v7, v0
	;; [unrolled: 1-line block ×3, first 2 shown]
	s_and_saveexec_b64 s[6:7], vcc
	s_cbranch_execz .LBB18_4
; %bb.1:
	s_load_dwordx4 s[20:23], s[0:1], 0x0
	s_mul_i32 s17, s4, s17
	s_mul_hi_u32 s19, s17, 36
	s_mul_i32 s17, s17, 36
	s_mul_i32 s13, s3, s13
	s_waitcnt lgkmcnt(0)
	s_add_u32 s17, s22, s17
	s_addc_u32 s19, s23, s19
	s_mul_hi_u32 s23, s13, 36
	s_mul_i32 s13, s13, 36
	s_add_u32 s22, s17, s13
	s_mul_hi_u32 s11, s11, s3
	s_addc_u32 s23, s19, s23
	s_add_i32 s11, s3, s11
	s_lshr_b32 s11, s11, s25
	v_and_b32_e32 v1, 1, v14
	v_xor_b32_e32 v3, v8, v14
	s_mul_i32 s17, s11, s12
	s_mul_hi_u32 s11, s15, s4
	v_lshlrev_b32_e32 v4, 3, v1
	v_and_b32_e32 v1, v8, v14
	v_lshrrev_b16_e32 v3, 1, v3
	s_add_i32 s11, s4, s11
	v_add_u16_e32 v1, v1, v3
	s_lshr_b32 s11, s11, s24
	v_lshlrev_b32_e32 v0, 1, v14
	v_mad_u64_u32 v[8:9], s[12:13], v1, 36, s[22:23]
	s_mul_i32 s15, s11, s16
	v_and_b32_e32 v0, 2, v0
	s_add_i32 s12, s5, 1
	v_lshlrev_b32_e32 v2, 1, v0
	v_mov_b32_e32 v5, 0
	s_mul_i32 s16, s5, s8
	s_add_i32 s15, s15, s17
	s_mul_i32 s8, s8, s12
	s_lshl_b32 s11, s9, 1
	s_add_i32 s8, s15, s8
	s_add_i32 s15, s15, s16
	s_mov_b64 s[12:13], 0
	v_lshlrev_b32_e32 v10, 1, v2
	v_lshlrev_b32_e32 v12, 2, v0
	s_mov_b64 s[16:17], 0x900
	v_mov_b32_e32 v11, v5
	v_mov_b32_e32 v13, v5
	;; [unrolled: 1-line block ×8, first 2 shown]
.LBB18_2:                               ; =>This Inner Loop Header: Depth=1
	v_add_u32_e32 v17, s15, v16
	v_lshl_add_u64 v[18:19], v[8:9], 0, v[4:5]
	global_load_dword v46, v[8:9], off
	v_add_u32_e32 v24, s8, v16
	v_add_u32_e32 v26, s9, v16
	;; [unrolled: 1-line block ×3, first 2 shown]
	global_load_dwordx2 v[20:21], v[18:19], off offset:4
	global_load_dwordx2 v[22:23], v[18:19], off offset:20
	v_mad_i64_i32 v[18:19], s[24:25], v17, 18, s[20:21]
	v_mad_i64_i32 v[24:25], s[24:25], v24, 18, s[20:21]
	v_mad_u64_u32 v[26:27], s[24:25], v26, 36, s[22:23]
	v_mad_u64_u32 v[28:29], s[24:25], v28, 36, s[22:23]
	v_lshl_add_u64 v[30:31], v[18:19], 0, v[10:11]
	v_lshl_add_u64 v[32:33], v[24:25], 0, v[10:11]
	;; [unrolled: 1-line block ×4, first 2 shown]
	global_load_dword v17, v[30:31], off offset:2
	global_load_dword v47, v[30:31], off offset:6
	;; [unrolled: 1-line block ×4, first 2 shown]
	global_load_ushort v50, v[24:25], off
	global_load_dwordx2 v[38:39], v[34:35], off offset:20
	global_load_dword v51, v[28:29], off
	global_load_dwordx2 v[40:41], v[34:35], off offset:4
	global_load_dword v52, v[26:27], off
	global_load_dwordx2 v[42:43], v[36:37], off offset:4
	global_load_dwordx2 v[44:45], v[36:37], off offset:20
	global_load_ushort v53, v[18:19], off
	v_mov_b32_e32 v19, 0
	v_mov_b32_e32 v25, 0
	;; [unrolled: 1-line block ×6, first 2 shown]
	v_add_u32_e32 v16, 64, v16
	v_cmp_le_u32_e32 vcc, s2, v16
	v_lshl_add_u64 v[8:9], v[8:9], 0, s[16:17]
	s_or_b64 s[12:13], vcc, s[12:13]
	s_waitcnt vmcnt(14)
	v_cvt_f32_f16_e32 v18, v46
	v_cvt_f32_f16_sdwa v30, v46 dst_sel:DWORD dst_unused:UNUSED_PAD src0_sel:WORD_1
	v_mul_f32_e32 v30, 4.0, v30
	s_waitcnt vmcnt(11)
	v_and_b32_e32 v32, 0xf0f0f0f, v17
	v_lshrrev_b32_e32 v17, 4, v17
	v_and_b32_e32 v17, 0xf0f0f0f, v17
	s_waitcnt vmcnt(8)
	v_and_b32_e32 v35, 0xf0f0f0f, v49
	v_lshrrev_b32_e32 v46, 4, v49
	v_dot4c_i32_i8_e32 v19, v32, v20
	v_and_b32_e32 v46, 0xf0f0f0f, v46
	v_dot4c_i32_i8_e32 v25, v35, v20
	s_waitcnt vmcnt(4)
	v_dot4c_i32_i8_e32 v29, v32, v40
	v_dot4c_i32_i8_e32 v31, v35, v40
	s_waitcnt vmcnt(2)
	v_dot4c_i32_i8_e32 v36, v32, v42
	v_dot4c_i32_i8_e32 v37, v35, v42
	v_and_b32_e32 v33, 0xf0f0f0f, v47
	v_lshrrev_b32_e32 v34, 4, v47
	v_and_b32_e32 v47, 0xf0f0f0f, v48
	v_lshrrev_b32_e32 v48, 4, v48
	v_dot4c_i32_i8_e32 v19, v17, v22
	v_dot4c_i32_i8_e32 v25, v46, v22
	v_dot4c_i32_i8_e32 v29, v17, v38
	v_dot4c_i32_i8_e32 v31, v46, v38
	s_waitcnt vmcnt(1)
	v_dot4c_i32_i8_e32 v36, v17, v44
	v_dot4c_i32_i8_e32 v37, v46, v44
	v_and_b32_e32 v34, 0xf0f0f0f, v34
	v_and_b32_e32 v48, 0xf0f0f0f, v48
	v_dot4c_i32_i8_e32 v19, v33, v21
	v_dot4c_i32_i8_e32 v25, v47, v21
	;; [unrolled: 1-line block ×6, first 2 shown]
	v_cvt_f32_f16_sdwa v49, v52 dst_sel:DWORD dst_unused:UNUSED_PAD src0_sel:WORD_1
	v_cvt_f32_f16_e32 v27, v50
	v_cvt_f32_f16_sdwa v50, v51 dst_sel:DWORD dst_unused:UNUSED_PAD src0_sel:WORD_1
	v_dot4c_i32_i8_e32 v19, v34, v23
	v_dot4c_i32_i8_e32 v25, v48, v23
	;; [unrolled: 1-line block ×6, first 2 shown]
	v_cvt_f32_f16_e32 v24, v52
	v_cvt_f32_f16_e32 v28, v51
	v_cvt_f32_i32_e32 v33, v25
	v_cvt_f32_i32_e32 v32, v19
	;; [unrolled: 1-line block ×6, first 2 shown]
	s_waitcnt vmcnt(0)
	v_cvt_f32_f16_e32 v26, v53
	v_mul_f32_e32 v20, 4.0, v49
	v_mul_f32_e32 v22, 4.0, v50
	v_pk_fma_f32 v[18:19], v[18:19], v[32:33], v[30:31] op_sel_hi:[0,1,0] neg_lo:[0,0,1] neg_hi:[0,0,1]
	v_pk_fma_f32 v[20:21], v[24:25], v[34:35], v[20:21] op_sel_hi:[0,1,0] neg_lo:[0,0,1] neg_hi:[0,0,1]
	;; [unrolled: 1-line block ×3, first 2 shown]
	v_pk_fma_f32 v[2:3], v[18:19], v[26:27], v[2:3]
	v_pk_fma_f32 v[0:1], v[20:21], v[26:27], v[0:1]
	v_pk_fma_f32 v[6:7], v[22:23], v[26:27], v[6:7]
	s_andn2_b64 exec, exec, s[12:13]
	s_cbranch_execnz .LBB18_2
; %bb.3:
	s_or_b64 exec, exec, s[12:13]
	v_mov_b32_e32 v4, v0
	v_mov_b32_e32 v5, v1
	scratch_store_dwordx4 off, v[2:5], off
	scratch_store_dwordx2 off, v[6:7], off offset:16
.LBB18_4:
	s_or_b64 exec, exec, s[6:7]
	v_cmp_eq_u32_e32 vcc, 0, v15
	v_cmp_ne_u32_e64 s[6:7], 0, v15
	v_lshlrev_b32_e32 v4, 2, v14
	s_and_saveexec_b64 s[8:9], s[6:7]
	s_cbranch_execz .LBB18_6
; %bb.5:
	v_mul_u32_u24_e32 v5, 0x600, v15
	s_movk_i32 s2, 0xfa00
	v_add3_u32 v5, v5, v4, s2
	ds_write2st64_b32 v5, v2, v3 offset1:1
	ds_write2st64_b32 v5, v0, v1 offset0:2 offset1:3
	ds_write2st64_b32 v5, v6, v7 offset0:4 offset1:5
.LBB18_6:
	s_or_b64 exec, exec, s[8:9]
	s_waitcnt lgkmcnt(0)
	s_barrier
	s_and_saveexec_b64 s[6:7], vcc
	s_cbranch_execz .LBB18_13
; %bb.7:
	scratch_load_dwordx2 v[2:3], off, off
	v_mbcnt_lo_u32_b32 v0, -1, 0
	ds_read2st64_b32 v[6:7], v4 offset1:1
	v_mbcnt_hi_u32_b32 v12, -1, v0
	v_and_b32_e32 v0, 64, v12
	v_xor_b32_e32 v1, 32, v12
	v_add_u32_e32 v13, 64, v0
	v_cmp_lt_i32_e32 vcc, v1, v13
	v_xor_b32_e32 v5, 16, v12
	v_xor_b32_e32 v10, 8, v12
	v_cndmask_b32_e32 v0, v12, v1, vcc
	v_lshlrev_b32_e32 v0, 2, v0
	v_cmp_lt_i32_e32 vcc, v5, v13
	v_xor_b32_e32 v11, 4, v12
	v_xor_b32_e32 v15, 1, v12
	v_cndmask_b32_e32 v1, v12, v5, vcc
	v_lshlrev_b32_e32 v1, 2, v1
	v_cmp_lt_i32_e32 vcc, v10, v13
	v_xor_b32_e32 v5, 2, v12
	s_load_dwordx2 s[0:1], s[0:1], 0x38
	s_mul_i32 s2, s3, s14
	s_mul_i32 s4, s4, s18
	s_add_i32 s2, s2, s5
	s_mov_b32 s3, 0
	s_add_i32 s2, s2, s4
	s_lshl_b64 s[2:3], s[2:3], 2
	s_waitcnt lgkmcnt(0)
	s_add_u32 s2, s0, s2
	s_addc_u32 s3, s1, s3
	s_waitcnt vmcnt(0)
	v_pk_add_f32 v[2:3], v[6:7], v[2:3]
	ds_bpermute_b32 v6, v0, v2
	ds_bpermute_b32 v7, v0, v3
	s_waitcnt lgkmcnt(0)
	v_pk_add_f32 v[6:7], v[2:3], v[6:7]
	ds_bpermute_b32 v8, v1, v6
	ds_bpermute_b32 v9, v1, v7
	v_cndmask_b32_e32 v2, v12, v10, vcc
	v_lshlrev_b32_e32 v2, 2, v2
	v_cmp_lt_i32_e32 vcc, v11, v13
	s_waitcnt lgkmcnt(0)
	v_pk_add_f32 v[6:7], v[6:7], v[8:9]
	ds_bpermute_b32 v8, v2, v6
	ds_bpermute_b32 v9, v2, v7
	v_cndmask_b32_e32 v3, v12, v11, vcc
	v_lshlrev_b32_e32 v3, 2, v3
	v_cmp_lt_i32_e32 vcc, v5, v13
	;; [unrolled: 7-line block ×3, first 2 shown]
	s_waitcnt lgkmcnt(0)
	v_pk_add_f32 v[8:9], v[6:7], v[8:9]
	ds_bpermute_b32 v10, v5, v8
	ds_bpermute_b32 v11, v5, v9
	v_cndmask_b32_e32 v6, v12, v15, vcc
	v_lshlrev_b32_e32 v6, 2, v6
	v_or_b32_e32 v7, s5, v14
	v_cmp_gt_u32_e32 vcc, 2, v14
	s_waitcnt lgkmcnt(0)
	v_pk_add_f32 v[8:9], v[8:9], v[10:11]
	ds_bpermute_b32 v10, v6, v8
	ds_bpermute_b32 v11, v6, v9
	v_cmp_gt_u32_e64 s[0:1], s10, v7
	s_and_b64 s[0:1], vcc, s[0:1]
	s_waitcnt lgkmcnt(0)
	v_pk_add_f32 v[8:9], v[8:9], v[10:11]
	scratch_store_dwordx2 off, v[8:9], off
	s_and_saveexec_b64 s[4:5], s[0:1]
	s_cbranch_execz .LBB18_9
; %bb.8:
	scratch_load_dword v7, v4, off
	s_waitcnt vmcnt(0)
	global_store_dword v4, v7, s[2:3]
.LBB18_9:
	s_or_b64 exec, exec, s[4:5]
	scratch_load_dwordx2 v[8:9], off, off offset:8
	ds_read2st64_b32 v[10:11], v4 offset0:2 offset1:3
	s_waitcnt vmcnt(0) lgkmcnt(0)
	v_pk_add_f32 v[8:9], v[10:11], v[8:9]
	ds_bpermute_b32 v10, v0, v8
	ds_bpermute_b32 v11, v0, v9
	s_waitcnt lgkmcnt(0)
	v_pk_add_f32 v[8:9], v[8:9], v[10:11]
	ds_bpermute_b32 v10, v1, v8
	ds_bpermute_b32 v11, v1, v9
	s_waitcnt lgkmcnt(0)
	;; [unrolled: 4-line block ×6, first 2 shown]
	v_pk_add_f32 v[8:9], v[8:9], v[10:11]
	scratch_store_dwordx2 off, v[8:9], off offset:8
	s_and_saveexec_b64 s[4:5], s[0:1]
	s_cbranch_execz .LBB18_11
; %bb.10:
	scratch_load_dword v7, v4, off offset:8
	v_add_u32_e32 v8, s10, v14
	v_mov_b32_e32 v9, 0
	v_lshl_add_u64 v[8:9], v[8:9], 2, s[2:3]
	s_waitcnt vmcnt(0)
	global_store_dword v[8:9], v7, off
.LBB18_11:
	s_or_b64 exec, exec, s[4:5]
	scratch_load_dwordx2 v[8:9], off, off offset:16
	ds_read2st64_b32 v[10:11], v4 offset0:4 offset1:5
	s_waitcnt vmcnt(0) lgkmcnt(0)
	v_pk_add_f32 v[8:9], v[10:11], v[8:9]
	ds_bpermute_b32 v10, v0, v8
	ds_bpermute_b32 v11, v0, v9
	s_waitcnt lgkmcnt(0)
	v_pk_add_f32 v[8:9], v[8:9], v[10:11]
	ds_bpermute_b32 v0, v1, v8
	ds_bpermute_b32 v1, v1, v9
	s_waitcnt lgkmcnt(0)
	;; [unrolled: 4-line block ×6, first 2 shown]
	v_pk_add_f32 v[0:1], v[0:1], v[2:3]
	scratch_store_dwordx2 off, v[0:1], off offset:16
	s_and_b64 exec, exec, s[0:1]
	s_cbranch_execz .LBB18_13
; %bb.12:
	scratch_load_dword v2, v4, off offset:16
	v_lshl_or_b32 v0, s10, 1, v14
	v_mov_b32_e32 v1, 0
	v_lshl_add_u64 v[0:1], v[0:1], 2, s[2:3]
	s_waitcnt vmcnt(0)
	global_store_dword v[0:1], v2, off
.LBB18_13:
	s_endpgm
	.section	.rodata,"a",@progbits
	.p2align	6, 0x0
	.amdhsa_kernel _ZL13mul_mat_vec_qIL9ggml_type2ELi3ELb0ELb0EEvPKvS2_PKi31ggml_cuda_mm_fusion_args_devicePfj15HIP_vector_typeIjLj3EEjjjS8_jjjS8_jjjj
		.amdhsa_group_segment_fixed_size 1536
		.amdhsa_private_segment_fixed_size 32
		.amdhsa_kernarg_size 144
		.amdhsa_user_sgpr_count 2
		.amdhsa_user_sgpr_dispatch_ptr 0
		.amdhsa_user_sgpr_queue_ptr 0
		.amdhsa_user_sgpr_kernarg_segment_ptr 1
		.amdhsa_user_sgpr_dispatch_id 0
		.amdhsa_user_sgpr_kernarg_preload_length 0
		.amdhsa_user_sgpr_kernarg_preload_offset 0
		.amdhsa_user_sgpr_private_segment_size 0
		.amdhsa_uses_dynamic_stack 0
		.amdhsa_enable_private_segment 1
		.amdhsa_system_sgpr_workgroup_id_x 1
		.amdhsa_system_sgpr_workgroup_id_y 1
		.amdhsa_system_sgpr_workgroup_id_z 1
		.amdhsa_system_sgpr_workgroup_info 0
		.amdhsa_system_vgpr_workitem_id 1
		.amdhsa_next_free_vgpr 54
		.amdhsa_next_free_sgpr 26
		.amdhsa_accum_offset 56
		.amdhsa_reserve_vcc 1
		.amdhsa_float_round_mode_32 0
		.amdhsa_float_round_mode_16_64 0
		.amdhsa_float_denorm_mode_32 3
		.amdhsa_float_denorm_mode_16_64 3
		.amdhsa_dx10_clamp 1
		.amdhsa_ieee_mode 1
		.amdhsa_fp16_overflow 0
		.amdhsa_tg_split 0
		.amdhsa_exception_fp_ieee_invalid_op 0
		.amdhsa_exception_fp_denorm_src 0
		.amdhsa_exception_fp_ieee_div_zero 0
		.amdhsa_exception_fp_ieee_overflow 0
		.amdhsa_exception_fp_ieee_underflow 0
		.amdhsa_exception_fp_ieee_inexact 0
		.amdhsa_exception_int_div_zero 0
	.end_amdhsa_kernel
	.section	.text._ZL13mul_mat_vec_qIL9ggml_type2ELi3ELb0ELb0EEvPKvS2_PKi31ggml_cuda_mm_fusion_args_devicePfj15HIP_vector_typeIjLj3EEjjjS8_jjjS8_jjjj,"axG",@progbits,_ZL13mul_mat_vec_qIL9ggml_type2ELi3ELb0ELb0EEvPKvS2_PKi31ggml_cuda_mm_fusion_args_devicePfj15HIP_vector_typeIjLj3EEjjjS8_jjjS8_jjjj,comdat
.Lfunc_end18:
	.size	_ZL13mul_mat_vec_qIL9ggml_type2ELi3ELb0ELb0EEvPKvS2_PKi31ggml_cuda_mm_fusion_args_devicePfj15HIP_vector_typeIjLj3EEjjjS8_jjjS8_jjjj, .Lfunc_end18-_ZL13mul_mat_vec_qIL9ggml_type2ELi3ELb0ELb0EEvPKvS2_PKi31ggml_cuda_mm_fusion_args_devicePfj15HIP_vector_typeIjLj3EEjjjS8_jjjS8_jjjj
                                        ; -- End function
	.section	.AMDGPU.csdata,"",@progbits
; Kernel info:
; codeLenInByte = 1996
; NumSgprs: 32
; NumVgprs: 54
; NumAgprs: 0
; TotalNumVgprs: 54
; ScratchSize: 32
; MemoryBound: 0
; FloatMode: 240
; IeeeMode: 1
; LDSByteSize: 1536 bytes/workgroup (compile time only)
; SGPRBlocks: 3
; VGPRBlocks: 6
; NumSGPRsForWavesPerEU: 32
; NumVGPRsForWavesPerEU: 54
; AccumOffset: 56
; Occupancy: 8
; WaveLimiterHint : 0
; COMPUTE_PGM_RSRC2:SCRATCH_EN: 1
; COMPUTE_PGM_RSRC2:USER_SGPR: 2
; COMPUTE_PGM_RSRC2:TRAP_HANDLER: 0
; COMPUTE_PGM_RSRC2:TGID_X_EN: 1
; COMPUTE_PGM_RSRC2:TGID_Y_EN: 1
; COMPUTE_PGM_RSRC2:TGID_Z_EN: 1
; COMPUTE_PGM_RSRC2:TIDIG_COMP_CNT: 1
; COMPUTE_PGM_RSRC3_GFX90A:ACCUM_OFFSET: 13
; COMPUTE_PGM_RSRC3_GFX90A:TG_SPLIT: 0
	.section	.text._ZL13mul_mat_vec_qIL9ggml_type2ELi4ELb0ELb0EEvPKvS2_PKi31ggml_cuda_mm_fusion_args_devicePfj15HIP_vector_typeIjLj3EEjjjS8_jjjS8_jjjj,"axG",@progbits,_ZL13mul_mat_vec_qIL9ggml_type2ELi4ELb0ELb0EEvPKvS2_PKi31ggml_cuda_mm_fusion_args_devicePfj15HIP_vector_typeIjLj3EEjjjS8_jjjS8_jjjj,comdat
	.globl	_ZL13mul_mat_vec_qIL9ggml_type2ELi4ELb0ELb0EEvPKvS2_PKi31ggml_cuda_mm_fusion_args_devicePfj15HIP_vector_typeIjLj3EEjjjS8_jjjS8_jjjj ; -- Begin function _ZL13mul_mat_vec_qIL9ggml_type2ELi4ELb0ELb0EEvPKvS2_PKi31ggml_cuda_mm_fusion_args_devicePfj15HIP_vector_typeIjLj3EEjjjS8_jjjS8_jjjj
	.p2align	8
	.type	_ZL13mul_mat_vec_qIL9ggml_type2ELi4ELb0ELb0EEvPKvS2_PKi31ggml_cuda_mm_fusion_args_devicePfj15HIP_vector_typeIjLj3EEjjjS8_jjjS8_jjjj,@function
_ZL13mul_mat_vec_qIL9ggml_type2ELi4ELb0ELb0EEvPKvS2_PKi31ggml_cuda_mm_fusion_args_devicePfj15HIP_vector_typeIjLj3EEjjjS8_jjjS8_jjjj: ; @_ZL13mul_mat_vec_qIL9ggml_type2ELi4ELb0ELb0EEvPKvS2_PKi31ggml_cuda_mm_fusion_args_devicePfj15HIP_vector_typeIjLj3EEjjjS8_jjjS8_jjjj
; %bb.0:
	s_mov_b32 s20, 0
	s_mov_b32 s21, s20
	v_bfe_u32 v9, v0, 10, 10
	v_and_b32_e32 v8, 0x3ff, v0
	s_mov_b32 s22, s20
	s_mov_b32 s23, s20
	v_mov_b64_e32 v[0:1], s[20:21]
	v_lshlrev_b32_e32 v12, 6, v9
	v_mov_b64_e32 v[2:3], s[22:23]
	s_load_dword s6, s[0:1], 0x40
	s_load_dwordx4 s[8:11], s[0:1], 0x50
	s_load_dword s25, s[0:1], 0x60
	s_load_dwordx4 s[12:15], s[0:1], 0x68
	;; [unrolled: 2-line block ×3, first 2 shown]
	scratch_store_dwordx4 off, v[0:3], off offset:16
	scratch_store_dwordx4 off, v[0:3], off
	s_lshl_b32 s5, s2, 1
	s_waitcnt lgkmcnt(0)
	s_lshr_b32 s2, s6, 5
	v_add_u16_e32 v0, v12, v8
	v_lshrrev_b16_e32 v18, 1, v0
	v_mov_b32_e32 v3, 0
	v_cmp_gt_u32_e32 vcc, s2, v18
	v_mov_b32_e32 v4, 0
	v_mov_b32_e32 v2, v3
	;; [unrolled: 1-line block ×7, first 2 shown]
	s_and_saveexec_b64 s[6:7], vcc
	s_cbranch_execz .LBB19_4
; %bb.1:
	s_load_dwordx4 s[20:23], s[0:1], 0x0
	s_mul_i32 s17, s4, s17
	s_mul_hi_u32 s19, s17, 36
	s_mul_i32 s17, s17, 36
	s_mul_i32 s13, s3, s13
	s_waitcnt lgkmcnt(0)
	s_add_u32 s17, s22, s17
	s_addc_u32 s19, s23, s19
	s_mul_hi_u32 s23, s13, 36
	s_mul_i32 s13, s13, 36
	s_add_u32 s22, s17, s13
	s_mul_hi_u32 s11, s11, s3
	s_addc_u32 s23, s19, s23
	s_add_i32 s11, s3, s11
	s_lshr_b32 s11, s11, s25
	v_and_b32_e32 v1, 1, v8
	v_xor_b32_e32 v3, v12, v8
	s_mul_i32 s17, s11, s12
	s_mul_hi_u32 s11, s15, s4
	v_lshlrev_b32_e32 v10, 3, v1
	v_and_b32_e32 v1, v12, v8
	v_lshrrev_b16_e32 v3, 1, v3
	s_add_i32 s11, s4, s11
	v_add_u16_e32 v1, v1, v3
	s_lshr_b32 s11, s11, s24
	v_lshlrev_b32_e32 v0, 1, v8
	v_mad_u64_u32 v[12:13], s[12:13], v1, 36, s[22:23]
	s_mul_i32 s16, s11, s16
	v_and_b32_e32 v0, 2, v0
	s_add_i32 s13, s5, 1
	v_lshlrev_b32_e32 v2, 1, v0
	v_mov_b32_e32 v11, 0
	s_mul_i32 s19, s5, s8
	s_add_i32 s12, s16, s17
	s_mul_i32 s8, s8, s13
	s_lshl_b32 s11, s9, 1
	s_mul_i32 s15, s9, 3
	s_add_i32 s8, s12, s8
	s_add_i32 s19, s12, s19
	s_mov_b64 s[12:13], 0
	v_lshlrev_b32_e32 v14, 1, v2
	v_lshlrev_b32_e32 v16, 2, v0
	s_mov_b64 s[16:17], 0x900
	v_mov_b32_e32 v15, v11
	v_mov_b32_e32 v17, v11
	;; [unrolled: 1-line block ×10, first 2 shown]
.LBB19_2:                               ; =>This Inner Loop Header: Depth=1
	v_add_u32_e32 v19, s19, v18
	v_lshl_add_u64 v[20:21], v[12:13], 0, v[10:11]
	global_load_dword v54, v[12:13], off
	v_add_u32_e32 v26, s8, v18
	v_add_u32_e32 v28, s9, v18
	;; [unrolled: 1-line block ×4, first 2 shown]
	global_load_dwordx2 v[22:23], v[20:21], off offset:4
	global_load_dwordx2 v[24:25], v[20:21], off offset:20
	v_mad_i64_i32 v[20:21], s[24:25], v19, 18, s[20:21]
	v_mad_i64_i32 v[26:27], s[24:25], v26, 18, s[20:21]
	v_mad_u64_u32 v[28:29], s[24:25], v28, 36, s[22:23]
	v_mad_u64_u32 v[30:31], s[24:25], v30, 36, s[22:23]
	;; [unrolled: 1-line block ×3, first 2 shown]
	v_lshl_add_u64 v[34:35], v[20:21], 0, v[14:15]
	v_lshl_add_u64 v[36:37], v[26:27], 0, v[14:15]
	v_lshl_add_u64 v[38:39], v[28:29], 0, v[16:17]
	v_lshl_add_u64 v[40:41], v[30:31], 0, v[16:17]
	v_lshl_add_u64 v[42:43], v[32:33], 0, v[16:17]
	global_load_dword v19, v[34:35], off offset:2
	global_load_dword v57, v[34:35], off offset:6
	;; [unrolled: 1-line block ×4, first 2 shown]
	global_load_ushort v60, v[26:27], off
	global_load_dwordx2 v[44:45], v[38:39], off offset:20
	global_load_dword v61, v[30:31], off
	global_load_dwordx2 v[46:47], v[38:39], off offset:4
	global_load_dword v62, v[28:29], off
	global_load_dwordx2 v[48:49], v[40:41], off offset:4
	global_load_dwordx2 v[50:51], v[40:41], off offset:20
	;; [unrolled: 1-line block ×3, first 2 shown]
                                        ; kill: killed $vgpr38_vgpr39
                                        ; kill: killed $vgpr28_vgpr29
                                        ; kill: killed $vgpr26_vgpr27
                                        ; kill: killed $vgpr30_vgpr31
                                        ; kill: killed $vgpr36_vgpr37
                                        ; kill: killed $vgpr34_vgpr35
                                        ; kill: killed $vgpr40_vgpr41
	global_load_dwordx2 v[26:27], v[42:43], off offset:4
	global_load_dword v31, v[32:33], off
	global_load_ushort v28, v[20:21], off
	v_mov_b32_e32 v55, 0
	v_mov_b32_e32 v56, 0
	;; [unrolled: 1-line block ×8, first 2 shown]
	v_add_u32_e32 v18, 64, v18
	v_cmp_le_u32_e32 vcc, s2, v18
	v_lshl_add_u64 v[12:13], v[12:13], 0, s[16:17]
	s_or_b64 s[12:13], vcc, s[12:13]
	s_waitcnt vmcnt(14)
	v_and_b32_e32 v32, 0xf0f0f0f, v19
	v_lshrrev_b32_e32 v19, 4, v19
	v_and_b32_e32 v19, 0xf0f0f0f, v19
	s_waitcnt vmcnt(11)
	v_and_b32_e32 v39, 0xf0f0f0f, v59
	v_lshrrev_b32_e32 v40, 4, v59
	v_dot4c_i32_i8_e32 v55, v32, v22
	v_dot4c_i32_i8_e32 v56, v39, v22
	s_waitcnt vmcnt(7)
	v_dot4c_i32_i8_e32 v21, v32, v46
	s_waitcnt vmcnt(6)
	v_cvt_f32_f16_sdwa v43, v62 dst_sel:DWORD dst_unused:UNUSED_PAD src0_sel:WORD_1
	s_waitcnt vmcnt(5)
	v_dot4c_i32_i8_e32 v35, v32, v48
	v_dot4c_i32_i8_e32 v33, v39, v46
	;; [unrolled: 1-line block ×3, first 2 shown]
	v_and_b32_e32 v36, 0xf0f0f0f, v57
	v_lshrrev_b32_e32 v38, 4, v57
	v_and_b32_e32 v41, 0xf0f0f0f, v58
	v_lshrrev_b32_e32 v42, 4, v58
	v_dot4c_i32_i8_e32 v55, v19, v24
	v_dot4c_i32_i8_e32 v21, v19, v44
	s_waitcnt vmcnt(4)
	v_dot4c_i32_i8_e32 v35, v19, v50
	s_waitcnt vmcnt(2)
	v_dot4c_i32_i8_e32 v63, v32, v26
	v_dot4c_i32_i8_e32 v64, v39, v26
	v_and_b32_e32 v26, 0xf0f0f0f, v40
	v_dot4c_i32_i8_e32 v63, v19, v52
	v_dot4c_i32_i8_e32 v56, v26, v24
	;; [unrolled: 1-line block ×5, first 2 shown]
	s_waitcnt vmcnt(1)
	v_cvt_f32_f16_e32 v22, v31
	v_cvt_f32_f16_sdwa v19, v31 dst_sel:DWORD dst_unused:UNUSED_PAD src0_sel:WORD_1
	v_and_b32_e32 v31, 0xf0f0f0f, v38
	v_and_b32_e32 v38, 0xf0f0f0f, v42
	v_dot4c_i32_i8_e32 v55, v36, v23
	v_dot4c_i32_i8_e32 v56, v41, v23
	;; [unrolled: 1-line block ×8, first 2 shown]
	v_cvt_f32_f16_e32 v20, v54
	v_cvt_f32_f16_sdwa v34, v54 dst_sel:DWORD dst_unused:UNUSED_PAD src0_sel:WORD_1
	v_cvt_f32_f16_sdwa v54, v61 dst_sel:DWORD dst_unused:UNUSED_PAD src0_sel:WORD_1
	v_dot4c_i32_i8_e32 v55, v31, v25
	v_dot4c_i32_i8_e32 v56, v38, v25
	v_dot4c_i32_i8_e32 v21, v31, v45
	v_dot4c_i32_i8_e32 v33, v38, v45
	v_dot4c_i32_i8_e32 v35, v31, v51
	v_dot4c_i32_i8_e32 v37, v38, v51
	v_dot4c_i32_i8_e32 v63, v31, v53
	v_dot4c_i32_i8_e32 v64, v38, v53
	v_cvt_f32_f16_e32 v30, v62
	v_cvt_f32_f16_e32 v32, v61
	v_mul_f32_e32 v26, 4.0, v43
	v_cvt_f32_i32_e32 v39, v56
	v_cvt_f32_i32_e32 v38, v55
	;; [unrolled: 1-line block ×8, first 2 shown]
	v_cvt_f32_f16_e32 v29, v60
	s_waitcnt vmcnt(0)
	v_cvt_f32_f16_e32 v28, v28
	v_mul_f32_e32 v24, 4.0, v34
	v_mul_f32_e32 v34, 4.0, v54
	;; [unrolled: 1-line block ×3, first 2 shown]
	v_pk_fma_f32 v[20:21], v[20:21], v[38:39], v[24:25] op_sel_hi:[0,1,0] neg_lo:[0,0,1] neg_hi:[0,0,1]
	v_pk_fma_f32 v[24:25], v[30:31], v[40:41], v[26:27] op_sel_hi:[0,1,0] neg_lo:[0,0,1] neg_hi:[0,0,1]
	;; [unrolled: 1-line block ×4, first 2 shown]
	v_pk_fma_f32 v[4:5], v[20:21], v[28:29], v[4:5]
	v_pk_fma_f32 v[6:7], v[24:25], v[28:29], v[6:7]
	;; [unrolled: 1-line block ×4, first 2 shown]
	s_andn2_b64 exec, exec, s[12:13]
	s_cbranch_execnz .LBB19_2
; %bb.3:
	s_or_b64 exec, exec, s[12:13]
	scratch_store_dwordx4 off, v[4:7], off
	scratch_store_dwordx4 off, v[0:3], off offset:16
.LBB19_4:
	s_or_b64 exec, exec, s[6:7]
	v_cmp_eq_u32_e32 vcc, 0, v9
	v_cmp_ne_u32_e64 s[6:7], 0, v9
	v_lshlrev_b32_e32 v10, 2, v8
	s_and_saveexec_b64 s[8:9], s[6:7]
	s_cbranch_execz .LBB19_6
; %bb.5:
	v_lshlrev_b32_e32 v9, 11, v9
	s_movk_i32 s2, 0xf800
	v_add3_u32 v9, v9, v10, s2
	ds_write2st64_b32 v9, v4, v5 offset1:1
	ds_write2st64_b32 v9, v6, v7 offset0:2 offset1:3
	ds_write2st64_b32 v9, v0, v1 offset0:4 offset1:5
	;; [unrolled: 1-line block ×3, first 2 shown]
.LBB19_6:
	s_or_b64 exec, exec, s[8:9]
	s_waitcnt lgkmcnt(0)
	s_barrier
	s_and_saveexec_b64 s[6:7], vcc
	s_cbranch_execz .LBB19_15
; %bb.7:
	scratch_load_dwordx2 v[2:3], off, off
	v_mbcnt_lo_u32_b32 v0, -1, 0
	ds_read2st64_b32 v[4:5], v10 offset1:1
	v_mbcnt_hi_u32_b32 v9, -1, v0
	v_and_b32_e32 v0, 64, v9
	v_xor_b32_e32 v1, 32, v9
	v_add_u32_e32 v14, 64, v0
	v_cmp_lt_i32_e32 vcc, v1, v14
	v_xor_b32_e32 v6, 16, v9
	v_xor_b32_e32 v11, 8, v9
	v_cndmask_b32_e32 v0, v9, v1, vcc
	v_lshlrev_b32_e32 v0, 2, v0
	v_cmp_lt_i32_e32 vcc, v6, v14
	v_xor_b32_e32 v12, 4, v9
	v_xor_b32_e32 v15, 2, v9
	v_cndmask_b32_e32 v1, v9, v6, vcc
	v_lshlrev_b32_e32 v1, 2, v1
	v_cmp_lt_i32_e32 vcc, v11, v14
	s_load_dwordx2 s[0:1], s[0:1], 0x38
	s_mul_i32 s2, s3, s14
	s_mul_i32 s4, s4, s18
	s_add_i32 s2, s2, s5
	s_mov_b32 s3, 0
	s_add_i32 s2, s2, s4
	s_lshl_b64 s[2:3], s[2:3], 2
	s_waitcnt lgkmcnt(0)
	s_add_u32 s2, s0, s2
	s_addc_u32 s3, s1, s3
	s_waitcnt vmcnt(0)
	v_pk_add_f32 v[2:3], v[4:5], v[2:3]
	ds_bpermute_b32 v4, v0, v2
	ds_bpermute_b32 v5, v0, v3
	s_waitcnt lgkmcnt(0)
	v_pk_add_f32 v[4:5], v[2:3], v[4:5]
	ds_bpermute_b32 v6, v1, v4
	ds_bpermute_b32 v7, v1, v5
	v_cndmask_b32_e32 v2, v9, v11, vcc
	v_lshlrev_b32_e32 v2, 2, v2
	v_cmp_lt_i32_e32 vcc, v12, v14
	v_xor_b32_e32 v11, 1, v9
	s_waitcnt lgkmcnt(0)
	v_pk_add_f32 v[4:5], v[4:5], v[6:7]
	ds_bpermute_b32 v6, v2, v4
	ds_bpermute_b32 v7, v2, v5
	v_cndmask_b32_e32 v3, v9, v12, vcc
	v_lshlrev_b32_e32 v3, 2, v3
	v_cmp_lt_i32_e32 vcc, v15, v14
	s_waitcnt lgkmcnt(0)
	v_pk_add_f32 v[6:7], v[4:5], v[6:7]
	ds_bpermute_b32 v12, v3, v6
	ds_bpermute_b32 v13, v3, v7
	v_cndmask_b32_e32 v4, v9, v15, vcc
	v_lshlrev_b32_e32 v4, 2, v4
	v_cmp_lt_i32_e32 vcc, v11, v14
	s_waitcnt lgkmcnt(0)
	v_pk_add_f32 v[6:7], v[6:7], v[12:13]
	ds_bpermute_b32 v12, v4, v6
	ds_bpermute_b32 v13, v4, v7
	v_cndmask_b32_e32 v5, v9, v11, vcc
	v_lshlrev_b32_e32 v5, 2, v5
	v_or_b32_e32 v9, s5, v8
	v_cmp_gt_u32_e32 vcc, 2, v8
	s_waitcnt lgkmcnt(0)
	v_pk_add_f32 v[6:7], v[6:7], v[12:13]
	ds_bpermute_b32 v12, v5, v6
	ds_bpermute_b32 v13, v5, v7
	v_cmp_gt_u32_e64 s[0:1], s10, v9
	s_and_b64 s[0:1], vcc, s[0:1]
	s_waitcnt lgkmcnt(0)
	v_pk_add_f32 v[6:7], v[6:7], v[12:13]
	scratch_store_dwordx2 off, v[6:7], off
	s_and_saveexec_b64 s[4:5], s[0:1]
	s_cbranch_execz .LBB19_9
; %bb.8:
	scratch_load_dword v6, v10, off
	s_waitcnt vmcnt(0)
	global_store_dword v10, v6, s[2:3]
.LBB19_9:
	s_or_b64 exec, exec, s[4:5]
	scratch_load_dwordx2 v[6:7], off, off offset:8
	ds_read2st64_b32 v[12:13], v10 offset0:2 offset1:3
	s_waitcnt vmcnt(0) lgkmcnt(0)
	v_pk_add_f32 v[6:7], v[12:13], v[6:7]
	ds_bpermute_b32 v12, v0, v6
	ds_bpermute_b32 v13, v0, v7
	s_waitcnt lgkmcnt(0)
	v_pk_add_f32 v[6:7], v[6:7], v[12:13]
	ds_bpermute_b32 v12, v1, v6
	ds_bpermute_b32 v13, v1, v7
	s_waitcnt lgkmcnt(0)
	;; [unrolled: 4-line block ×6, first 2 shown]
	v_pk_add_f32 v[6:7], v[6:7], v[12:13]
	scratch_store_dwordx2 off, v[6:7], off offset:8
	s_and_saveexec_b64 s[4:5], s[0:1]
	s_cbranch_execz .LBB19_11
; %bb.10:
	scratch_load_dword v9, v10, off offset:8
	v_add_u32_e32 v6, s10, v8
	v_mov_b32_e32 v7, 0
	v_lshl_add_u64 v[6:7], v[6:7], 2, s[2:3]
	s_waitcnt vmcnt(0)
	global_store_dword v[6:7], v9, off
.LBB19_11:
	s_or_b64 exec, exec, s[4:5]
	scratch_load_dwordx2 v[6:7], off, off offset:16
	ds_read2st64_b32 v[12:13], v10 offset0:4 offset1:5
	s_waitcnt vmcnt(0) lgkmcnt(0)
	v_pk_add_f32 v[6:7], v[12:13], v[6:7]
	ds_bpermute_b32 v12, v0, v6
	ds_bpermute_b32 v13, v0, v7
	s_waitcnt lgkmcnt(0)
	v_pk_add_f32 v[6:7], v[6:7], v[12:13]
	ds_bpermute_b32 v12, v1, v6
	ds_bpermute_b32 v13, v1, v7
	s_waitcnt lgkmcnt(0)
	;; [unrolled: 4-line block ×6, first 2 shown]
	v_pk_add_f32 v[6:7], v[6:7], v[12:13]
	scratch_store_dwordx2 off, v[6:7], off offset:16
	s_and_saveexec_b64 s[4:5], s[0:1]
	s_cbranch_execz .LBB19_13
; %bb.12:
	scratch_load_dword v9, v10, off offset:16
	v_lshl_or_b32 v6, s10, 1, v8
	v_mov_b32_e32 v7, 0
	v_lshl_add_u64 v[6:7], v[6:7], 2, s[2:3]
	s_waitcnt vmcnt(0)
	global_store_dword v[6:7], v9, off
.LBB19_13:
	s_or_b64 exec, exec, s[4:5]
	scratch_load_dwordx2 v[6:7], off, off offset:24
	ds_read2st64_b32 v[12:13], v10 offset0:6 offset1:7
	s_waitcnt vmcnt(0) lgkmcnt(0)
	v_pk_add_f32 v[6:7], v[12:13], v[6:7]
	ds_bpermute_b32 v12, v0, v6
	ds_bpermute_b32 v13, v0, v7
	s_waitcnt lgkmcnt(0)
	v_pk_add_f32 v[6:7], v[6:7], v[12:13]
	ds_bpermute_b32 v0, v1, v6
	ds_bpermute_b32 v1, v1, v7
	s_waitcnt lgkmcnt(0)
	;; [unrolled: 4-line block ×6, first 2 shown]
	v_pk_add_f32 v[0:1], v[0:1], v[2:3]
	scratch_store_dwordx2 off, v[0:1], off offset:24
	s_and_b64 exec, exec, s[0:1]
	s_cbranch_execz .LBB19_15
; %bb.14:
	scratch_load_dword v2, v10, off offset:24
	v_mad_u64_u32 v[0:1], s[0:1], s10, 3, v[8:9]
	v_mov_b32_e32 v1, 0
	v_lshl_add_u64 v[0:1], v[0:1], 2, s[2:3]
	s_waitcnt vmcnt(0)
	global_store_dword v[0:1], v2, off
.LBB19_15:
	s_endpgm
	.section	.rodata,"a",@progbits
	.p2align	6, 0x0
	.amdhsa_kernel _ZL13mul_mat_vec_qIL9ggml_type2ELi4ELb0ELb0EEvPKvS2_PKi31ggml_cuda_mm_fusion_args_devicePfj15HIP_vector_typeIjLj3EEjjjS8_jjjS8_jjjj
		.amdhsa_group_segment_fixed_size 2048
		.amdhsa_private_segment_fixed_size 48
		.amdhsa_kernarg_size 144
		.amdhsa_user_sgpr_count 2
		.amdhsa_user_sgpr_dispatch_ptr 0
		.amdhsa_user_sgpr_queue_ptr 0
		.amdhsa_user_sgpr_kernarg_segment_ptr 1
		.amdhsa_user_sgpr_dispatch_id 0
		.amdhsa_user_sgpr_kernarg_preload_length 0
		.amdhsa_user_sgpr_kernarg_preload_offset 0
		.amdhsa_user_sgpr_private_segment_size 0
		.amdhsa_uses_dynamic_stack 0
		.amdhsa_enable_private_segment 1
		.amdhsa_system_sgpr_workgroup_id_x 1
		.amdhsa_system_sgpr_workgroup_id_y 1
		.amdhsa_system_sgpr_workgroup_id_z 1
		.amdhsa_system_sgpr_workgroup_info 0
		.amdhsa_system_vgpr_workitem_id 1
		.amdhsa_next_free_vgpr 65
		.amdhsa_next_free_sgpr 26
		.amdhsa_accum_offset 68
		.amdhsa_reserve_vcc 1
		.amdhsa_float_round_mode_32 0
		.amdhsa_float_round_mode_16_64 0
		.amdhsa_float_denorm_mode_32 3
		.amdhsa_float_denorm_mode_16_64 3
		.amdhsa_dx10_clamp 1
		.amdhsa_ieee_mode 1
		.amdhsa_fp16_overflow 0
		.amdhsa_tg_split 0
		.amdhsa_exception_fp_ieee_invalid_op 0
		.amdhsa_exception_fp_denorm_src 0
		.amdhsa_exception_fp_ieee_div_zero 0
		.amdhsa_exception_fp_ieee_overflow 0
		.amdhsa_exception_fp_ieee_underflow 0
		.amdhsa_exception_fp_ieee_inexact 0
		.amdhsa_exception_int_div_zero 0
	.end_amdhsa_kernel
	.section	.text._ZL13mul_mat_vec_qIL9ggml_type2ELi4ELb0ELb0EEvPKvS2_PKi31ggml_cuda_mm_fusion_args_devicePfj15HIP_vector_typeIjLj3EEjjjS8_jjjS8_jjjj,"axG",@progbits,_ZL13mul_mat_vec_qIL9ggml_type2ELi4ELb0ELb0EEvPKvS2_PKi31ggml_cuda_mm_fusion_args_devicePfj15HIP_vector_typeIjLj3EEjjjS8_jjjS8_jjjj,comdat
.Lfunc_end19:
	.size	_ZL13mul_mat_vec_qIL9ggml_type2ELi4ELb0ELb0EEvPKvS2_PKi31ggml_cuda_mm_fusion_args_devicePfj15HIP_vector_typeIjLj3EEjjjS8_jjjS8_jjjj, .Lfunc_end19-_ZL13mul_mat_vec_qIL9ggml_type2ELi4ELb0ELb0EEvPKvS2_PKi31ggml_cuda_mm_fusion_args_devicePfj15HIP_vector_typeIjLj3EEjjjS8_jjjS8_jjjj
                                        ; -- End function
	.section	.AMDGPU.csdata,"",@progbits
; Kernel info:
; codeLenInByte = 2420
; NumSgprs: 32
; NumVgprs: 65
; NumAgprs: 0
; TotalNumVgprs: 65
; ScratchSize: 48
; MemoryBound: 0
; FloatMode: 240
; IeeeMode: 1
; LDSByteSize: 2048 bytes/workgroup (compile time only)
; SGPRBlocks: 3
; VGPRBlocks: 8
; NumSGPRsForWavesPerEU: 32
; NumVGPRsForWavesPerEU: 65
; AccumOffset: 68
; Occupancy: 7
; WaveLimiterHint : 0
; COMPUTE_PGM_RSRC2:SCRATCH_EN: 1
; COMPUTE_PGM_RSRC2:USER_SGPR: 2
; COMPUTE_PGM_RSRC2:TRAP_HANDLER: 0
; COMPUTE_PGM_RSRC2:TGID_X_EN: 1
; COMPUTE_PGM_RSRC2:TGID_Y_EN: 1
; COMPUTE_PGM_RSRC2:TGID_Z_EN: 1
; COMPUTE_PGM_RSRC2:TIDIG_COMP_CNT: 1
; COMPUTE_PGM_RSRC3_GFX90A:ACCUM_OFFSET: 16
; COMPUTE_PGM_RSRC3_GFX90A:TG_SPLIT: 0
	.section	.text._ZL13mul_mat_vec_qIL9ggml_type2ELi5ELb0ELb0EEvPKvS2_PKi31ggml_cuda_mm_fusion_args_devicePfj15HIP_vector_typeIjLj3EEjjjS8_jjjS8_jjjj,"axG",@progbits,_ZL13mul_mat_vec_qIL9ggml_type2ELi5ELb0ELb0EEvPKvS2_PKi31ggml_cuda_mm_fusion_args_devicePfj15HIP_vector_typeIjLj3EEjjjS8_jjjS8_jjjj,comdat
	.globl	_ZL13mul_mat_vec_qIL9ggml_type2ELi5ELb0ELb0EEvPKvS2_PKi31ggml_cuda_mm_fusion_args_devicePfj15HIP_vector_typeIjLj3EEjjjS8_jjjS8_jjjj ; -- Begin function _ZL13mul_mat_vec_qIL9ggml_type2ELi5ELb0ELb0EEvPKvS2_PKi31ggml_cuda_mm_fusion_args_devicePfj15HIP_vector_typeIjLj3EEjjjS8_jjjS8_jjjj
	.p2align	8
	.type	_ZL13mul_mat_vec_qIL9ggml_type2ELi5ELb0ELb0EEvPKvS2_PKi31ggml_cuda_mm_fusion_args_devicePfj15HIP_vector_typeIjLj3EEjjjS8_jjjS8_jjjj,@function
_ZL13mul_mat_vec_qIL9ggml_type2ELi5ELb0ELb0EEvPKvS2_PKi31ggml_cuda_mm_fusion_args_devicePfj15HIP_vector_typeIjLj3EEjjjS8_jjjS8_jjjj: ; @_ZL13mul_mat_vec_qIL9ggml_type2ELi5ELb0ELb0EEvPKvS2_PKi31ggml_cuda_mm_fusion_args_devicePfj15HIP_vector_typeIjLj3EEjjjS8_jjjS8_jjjj
; %bb.0:
	v_bfe_u32 v9, v0, 10, 10
	v_lshlrev_b32_e32 v1, 6, v9
	v_and_b32_e32 v8, 0x3ff, v0
	s_mov_b32 s20, 0
	s_load_dword s5, s[0:1], 0x40
	s_load_dwordx4 s[8:11], s[0:1], 0x50
	s_load_dword s25, s[0:1], 0x60
	s_load_dwordx4 s[12:15], s[0:1], 0x68
	;; [unrolled: 2-line block ×3, first 2 shown]
	s_mov_b32 s21, s20
	v_add_u16_e32 v0, v1, v8
	s_waitcnt lgkmcnt(0)
	s_lshr_b32 s5, s5, 5
	v_mov_b32_e32 v11, 0
	s_mov_b32 s22, s20
	s_mov_b32 s23, s20
	v_mov_b64_e32 v[2:3], s[20:21]
	v_lshrrev_b16_e32 v20, 1, v0
	s_lshl_b32 s2, s2, 1
	v_mov_b32_e32 v10, v11
	v_mov_b64_e32 v[4:5], s[22:23]
	v_cmp_gt_u32_e32 vcc, s5, v20
	scratch_store_dwordx2 off, v[10:11], off offset:32
	scratch_store_dwordx4 off, v[2:5], off offset:16
	scratch_store_dwordx4 off, v[2:5], off
	s_and_saveexec_b64 s[6:7], vcc
	s_cbranch_execz .LBB20_4
; %bb.1:
	s_load_dwordx4 s[20:23], s[0:1], 0x0
	s_mul_i32 s17, s4, s17
	s_mul_hi_u32 s19, s17, 36
	s_mul_i32 s17, s17, 36
	s_mul_i32 s13, s3, s13
	s_waitcnt lgkmcnt(0)
	s_add_u32 s17, s22, s17
	s_addc_u32 s19, s23, s19
	s_mul_hi_u32 s23, s13, 36
	s_mul_i32 s13, s13, 36
	s_add_u32 s22, s17, s13
	s_mul_hi_u32 s11, s11, s3
	s_addc_u32 s23, s19, s23
	s_add_i32 s11, s3, s11
	v_and_b32_e32 v3, 1, v8
	s_lshr_b32 s11, s11, s25
	v_lshlrev_b32_e32 v10, 3, v3
	v_and_b32_e32 v3, v1, v8
	v_xor_b32_e32 v1, v1, v8
	s_mul_i32 s17, s11, s12
	s_mul_hi_u32 s11, s15, s4
	v_lshrrev_b16_e32 v1, 1, v1
	s_add_i32 s11, s4, s11
	v_add_u16_e32 v1, v3, v1
	s_lshr_b32 s11, s11, s24
	v_lshlrev_b32_e32 v0, 1, v8
	v_mad_u64_u32 v[12:13], s[12:13], v1, 36, s[22:23]
	s_mul_i32 s16, s11, s16
	v_and_b32_e32 v0, 2, v0
	s_add_i32 s13, s2, 1
	v_lshlrev_b32_e32 v2, 1, v0
	s_mul_i32 s24, s2, s8
	s_add_i32 s12, s16, s17
	s_mul_i32 s8, s8, s13
	s_lshl_b32 s11, s9, 1
	s_mul_i32 s15, s9, 3
	s_lshl_b32 s19, s9, 2
	s_add_i32 s8, s12, s8
	s_add_i32 s24, s12, s24
	s_mov_b64 s[12:13], 0
	v_lshlrev_b32_e32 v16, 1, v2
	v_lshlrev_b32_e32 v18, 2, v0
	s_mov_b64 s[16:17], 0x480
	v_mov_b32_e32 v17, v11
	v_mov_b32_e32 v19, v11
	;; [unrolled: 1-line block ×12, first 2 shown]
.LBB20_2:                               ; =>This Inner Loop Header: Depth=1
	v_lshl_add_u64 v[22:23], v[12:13], 0, v[10:11]
	global_load_dwordx2 v[24:25], v[22:23], off offset:4
	global_load_dwordx2 v[26:27], v[22:23], off offset:20
	v_add_u32_e32 v21, s24, v20
	v_add_u32_e32 v28, s8, v20
	;; [unrolled: 1-line block ×6, first 2 shown]
	v_mad_i64_i32 v[22:23], s[26:27], v21, 18, s[20:21]
	v_mad_i64_i32 v[28:29], s[26:27], v28, 18, s[20:21]
	v_mad_u64_u32 v[30:31], s[26:27], v30, 36, s[22:23]
	v_mad_u64_u32 v[32:33], s[26:27], v32, 36, s[22:23]
	;; [unrolled: 1-line block ×4, first 2 shown]
	v_lshl_add_u64 v[38:39], v[22:23], 0, v[16:17]
	v_lshl_add_u64 v[40:41], v[28:29], 0, v[16:17]
	v_lshl_add_u64 v[42:43], v[30:31], 0, v[18:19]
	v_lshl_add_u64 v[44:45], v[32:33], 0, v[18:19]
	v_lshl_add_u64 v[46:47], v[34:35], 0, v[18:19]
	v_lshl_add_u64 v[48:49], v[36:37], 0, v[18:19]
	global_load_dword v21, v[38:39], off offset:6
	global_load_dword v60, v[40:41], off offset:6
	;; [unrolled: 1-line block ×3, first 2 shown]
	global_load_ushort v62, v[28:29], off
	global_load_dword v63, v[38:39], off offset:2
                                        ; kill: killed $vgpr28_vgpr29
                                        ; kill: killed $vgpr40_vgpr41
                                        ; kill: killed $vgpr38_vgpr39
	global_load_ushort v64, v[22:23], off
	s_nop 0
	global_load_dwordx2 v[28:29], v[42:43], off offset:20
	global_load_dword v65, v[32:33], off
	global_load_dwordx2 v[38:39], v[42:43], off offset:4
                                        ; kill: killed $vgpr42_vgpr43
                                        ; kill: killed $vgpr22_vgpr23
                                        ; kill: killed $vgpr32_vgpr33
	global_load_dword v66, v[30:31], off
	global_load_dwordx2 v[22:23], v[44:45], off offset:4
	s_nop 0
	global_load_dwordx2 v[32:33], v[46:47], off offset:4
	global_load_dword v67, v[34:35], off
                                        ; kill: killed $vgpr34_vgpr35
                                        ; kill: killed $vgpr30_vgpr31
	global_load_dwordx2 v[30:31], v[48:49], off offset:4
	s_nop 0
	global_load_dwordx2 v[34:35], v[44:45], off offset:20
                                        ; kill: killed $vgpr44_vgpr45
	global_load_dwordx2 v[40:41], v[46:47], off offset:20
	global_load_dwordx2 v[42:43], v[48:49], off offset:20
	s_nop 0
	global_load_dword v44, v[36:37], off
	v_mov_b32_e32 v50, 0
	v_mov_b32_e32 v52, 0
	;; [unrolled: 1-line block ×10, first 2 shown]
	v_add_u32_e32 v20, 32, v20
	v_cmp_le_u32_e32 vcc, s5, v20
	s_or_b64 s[12:13], vcc, s[12:13]
	s_waitcnt vmcnt(14)
	v_cvt_f32_f16_e32 v37, v62
	s_waitcnt vmcnt(13)
	v_and_b32_e32 v45, 0xf0f0f0f, v63
	v_dot4c_i32_i8_e32 v50, v45, v24
	s_waitcnt vmcnt(12)
	v_cvt_f32_f16_e32 v36, v64
	s_waitcnt vmcnt(9)
	v_dot4c_i32_i8_e32 v52, v45, v38
	s_waitcnt vmcnt(7)
	v_dot4c_i32_i8_e32 v54, v45, v22
	;; [unrolled: 2-line block ×4, first 2 shown]
	v_and_b32_e32 v45, 0xf0f0f0f, v61
	v_dot4c_i32_i8_e32 v51, v45, v24
	global_load_dword v24, v[12:13], off
	v_dot4c_i32_i8_e32 v55, v45, v22
	v_lshrrev_b32_e32 v22, 4, v63
	v_and_b32_e32 v22, 0xf0f0f0f, v22
	v_dot4c_i32_i8_e32 v50, v22, v26
	v_dot4c_i32_i8_e32 v52, v22, v28
	s_waitcnt vmcnt(4)
	v_dot4c_i32_i8_e32 v54, v22, v34
	s_waitcnt vmcnt(3)
	;; [unrolled: 2-line block ×3, first 2 shown]
	v_dot4c_i32_i8_e32 v58, v22, v42
	v_lshrrev_b32_e32 v22, 4, v61
	v_and_b32_e32 v22, 0xf0f0f0f, v22
	v_dot4c_i32_i8_e32 v57, v45, v32
	v_dot4c_i32_i8_e32 v59, v45, v30
	v_and_b32_e32 v30, 0xf0f0f0f, v21
	v_dot4c_i32_i8_e32 v51, v22, v26
	v_and_b32_e32 v32, 0xf0f0f0f, v60
	v_dot4c_i32_i8_e32 v50, v30, v25
	v_dot4c_i32_i8_e32 v51, v32, v25
	;; [unrolled: 1-line block ×7, first 2 shown]
	v_lshrrev_b32_e32 v21, 4, v21
	v_lshrrev_b32_e32 v34, 4, v60
	v_dot4c_i32_i8_e32 v52, v30, v39
	v_dot4c_i32_i8_e32 v53, v32, v39
	;; [unrolled: 1-line block ×8, first 2 shown]
	v_and_b32_e32 v21, 0xf0f0f0f, v21
	v_cvt_f32_f16_sdwa v38, v66 dst_sel:DWORD dst_unused:UNUSED_PAD src0_sel:WORD_1
	v_cvt_f32_f16_sdwa v23, v65 dst_sel:DWORD dst_unused:UNUSED_PAD src0_sel:WORD_1
	;; [unrolled: 1-line block ×3, first 2 shown]
	s_waitcnt vmcnt(1)
	v_cvt_f32_f16_sdwa v31, v44 dst_sel:DWORD dst_unused:UNUSED_PAD src0_sel:WORD_1
	v_dot4c_i32_i8_e32 v50, v21, v27
	v_dot4c_i32_i8_e32 v52, v21, v29
	;; [unrolled: 1-line block ×5, first 2 shown]
	v_cvt_f32_f16_e32 v26, v65
	v_cvt_f32_f16_e32 v28, v67
	;; [unrolled: 1-line block ×3, first 2 shown]
	v_cvt_f32_i32_e32 v44, v50
	v_cvt_f32_i32_e32 v46, v52
	;; [unrolled: 1-line block ×5, first 2 shown]
	v_mul_f32_e32 v40, 4.0, v33
	v_mul_f32_e32 v42, 4.0, v31
	v_lshl_add_u64 v[12:13], v[12:13], 0, s[16:17]
	s_waitcnt vmcnt(0)
	v_cvt_f32_f16_sdwa v25, v24 dst_sel:DWORD dst_unused:UNUSED_PAD src0_sel:WORD_1
	v_cvt_f32_f16_e32 v22, v24
	v_cvt_f32_f16_e32 v24, v66
	v_mul_f32_e32 v32, 4.0, v25
	v_and_b32_e32 v25, 0xf0f0f0f, v34
	v_dot4c_i32_i8_e32 v51, v25, v27
	v_dot4c_i32_i8_e32 v53, v25, v29
	v_dot4c_i32_i8_e32 v55, v25, v35
	v_dot4c_i32_i8_e32 v57, v25, v41
	v_dot4c_i32_i8_e32 v59, v25, v43
	v_cvt_f32_i32_e32 v45, v51
	v_cvt_f32_i32_e32 v47, v53
	;; [unrolled: 1-line block ×5, first 2 shown]
	v_mul_f32_e32 v34, 4.0, v38
	v_mul_f32_e32 v38, 4.0, v23
	v_pk_fma_f32 v[22:23], v[22:23], v[44:45], v[32:33] op_sel_hi:[0,1,0] neg_lo:[0,0,1] neg_hi:[0,0,1]
	v_pk_fma_f32 v[24:25], v[24:25], v[46:47], v[34:35] op_sel_hi:[0,1,0] neg_lo:[0,0,1] neg_hi:[0,0,1]
	;; [unrolled: 1-line block ×5, first 2 shown]
	v_pk_fma_f32 v[4:5], v[22:23], v[36:37], v[4:5]
	v_pk_fma_f32 v[6:7], v[24:25], v[36:37], v[6:7]
	;; [unrolled: 1-line block ×5, first 2 shown]
	s_andn2_b64 exec, exec, s[12:13]
	s_cbranch_execnz .LBB20_2
; %bb.3:
	s_or_b64 exec, exec, s[12:13]
	scratch_store_dwordx4 off, v[4:7], off
	scratch_store_dwordx4 off, v[0:3], off offset:16
	scratch_store_dwordx2 off, v[14:15], off offset:32
.LBB20_4:
	s_or_b64 exec, exec, s[6:7]
	s_mov_b32 s5, 0
	v_cmp_eq_u32_e32 vcc, 0, v9
	s_waitcnt lgkmcnt(0)
	; wave barrier
	s_and_saveexec_b64 s[6:7], vcc
	s_cbranch_execz .LBB20_15
; %bb.5:
	scratch_load_dwordx2 v[2:3], off, off
	v_mbcnt_lo_u32_b32 v0, -1, 0
	v_mbcnt_hi_u32_b32 v9, -1, v0
	s_load_dwordx2 s[6:7], s[0:1], 0x38
	s_mul_i32 s0, s3, s14
	v_or_b32_e32 v1, s2, v8
	v_and_b32_e32 v0, 64, v9
	s_mul_i32 s4, s4, s18
	s_add_i32 s2, s0, s2
	v_cmp_gt_u32_e64 s[0:1], s10, v1
	v_xor_b32_e32 v1, 32, v9
	v_add_u32_e32 v14, 64, v0
	s_add_i32 s4, s2, s4
	v_cmp_lt_i32_e64 s[2:3], v1, v14
	v_cmp_gt_u32_e32 vcc, 2, v8
	s_nop 0
	v_cndmask_b32_e64 v0, v9, v1, s[2:3]
	v_lshlrev_b32_e32 v0, 2, v0
	v_xor_b32_e32 v1, 16, v9
	v_cmp_lt_i32_e64 s[2:3], v1, v14
	s_waitcnt vmcnt(0)
	ds_bpermute_b32 v4, v0, v2
	ds_bpermute_b32 v5, v0, v3
	v_cndmask_b32_e64 v1, v9, v1, s[2:3]
	v_lshlrev_b32_e32 v1, 2, v1
	s_waitcnt lgkmcnt(0)
	v_pk_add_f32 v[4:5], v[2:3], v[4:5]
	ds_bpermute_b32 v6, v1, v4
	ds_bpermute_b32 v7, v1, v5
	v_xor_b32_e32 v2, 8, v9
	v_cmp_lt_i32_e64 s[2:3], v2, v14
	v_xor_b32_e32 v3, 4, v9
	s_waitcnt lgkmcnt(0)
	v_pk_add_f32 v[4:5], v[4:5], v[6:7]
	v_cndmask_b32_e64 v2, v9, v2, s[2:3]
	v_lshlrev_b32_e32 v2, 2, v2
	ds_bpermute_b32 v6, v2, v4
	ds_bpermute_b32 v7, v2, v5
	v_cmp_lt_i32_e64 s[2:3], v3, v14
	s_waitcnt lgkmcnt(0)
	v_pk_add_f32 v[6:7], v[4:5], v[6:7]
	v_cndmask_b32_e64 v3, v9, v3, s[2:3]
	v_lshlrev_b32_e32 v3, 2, v3
	ds_bpermute_b32 v10, v3, v6
	ds_bpermute_b32 v11, v3, v7
	v_xor_b32_e32 v4, 2, v9
	v_cmp_lt_i32_e64 s[2:3], v4, v14
	v_xor_b32_e32 v5, 1, v9
	s_waitcnt lgkmcnt(0)
	v_pk_add_f32 v[10:11], v[6:7], v[10:11]
	v_cndmask_b32_e64 v4, v9, v4, s[2:3]
	v_lshlrev_b32_e32 v4, 2, v4
	ds_bpermute_b32 v12, v4, v10
	ds_bpermute_b32 v13, v4, v11
	v_cmp_lt_i32_e64 s[2:3], v5, v14
	s_waitcnt lgkmcnt(0)
	v_pk_add_f32 v[10:11], v[10:11], v[12:13]
	v_cndmask_b32_e64 v5, v9, v5, s[2:3]
	v_lshlrev_b32_e32 v6, 2, v5
	ds_bpermute_b32 v12, v6, v10
	ds_bpermute_b32 v13, v6, v11
	s_lshl_b64 s[2:3], s[4:5], 2
	s_add_u32 s2, s6, s2
	s_addc_u32 s3, s7, s3
	s_and_b64 s[0:1], vcc, s[0:1]
	s_waitcnt lgkmcnt(0)
	v_pk_add_f32 v[10:11], v[10:11], v[12:13]
	v_lshlrev_b32_e32 v5, 2, v8
	scratch_store_dwordx2 off, v[10:11], off
	s_and_saveexec_b64 s[4:5], s[0:1]
	s_cbranch_execz .LBB20_7
; %bb.6:
	scratch_load_dword v7, v5, off
	s_waitcnt vmcnt(0)
	global_store_dword v5, v7, s[2:3]
.LBB20_7:
	s_or_b64 exec, exec, s[4:5]
	scratch_load_dwordx2 v[10:11], off, off offset:8
	s_waitcnt vmcnt(0)
	ds_bpermute_b32 v12, v0, v10
	ds_bpermute_b32 v13, v0, v11
	s_waitcnt lgkmcnt(0)
	v_pk_add_f32 v[10:11], v[10:11], v[12:13]
	ds_bpermute_b32 v12, v1, v10
	ds_bpermute_b32 v13, v1, v11
	s_waitcnt lgkmcnt(0)
	v_pk_add_f32 v[10:11], v[10:11], v[12:13]
	;; [unrolled: 4-line block ×6, first 2 shown]
	scratch_store_dwordx2 off, v[10:11], off offset:8
	s_and_saveexec_b64 s[4:5], s[0:1]
	s_cbranch_execz .LBB20_9
; %bb.8:
	scratch_load_dword v7, v5, off offset:8
	v_add_u32_e32 v10, s10, v8
	v_mov_b32_e32 v11, 0
	v_lshl_add_u64 v[10:11], v[10:11], 2, s[2:3]
	s_waitcnt vmcnt(0)
	global_store_dword v[10:11], v7, off
.LBB20_9:
	s_or_b64 exec, exec, s[4:5]
	scratch_load_dwordx2 v[10:11], off, off offset:16
	s_waitcnt vmcnt(0)
	ds_bpermute_b32 v12, v0, v10
	ds_bpermute_b32 v13, v0, v11
	s_waitcnt lgkmcnt(0)
	v_pk_add_f32 v[10:11], v[10:11], v[12:13]
	ds_bpermute_b32 v12, v1, v10
	ds_bpermute_b32 v13, v1, v11
	s_waitcnt lgkmcnt(0)
	v_pk_add_f32 v[10:11], v[10:11], v[12:13]
	;; [unrolled: 4-line block ×6, first 2 shown]
	scratch_store_dwordx2 off, v[10:11], off offset:16
	s_and_saveexec_b64 s[4:5], s[0:1]
	s_cbranch_execz .LBB20_11
; %bb.10:
	scratch_load_dword v7, v5, off offset:16
	v_lshl_or_b32 v10, s10, 1, v8
	v_mov_b32_e32 v11, 0
	v_lshl_add_u64 v[10:11], v[10:11], 2, s[2:3]
	s_waitcnt vmcnt(0)
	global_store_dword v[10:11], v7, off
.LBB20_11:
	s_or_b64 exec, exec, s[4:5]
	scratch_load_dwordx2 v[10:11], off, off offset:24
	s_waitcnt vmcnt(0)
	ds_bpermute_b32 v12, v0, v10
	ds_bpermute_b32 v13, v0, v11
	s_waitcnt lgkmcnt(0)
	v_pk_add_f32 v[10:11], v[10:11], v[12:13]
	ds_bpermute_b32 v12, v1, v10
	ds_bpermute_b32 v13, v1, v11
	s_waitcnt lgkmcnt(0)
	v_pk_add_f32 v[10:11], v[10:11], v[12:13]
	;; [unrolled: 4-line block ×6, first 2 shown]
	scratch_store_dwordx2 off, v[10:11], off offset:24
	s_and_saveexec_b64 s[4:5], s[0:1]
	s_cbranch_execz .LBB20_13
; %bb.12:
	scratch_load_dword v7, v5, off offset:24
	v_mad_u64_u32 v[10:11], s[6:7], s10, 3, v[8:9]
	v_mov_b32_e32 v11, 0
	v_lshl_add_u64 v[10:11], v[10:11], 2, s[2:3]
	s_waitcnt vmcnt(0)
	global_store_dword v[10:11], v7, off
.LBB20_13:
	s_or_b64 exec, exec, s[4:5]
	scratch_load_dwordx2 v[10:11], off, off offset:32
	s_waitcnt vmcnt(0)
	ds_bpermute_b32 v12, v0, v10
	ds_bpermute_b32 v13, v0, v11
	s_waitcnt lgkmcnt(0)
	v_pk_add_f32 v[10:11], v[10:11], v[12:13]
	ds_bpermute_b32 v0, v1, v10
	ds_bpermute_b32 v1, v1, v11
	s_waitcnt lgkmcnt(0)
	v_pk_add_f32 v[0:1], v[10:11], v[0:1]
	;; [unrolled: 4-line block ×6, first 2 shown]
	scratch_store_dwordx2 off, v[0:1], off offset:32
	s_and_b64 exec, exec, s[0:1]
	s_cbranch_execz .LBB20_15
; %bb.14:
	scratch_load_dword v2, v5, off offset:32
	v_lshl_or_b32 v0, s10, 2, v8
	v_mov_b32_e32 v1, 0
	v_lshl_add_u64 v[0:1], v[0:1], 2, s[2:3]
	s_waitcnt vmcnt(0)
	global_store_dword v[0:1], v2, off
.LBB20_15:
	s_endpgm
	.section	.rodata,"a",@progbits
	.p2align	6, 0x0
	.amdhsa_kernel _ZL13mul_mat_vec_qIL9ggml_type2ELi5ELb0ELb0EEvPKvS2_PKi31ggml_cuda_mm_fusion_args_devicePfj15HIP_vector_typeIjLj3EEjjjS8_jjjS8_jjjj
		.amdhsa_group_segment_fixed_size 0
		.amdhsa_private_segment_fixed_size 48
		.amdhsa_kernarg_size 144
		.amdhsa_user_sgpr_count 2
		.amdhsa_user_sgpr_dispatch_ptr 0
		.amdhsa_user_sgpr_queue_ptr 0
		.amdhsa_user_sgpr_kernarg_segment_ptr 1
		.amdhsa_user_sgpr_dispatch_id 0
		.amdhsa_user_sgpr_kernarg_preload_length 0
		.amdhsa_user_sgpr_kernarg_preload_offset 0
		.amdhsa_user_sgpr_private_segment_size 0
		.amdhsa_uses_dynamic_stack 0
		.amdhsa_enable_private_segment 1
		.amdhsa_system_sgpr_workgroup_id_x 1
		.amdhsa_system_sgpr_workgroup_id_y 1
		.amdhsa_system_sgpr_workgroup_id_z 1
		.amdhsa_system_sgpr_workgroup_info 0
		.amdhsa_system_vgpr_workitem_id 1
		.amdhsa_next_free_vgpr 68
		.amdhsa_next_free_sgpr 28
		.amdhsa_accum_offset 68
		.amdhsa_reserve_vcc 1
		.amdhsa_float_round_mode_32 0
		.amdhsa_float_round_mode_16_64 0
		.amdhsa_float_denorm_mode_32 3
		.amdhsa_float_denorm_mode_16_64 3
		.amdhsa_dx10_clamp 1
		.amdhsa_ieee_mode 1
		.amdhsa_fp16_overflow 0
		.amdhsa_tg_split 0
		.amdhsa_exception_fp_ieee_invalid_op 0
		.amdhsa_exception_fp_denorm_src 0
		.amdhsa_exception_fp_ieee_div_zero 0
		.amdhsa_exception_fp_ieee_overflow 0
		.amdhsa_exception_fp_ieee_underflow 0
		.amdhsa_exception_fp_ieee_inexact 0
		.amdhsa_exception_int_div_zero 0
	.end_amdhsa_kernel
	.section	.text._ZL13mul_mat_vec_qIL9ggml_type2ELi5ELb0ELb0EEvPKvS2_PKi31ggml_cuda_mm_fusion_args_devicePfj15HIP_vector_typeIjLj3EEjjjS8_jjjS8_jjjj,"axG",@progbits,_ZL13mul_mat_vec_qIL9ggml_type2ELi5ELb0ELb0EEvPKvS2_PKi31ggml_cuda_mm_fusion_args_devicePfj15HIP_vector_typeIjLj3EEjjjS8_jjjS8_jjjj,comdat
.Lfunc_end20:
	.size	_ZL13mul_mat_vec_qIL9ggml_type2ELi5ELb0ELb0EEvPKvS2_PKi31ggml_cuda_mm_fusion_args_devicePfj15HIP_vector_typeIjLj3EEjjjS8_jjjS8_jjjj, .Lfunc_end20-_ZL13mul_mat_vec_qIL9ggml_type2ELi5ELb0ELb0EEvPKvS2_PKi31ggml_cuda_mm_fusion_args_devicePfj15HIP_vector_typeIjLj3EEjjjS8_jjjS8_jjjj
                                        ; -- End function
	.section	.AMDGPU.csdata,"",@progbits
; Kernel info:
; codeLenInByte = 2724
; NumSgprs: 34
; NumVgprs: 68
; NumAgprs: 0
; TotalNumVgprs: 68
; ScratchSize: 48
; MemoryBound: 0
; FloatMode: 240
; IeeeMode: 1
; LDSByteSize: 0 bytes/workgroup (compile time only)
; SGPRBlocks: 4
; VGPRBlocks: 8
; NumSGPRsForWavesPerEU: 34
; NumVGPRsForWavesPerEU: 68
; AccumOffset: 68
; Occupancy: 7
; WaveLimiterHint : 0
; COMPUTE_PGM_RSRC2:SCRATCH_EN: 1
; COMPUTE_PGM_RSRC2:USER_SGPR: 2
; COMPUTE_PGM_RSRC2:TRAP_HANDLER: 0
; COMPUTE_PGM_RSRC2:TGID_X_EN: 1
; COMPUTE_PGM_RSRC2:TGID_Y_EN: 1
; COMPUTE_PGM_RSRC2:TGID_Z_EN: 1
; COMPUTE_PGM_RSRC2:TIDIG_COMP_CNT: 1
; COMPUTE_PGM_RSRC3_GFX90A:ACCUM_OFFSET: 16
; COMPUTE_PGM_RSRC3_GFX90A:TG_SPLIT: 0
	.section	.text._ZL13mul_mat_vec_qIL9ggml_type2ELi6ELb0ELb0EEvPKvS2_PKi31ggml_cuda_mm_fusion_args_devicePfj15HIP_vector_typeIjLj3EEjjjS8_jjjS8_jjjj,"axG",@progbits,_ZL13mul_mat_vec_qIL9ggml_type2ELi6ELb0ELb0EEvPKvS2_PKi31ggml_cuda_mm_fusion_args_devicePfj15HIP_vector_typeIjLj3EEjjjS8_jjjS8_jjjj,comdat
	.globl	_ZL13mul_mat_vec_qIL9ggml_type2ELi6ELb0ELb0EEvPKvS2_PKi31ggml_cuda_mm_fusion_args_devicePfj15HIP_vector_typeIjLj3EEjjjS8_jjjS8_jjjj ; -- Begin function _ZL13mul_mat_vec_qIL9ggml_type2ELi6ELb0ELb0EEvPKvS2_PKi31ggml_cuda_mm_fusion_args_devicePfj15HIP_vector_typeIjLj3EEjjjS8_jjjS8_jjjj
	.p2align	8
	.type	_ZL13mul_mat_vec_qIL9ggml_type2ELi6ELb0ELb0EEvPKvS2_PKi31ggml_cuda_mm_fusion_args_devicePfj15HIP_vector_typeIjLj3EEjjjS8_jjjS8_jjjj,@function
_ZL13mul_mat_vec_qIL9ggml_type2ELi6ELb0ELb0EEvPKvS2_PKi31ggml_cuda_mm_fusion_args_devicePfj15HIP_vector_typeIjLj3EEjjjS8_jjjS8_jjjj: ; @_ZL13mul_mat_vec_qIL9ggml_type2ELi6ELb0ELb0EEvPKvS2_PKi31ggml_cuda_mm_fusion_args_devicePfj15HIP_vector_typeIjLj3EEjjjS8_jjjS8_jjjj
; %bb.0:
	v_bfe_u32 v13, v0, 10, 10
	v_lshlrev_b32_e32 v1, 6, v13
	v_and_b32_e32 v12, 0x3ff, v0
	s_mov_b32 s20, 0
	s_load_dword s5, s[0:1], 0x40
	s_load_dwordx4 s[8:11], s[0:1], 0x50
	s_load_dword s25, s[0:1], 0x60
	s_load_dwordx4 s[12:15], s[0:1], 0x68
	;; [unrolled: 2-line block ×3, first 2 shown]
	s_mov_b32 s21, s20
	v_add_u16_e32 v0, v1, v12
	s_waitcnt lgkmcnt(0)
	s_lshr_b32 s5, s5, 5
	s_mov_b32 s22, s20
	s_mov_b32 s23, s20
	v_mov_b64_e32 v[2:3], s[20:21]
	v_lshrrev_b16_e32 v22, 1, v0
	s_lshl_b32 s2, s2, 1
	v_mov_b64_e32 v[4:5], s[22:23]
	v_cmp_gt_u32_e32 vcc, s5, v22
	scratch_store_dwordx4 off, v[2:5], off offset:32
	scratch_store_dwordx4 off, v[2:5], off offset:16
	scratch_store_dwordx4 off, v[2:5], off
	s_and_saveexec_b64 s[6:7], vcc
	s_cbranch_execz .LBB21_4
; %bb.1:
	s_load_dwordx4 s[20:23], s[0:1], 0x0
	s_mul_i32 s17, s4, s17
	s_mul_hi_u32 s19, s17, 36
	s_mul_i32 s17, s17, 36
	s_mul_i32 s13, s3, s13
	s_waitcnt lgkmcnt(0)
	s_add_u32 s17, s22, s17
	s_addc_u32 s19, s23, s19
	s_mul_hi_u32 s23, s13, 36
	s_mul_i32 s13, s13, 36
	s_add_u32 s22, s17, s13
	s_mul_hi_u32 s11, s11, s3
	s_addc_u32 s23, s19, s23
	s_add_i32 s11, s3, s11
	v_and_b32_e32 v3, 1, v12
	s_lshr_b32 s11, s11, s25
	v_lshlrev_b32_e32 v14, 3, v3
	v_and_b32_e32 v3, v1, v12
	v_xor_b32_e32 v1, v1, v12
	s_mul_i32 s17, s11, s12
	s_mul_hi_u32 s11, s15, s4
	v_lshrrev_b16_e32 v1, 1, v1
	s_add_i32 s11, s4, s11
	v_add_u16_e32 v1, v3, v1
	s_lshr_b32 s11, s11, s24
	v_lshlrev_b32_e32 v0, 1, v12
	v_mad_u64_u32 v[16:17], s[12:13], v1, 36, s[22:23]
	s_mul_i32 s16, s11, s16
	v_and_b32_e32 v0, 2, v0
	s_add_i32 s13, s2, 1
	v_lshlrev_b32_e32 v2, 1, v0
	v_mov_b32_e32 v15, 0
	s_mul_i32 s25, s2, s8
	s_add_i32 s12, s16, s17
	s_mul_i32 s8, s8, s13
	s_lshl_b32 s11, s9, 1
	s_mul_i32 s15, s9, 3
	s_lshl_b32 s19, s9, 2
	s_mul_i32 s24, s9, 5
	s_add_i32 s8, s12, s8
	s_add_i32 s25, s12, s25
	s_mov_b64 s[12:13], 0
	v_lshlrev_b32_e32 v18, 1, v2
	v_lshlrev_b32_e32 v20, 2, v0
	s_mov_b64 s[16:17], 0x480
	v_mov_b32_e32 v19, v15
	v_mov_b32_e32 v21, v15
	;; [unrolled: 1-line block ×14, first 2 shown]
.LBB21_2:                               ; =>This Inner Loop Header: Depth=1
	v_add_u32_e32 v23, s25, v22
	v_lshl_add_u64 v[24:25], v[16:17], 0, v[14:15]
	v_add_u32_e32 v30, s8, v22
	v_add_u32_e32 v32, s9, v22
	global_load_dwordx2 v[26:27], v[24:25], off offset:4
	global_load_dwordx2 v[28:29], v[24:25], off offset:20
	v_mad_i64_i32 v[24:25], s[26:27], v23, 18, s[20:21]
	v_mad_i64_i32 v[30:31], s[26:27], v30, 18, s[20:21]
	v_add_u32_e32 v34, s11, v22
	v_mad_u64_u32 v[32:33], s[26:27], v32, 36, s[22:23]
	v_lshl_add_u64 v[40:41], v[24:25], 0, v[18:19]
	v_lshl_add_u64 v[42:43], v[30:31], 0, v[18:19]
	v_mad_u64_u32 v[34:35], s[26:27], v34, 36, s[22:23]
	v_lshl_add_u64 v[44:45], v[32:33], 0, v[20:21]
	global_load_dword v23, v[40:41], off offset:2
	global_load_dword v61, v[40:41], off offset:6
	;; [unrolled: 1-line block ×4, first 2 shown]
                                        ; kill: killed $vgpr42_vgpr43
                                        ; kill: killed $vgpr40_vgpr41
	s_nop 0
	global_load_ushort v42, v[30:31], off
	global_load_ushort v43, v[24:25], off
	global_load_dwordx2 v[40:41], v[44:45], off offset:20
                                        ; kill: killed $vgpr30_vgpr31
                                        ; kill: killed $vgpr24_vgpr25
	global_load_dword v64, v[34:35], off
	global_load_dword v65, v[32:33], off
	v_add_u32_e32 v38, s19, v22
	v_mad_u64_u32 v[38:39], s[26:27], v38, 36, s[22:23]
	v_add_u32_e32 v36, s15, v22
	v_lshl_add_u64 v[48:49], v[38:39], 0, v[20:21]
	v_mad_u64_u32 v[36:37], s[26:27], v36, 36, s[22:23]
	v_mov_b32_e32 v52, 0
	v_mov_b32_e32 v53, 0
	v_lshl_add_u64 v[46:47], v[34:35], 0, v[20:21]
	v_mov_b32_e32 v50, 0
	v_mov_b32_e32 v51, 0
	;; [unrolled: 1-line block ×8, first 2 shown]
	v_add_u32_e32 v60, s24, v22
	v_add_u32_e32 v22, 32, v22
	v_cmp_le_u32_e32 vcc, s5, v22
	s_or_b64 s[12:13], vcc, s[12:13]
	s_waitcnt vmcnt(8)
	v_and_b32_e32 v66, 0xf0f0f0f, v23
	v_lshrrev_b32_e32 v23, 4, v23
	s_waitcnt vmcnt(6)
	v_lshrrev_b32_e32 v24, 4, v62
	v_and_b32_e32 v69, 0xf0f0f0f, v24
	global_load_dwordx2 v[24:25], v[48:49], off offset:20
	global_load_dword v70, v[38:39], off
	global_load_dword v71, v[36:37], off
	global_load_dwordx2 v[30:31], v[44:45], off offset:4
	v_and_b32_e32 v68, 0xf0f0f0f, v62
	v_and_b32_e32 v23, 0xf0f0f0f, v23
	;; [unrolled: 1-line block ×3, first 2 shown]
	s_waitcnt vmcnt(9)
	v_and_b32_e32 v62, 0xf0f0f0f, v63
	v_dot4c_i32_i8_e32 v50, v66, v26
	v_dot4c_i32_i8_e32 v51, v68, v26
	;; [unrolled: 1-line block ×6, first 2 shown]
	v_lshl_add_u64 v[26:27], v[36:37], 0, v[20:21]
	v_mov_b32_e32 v39, 0
	s_waitcnt vmcnt(4)
	v_cvt_f32_f16_e32 v28, v65
	s_waitcnt vmcnt(0)
	v_dot4c_i32_i8_e32 v52, v66, v30
	v_dot4c_i32_i8_e32 v53, v68, v30
	;; [unrolled: 1-line block ×6, first 2 shown]
	global_load_dwordx2 v[30:31], v[46:47], off offset:4
	global_load_dwordx2 v[32:33], v[46:47], off offset:20
	s_waitcnt vmcnt(1)
	v_dot4c_i32_i8_e32 v54, v66, v30
	v_dot4c_i32_i8_e32 v55, v68, v30
	s_waitcnt vmcnt(0)
	v_dot4c_i32_i8_e32 v54, v23, v32
	v_dot4c_i32_i8_e32 v55, v69, v32
	;; [unrolled: 1-line block ×4, first 2 shown]
	global_load_dwordx2 v[30:31], v[26:27], off offset:4
	global_load_dwordx2 v[34:35], v[26:27], off offset:20
	v_mad_u64_u32 v[26:27], s[26:27], v60, 36, s[22:23]
	v_lshrrev_b32_e32 v32, 4, v63
	v_and_b32_e32 v45, 0xf0f0f0f, v32
	v_dot4c_i32_i8_e32 v51, v45, v29
	v_dot4c_i32_i8_e32 v53, v45, v41
	;; [unrolled: 1-line block ×3, first 2 shown]
	v_cvt_f32_f16_e32 v32, v71
	v_cvt_f32_i32_e32 v51, v51
	v_cvt_f32_i32_e32 v53, v53
	;; [unrolled: 1-line block ×3, first 2 shown]
	s_waitcnt vmcnt(1)
	v_dot4c_i32_i8_e32 v56, v66, v30
	v_dot4c_i32_i8_e32 v57, v68, v30
	s_waitcnt vmcnt(0)
	v_dot4c_i32_i8_e32 v56, v23, v34
	v_dot4c_i32_i8_e32 v57, v69, v34
	;; [unrolled: 1-line block ×4, first 2 shown]
	global_load_dwordx2 v[30:31], v[48:49], off offset:4
	v_dot4c_i32_i8_e32 v57, v45, v35
	v_cvt_f32_f16_e32 v34, v70
	s_waitcnt vmcnt(0)
	v_dot4c_i32_i8_e32 v58, v66, v30
	v_dot4c_i32_i8_e32 v59, v68, v30
	;; [unrolled: 1-line block ×6, first 2 shown]
	v_lshl_add_u64 v[30:31], v[26:27], 0, v[20:21]
	global_load_dwordx2 v[36:37], v[30:31], off offset:20
	global_load_dword v38, v[26:27], off
	v_cvt_f32_f16_e32 v26, v43
	global_load_dwordx2 v[30:31], v[30:31], off offset:4
	v_mov_b32_e32 v43, 0
	v_dot4c_i32_i8_e32 v59, v45, v25
	v_cvt_f32_i32_e32 v57, v57
	v_cvt_f32_f16_e32 v27, v42
	s_waitcnt vmcnt(0)
	v_dot4c_i32_i8_e32 v39, v66, v30
	v_dot4c_i32_i8_e32 v39, v23, v36
	global_load_dword v23, v[16:17], off
	v_dot4c_i32_i8_e32 v43, v68, v30
	v_dot4c_i32_i8_e32 v43, v69, v36
	v_lshrrev_b32_e32 v30, 4, v61
	v_dot4c_i32_i8_e32 v39, v67, v31
	v_dot4c_i32_i8_e32 v43, v62, v31
	v_and_b32_e32 v44, 0xf0f0f0f, v30
	v_cvt_f32_f16_sdwa v31, v65 dst_sel:DWORD dst_unused:UNUSED_PAD src0_sel:WORD_1
	v_dot4c_i32_i8_e32 v50, v44, v29
	v_cvt_f32_f16_sdwa v29, v64 dst_sel:DWORD dst_unused:UNUSED_PAD src0_sel:WORD_1
	v_dot4c_i32_i8_e32 v52, v44, v41
	;; [unrolled: 2-line block ×5, first 2 shown]
	v_dot4c_i32_i8_e32 v39, v44, v37
	v_dot4c_i32_i8_e32 v43, v45, v37
	v_cvt_f32_f16_e32 v30, v64
	v_cvt_f32_f16_e32 v36, v38
	v_cvt_f32_i32_e32 v50, v50
	v_cvt_f32_i32_e32 v52, v52
	;; [unrolled: 1-line block ×8, first 2 shown]
	v_mul_f32_e32 v40, 4.0, v31
	v_mul_f32_e32 v42, 4.0, v29
	;; [unrolled: 1-line block ×5, first 2 shown]
	v_pk_fma_f32 v[28:29], v[28:29], v[52:53], v[40:41] op_sel_hi:[0,1,0] neg_lo:[0,0,1] neg_hi:[0,0,1]
	v_pk_fma_f32 v[30:31], v[30:31], v[54:55], v[42:43] op_sel_hi:[0,1,0] neg_lo:[0,0,1] neg_hi:[0,0,1]
	;; [unrolled: 1-line block ×5, first 2 shown]
	v_lshl_add_u64 v[16:17], v[16:17], 0, s[16:17]
	v_pk_fma_f32 v[10:11], v[28:29], v[26:27], v[10:11]
	v_pk_fma_f32 v[4:5], v[30:31], v[26:27], v[4:5]
	;; [unrolled: 1-line block ×5, first 2 shown]
	s_waitcnt vmcnt(0)
	v_cvt_f32_f16_e32 v24, v23
	v_cvt_f32_f16_sdwa v23, v23 dst_sel:DWORD dst_unused:UNUSED_PAD src0_sel:WORD_1
	v_mul_f32_e32 v38, 4.0, v23
	v_pk_fma_f32 v[24:25], v[24:25], v[50:51], v[38:39] op_sel_hi:[0,1,0] neg_lo:[0,0,1] neg_hi:[0,0,1]
	v_pk_fma_f32 v[8:9], v[24:25], v[26:27], v[8:9]
	s_andn2_b64 exec, exec, s[12:13]
	s_cbranch_execnz .LBB21_2
; %bb.3:
	s_or_b64 exec, exec, s[12:13]
	scratch_store_dwordx4 off, v[8:11], off
	scratch_store_dwordx4 off, v[4:7], off offset:16
	scratch_store_dwordx4 off, v[0:3], off offset:32
.LBB21_4:
	s_or_b64 exec, exec, s[6:7]
	s_mov_b32 s5, 0
	v_cmp_eq_u32_e32 vcc, 0, v13
	s_waitcnt lgkmcnt(0)
	; wave barrier
	s_and_saveexec_b64 s[6:7], vcc
	s_cbranch_execz .LBB21_17
; %bb.5:
	scratch_load_dwordx2 v[2:3], off, off
	v_mbcnt_lo_u32_b32 v0, -1, 0
	v_mbcnt_hi_u32_b32 v13, -1, v0
	s_load_dwordx2 s[6:7], s[0:1], 0x38
	s_mul_i32 s0, s3, s14
	v_or_b32_e32 v1, s2, v12
	v_and_b32_e32 v0, 64, v13
	s_mul_i32 s4, s4, s18
	s_add_i32 s2, s0, s2
	v_cmp_gt_u32_e64 s[0:1], s10, v1
	v_xor_b32_e32 v1, 32, v13
	v_add_u32_e32 v14, 64, v0
	s_add_i32 s4, s2, s4
	v_cmp_lt_i32_e64 s[2:3], v1, v14
	v_cmp_gt_u32_e32 vcc, 2, v12
	s_nop 0
	v_cndmask_b32_e64 v0, v13, v1, s[2:3]
	v_lshlrev_b32_e32 v0, 2, v0
	v_xor_b32_e32 v1, 16, v13
	v_cmp_lt_i32_e64 s[2:3], v1, v14
	s_waitcnt vmcnt(0)
	ds_bpermute_b32 v4, v0, v2
	ds_bpermute_b32 v5, v0, v3
	v_cndmask_b32_e64 v1, v13, v1, s[2:3]
	v_lshlrev_b32_e32 v1, 2, v1
	s_waitcnt lgkmcnt(0)
	v_pk_add_f32 v[4:5], v[2:3], v[4:5]
	ds_bpermute_b32 v6, v1, v4
	ds_bpermute_b32 v7, v1, v5
	v_xor_b32_e32 v2, 8, v13
	v_cmp_lt_i32_e64 s[2:3], v2, v14
	v_xor_b32_e32 v3, 4, v13
	s_waitcnt lgkmcnt(0)
	v_pk_add_f32 v[4:5], v[4:5], v[6:7]
	v_cndmask_b32_e64 v2, v13, v2, s[2:3]
	v_lshlrev_b32_e32 v2, 2, v2
	ds_bpermute_b32 v6, v2, v4
	ds_bpermute_b32 v7, v2, v5
	v_cmp_lt_i32_e64 s[2:3], v3, v14
	s_waitcnt lgkmcnt(0)
	v_pk_add_f32 v[6:7], v[4:5], v[6:7]
	v_cndmask_b32_e64 v3, v13, v3, s[2:3]
	v_lshlrev_b32_e32 v3, 2, v3
	ds_bpermute_b32 v8, v3, v6
	ds_bpermute_b32 v9, v3, v7
	v_xor_b32_e32 v4, 2, v13
	v_cmp_lt_i32_e64 s[2:3], v4, v14
	v_xor_b32_e32 v5, 1, v13
	s_waitcnt lgkmcnt(0)
	v_pk_add_f32 v[8:9], v[6:7], v[8:9]
	v_cndmask_b32_e64 v4, v13, v4, s[2:3]
	v_lshlrev_b32_e32 v4, 2, v4
	ds_bpermute_b32 v10, v4, v8
	ds_bpermute_b32 v11, v4, v9
	v_cmp_lt_i32_e64 s[2:3], v5, v14
	s_waitcnt lgkmcnt(0)
	v_pk_add_f32 v[8:9], v[8:9], v[10:11]
	v_cndmask_b32_e64 v5, v13, v5, s[2:3]
	v_lshlrev_b32_e32 v6, 2, v5
	ds_bpermute_b32 v10, v6, v8
	ds_bpermute_b32 v11, v6, v9
	s_lshl_b64 s[2:3], s[4:5], 2
	s_add_u32 s2, s6, s2
	s_addc_u32 s3, s7, s3
	s_and_b64 s[0:1], vcc, s[0:1]
	s_waitcnt lgkmcnt(0)
	v_pk_add_f32 v[8:9], v[8:9], v[10:11]
	v_lshlrev_b32_e32 v5, 2, v12
	scratch_store_dwordx2 off, v[8:9], off
	s_and_saveexec_b64 s[4:5], s[0:1]
	s_cbranch_execz .LBB21_7
; %bb.6:
	scratch_load_dword v7, v5, off
	s_waitcnt vmcnt(0)
	global_store_dword v5, v7, s[2:3]
.LBB21_7:
	s_or_b64 exec, exec, s[4:5]
	scratch_load_dwordx2 v[8:9], off, off offset:8
	s_waitcnt vmcnt(0)
	ds_bpermute_b32 v10, v0, v8
	ds_bpermute_b32 v11, v0, v9
	s_waitcnt lgkmcnt(0)
	v_pk_add_f32 v[8:9], v[8:9], v[10:11]
	ds_bpermute_b32 v10, v1, v8
	ds_bpermute_b32 v11, v1, v9
	s_waitcnt lgkmcnt(0)
	v_pk_add_f32 v[8:9], v[8:9], v[10:11]
	;; [unrolled: 4-line block ×6, first 2 shown]
	scratch_store_dwordx2 off, v[8:9], off offset:8
	s_and_saveexec_b64 s[4:5], s[0:1]
	s_cbranch_execz .LBB21_9
; %bb.8:
	scratch_load_dword v7, v5, off offset:8
	v_add_u32_e32 v8, s10, v12
	v_mov_b32_e32 v9, 0
	v_lshl_add_u64 v[8:9], v[8:9], 2, s[2:3]
	s_waitcnt vmcnt(0)
	global_store_dword v[8:9], v7, off
.LBB21_9:
	s_or_b64 exec, exec, s[4:5]
	scratch_load_dwordx2 v[8:9], off, off offset:16
	s_waitcnt vmcnt(0)
	ds_bpermute_b32 v10, v0, v8
	ds_bpermute_b32 v11, v0, v9
	s_waitcnt lgkmcnt(0)
	v_pk_add_f32 v[8:9], v[8:9], v[10:11]
	ds_bpermute_b32 v10, v1, v8
	ds_bpermute_b32 v11, v1, v9
	s_waitcnt lgkmcnt(0)
	v_pk_add_f32 v[8:9], v[8:9], v[10:11]
	;; [unrolled: 4-line block ×6, first 2 shown]
	scratch_store_dwordx2 off, v[8:9], off offset:16
	s_and_saveexec_b64 s[4:5], s[0:1]
	s_cbranch_execz .LBB21_11
; %bb.10:
	scratch_load_dword v7, v5, off offset:16
	v_lshl_or_b32 v8, s10, 1, v12
	v_mov_b32_e32 v9, 0
	v_lshl_add_u64 v[8:9], v[8:9], 2, s[2:3]
	s_waitcnt vmcnt(0)
	global_store_dword v[8:9], v7, off
.LBB21_11:
	s_or_b64 exec, exec, s[4:5]
	scratch_load_dwordx2 v[8:9], off, off offset:24
	s_waitcnt vmcnt(0)
	ds_bpermute_b32 v10, v0, v8
	ds_bpermute_b32 v11, v0, v9
	s_waitcnt lgkmcnt(0)
	v_pk_add_f32 v[8:9], v[8:9], v[10:11]
	ds_bpermute_b32 v10, v1, v8
	ds_bpermute_b32 v11, v1, v9
	s_waitcnt lgkmcnt(0)
	v_pk_add_f32 v[8:9], v[8:9], v[10:11]
	;; [unrolled: 4-line block ×6, first 2 shown]
	scratch_store_dwordx2 off, v[8:9], off offset:24
	s_and_saveexec_b64 s[4:5], s[0:1]
	s_cbranch_execz .LBB21_13
; %bb.12:
	scratch_load_dword v7, v5, off offset:24
	v_mad_u64_u32 v[8:9], s[6:7], s10, 3, v[12:13]
	v_mov_b32_e32 v9, 0
	v_lshl_add_u64 v[8:9], v[8:9], 2, s[2:3]
	s_waitcnt vmcnt(0)
	global_store_dword v[8:9], v7, off
.LBB21_13:
	s_or_b64 exec, exec, s[4:5]
	scratch_load_dwordx2 v[8:9], off, off offset:32
	s_waitcnt vmcnt(0)
	ds_bpermute_b32 v10, v0, v8
	ds_bpermute_b32 v11, v0, v9
	s_waitcnt lgkmcnt(0)
	v_pk_add_f32 v[8:9], v[8:9], v[10:11]
	ds_bpermute_b32 v10, v1, v8
	ds_bpermute_b32 v11, v1, v9
	s_waitcnt lgkmcnt(0)
	v_pk_add_f32 v[8:9], v[8:9], v[10:11]
	;; [unrolled: 4-line block ×6, first 2 shown]
	scratch_store_dwordx2 off, v[8:9], off offset:32
	s_and_saveexec_b64 s[4:5], s[0:1]
	s_cbranch_execz .LBB21_15
; %bb.14:
	scratch_load_dword v7, v5, off offset:32
	v_lshl_or_b32 v8, s10, 2, v12
	v_mov_b32_e32 v9, 0
	v_lshl_add_u64 v[8:9], v[8:9], 2, s[2:3]
	s_waitcnt vmcnt(0)
	global_store_dword v[8:9], v7, off
.LBB21_15:
	s_or_b64 exec, exec, s[4:5]
	scratch_load_dwordx2 v[8:9], off, off offset:40
	s_waitcnt vmcnt(0)
	ds_bpermute_b32 v10, v0, v8
	ds_bpermute_b32 v11, v0, v9
	s_waitcnt lgkmcnt(0)
	v_pk_add_f32 v[8:9], v[8:9], v[10:11]
	ds_bpermute_b32 v0, v1, v8
	ds_bpermute_b32 v1, v1, v9
	s_waitcnt lgkmcnt(0)
	v_pk_add_f32 v[0:1], v[8:9], v[0:1]
	;; [unrolled: 4-line block ×6, first 2 shown]
	scratch_store_dwordx2 off, v[0:1], off offset:40
	s_and_b64 exec, exec, s[0:1]
	s_cbranch_execz .LBB21_17
; %bb.16:
	scratch_load_dword v2, v5, off offset:40
	v_mad_u64_u32 v[0:1], s[0:1], s10, 5, v[12:13]
	v_mov_b32_e32 v1, 0
	v_lshl_add_u64 v[0:1], v[0:1], 2, s[2:3]
	s_waitcnt vmcnt(0)
	global_store_dword v[0:1], v2, off
.LBB21_17:
	s_endpgm
	.section	.rodata,"a",@progbits
	.p2align	6, 0x0
	.amdhsa_kernel _ZL13mul_mat_vec_qIL9ggml_type2ELi6ELb0ELb0EEvPKvS2_PKi31ggml_cuda_mm_fusion_args_devicePfj15HIP_vector_typeIjLj3EEjjjS8_jjjS8_jjjj
		.amdhsa_group_segment_fixed_size 0
		.amdhsa_private_segment_fixed_size 64
		.amdhsa_kernarg_size 144
		.amdhsa_user_sgpr_count 2
		.amdhsa_user_sgpr_dispatch_ptr 0
		.amdhsa_user_sgpr_queue_ptr 0
		.amdhsa_user_sgpr_kernarg_segment_ptr 1
		.amdhsa_user_sgpr_dispatch_id 0
		.amdhsa_user_sgpr_kernarg_preload_length 0
		.amdhsa_user_sgpr_kernarg_preload_offset 0
		.amdhsa_user_sgpr_private_segment_size 0
		.amdhsa_uses_dynamic_stack 0
		.amdhsa_enable_private_segment 1
		.amdhsa_system_sgpr_workgroup_id_x 1
		.amdhsa_system_sgpr_workgroup_id_y 1
		.amdhsa_system_sgpr_workgroup_id_z 1
		.amdhsa_system_sgpr_workgroup_info 0
		.amdhsa_system_vgpr_workitem_id 1
		.amdhsa_next_free_vgpr 72
		.amdhsa_next_free_sgpr 28
		.amdhsa_accum_offset 72
		.amdhsa_reserve_vcc 1
		.amdhsa_float_round_mode_32 0
		.amdhsa_float_round_mode_16_64 0
		.amdhsa_float_denorm_mode_32 3
		.amdhsa_float_denorm_mode_16_64 3
		.amdhsa_dx10_clamp 1
		.amdhsa_ieee_mode 1
		.amdhsa_fp16_overflow 0
		.amdhsa_tg_split 0
		.amdhsa_exception_fp_ieee_invalid_op 0
		.amdhsa_exception_fp_denorm_src 0
		.amdhsa_exception_fp_ieee_div_zero 0
		.amdhsa_exception_fp_ieee_overflow 0
		.amdhsa_exception_fp_ieee_underflow 0
		.amdhsa_exception_fp_ieee_inexact 0
		.amdhsa_exception_int_div_zero 0
	.end_amdhsa_kernel
	.section	.text._ZL13mul_mat_vec_qIL9ggml_type2ELi6ELb0ELb0EEvPKvS2_PKi31ggml_cuda_mm_fusion_args_devicePfj15HIP_vector_typeIjLj3EEjjjS8_jjjS8_jjjj,"axG",@progbits,_ZL13mul_mat_vec_qIL9ggml_type2ELi6ELb0ELb0EEvPKvS2_PKi31ggml_cuda_mm_fusion_args_devicePfj15HIP_vector_typeIjLj3EEjjjS8_jjjS8_jjjj,comdat
.Lfunc_end21:
	.size	_ZL13mul_mat_vec_qIL9ggml_type2ELi6ELb0ELb0EEvPKvS2_PKi31ggml_cuda_mm_fusion_args_devicePfj15HIP_vector_typeIjLj3EEjjjS8_jjjS8_jjjj, .Lfunc_end21-_ZL13mul_mat_vec_qIL9ggml_type2ELi6ELb0ELb0EEvPKvS2_PKi31ggml_cuda_mm_fusion_args_devicePfj15HIP_vector_typeIjLj3EEjjjS8_jjjS8_jjjj
                                        ; -- End function
	.section	.AMDGPU.csdata,"",@progbits
; Kernel info:
; codeLenInByte = 3084
; NumSgprs: 34
; NumVgprs: 72
; NumAgprs: 0
; TotalNumVgprs: 72
; ScratchSize: 64
; MemoryBound: 0
; FloatMode: 240
; IeeeMode: 1
; LDSByteSize: 0 bytes/workgroup (compile time only)
; SGPRBlocks: 4
; VGPRBlocks: 8
; NumSGPRsForWavesPerEU: 34
; NumVGPRsForWavesPerEU: 72
; AccumOffset: 72
; Occupancy: 7
; WaveLimiterHint : 0
; COMPUTE_PGM_RSRC2:SCRATCH_EN: 1
; COMPUTE_PGM_RSRC2:USER_SGPR: 2
; COMPUTE_PGM_RSRC2:TRAP_HANDLER: 0
; COMPUTE_PGM_RSRC2:TGID_X_EN: 1
; COMPUTE_PGM_RSRC2:TGID_Y_EN: 1
; COMPUTE_PGM_RSRC2:TGID_Z_EN: 1
; COMPUTE_PGM_RSRC2:TIDIG_COMP_CNT: 1
; COMPUTE_PGM_RSRC3_GFX90A:ACCUM_OFFSET: 17
; COMPUTE_PGM_RSRC3_GFX90A:TG_SPLIT: 0
	.section	.text._ZL13mul_mat_vec_qIL9ggml_type2ELi7ELb0ELb0EEvPKvS2_PKi31ggml_cuda_mm_fusion_args_devicePfj15HIP_vector_typeIjLj3EEjjjS8_jjjS8_jjjj,"axG",@progbits,_ZL13mul_mat_vec_qIL9ggml_type2ELi7ELb0ELb0EEvPKvS2_PKi31ggml_cuda_mm_fusion_args_devicePfj15HIP_vector_typeIjLj3EEjjjS8_jjjS8_jjjj,comdat
	.globl	_ZL13mul_mat_vec_qIL9ggml_type2ELi7ELb0ELb0EEvPKvS2_PKi31ggml_cuda_mm_fusion_args_devicePfj15HIP_vector_typeIjLj3EEjjjS8_jjjS8_jjjj ; -- Begin function _ZL13mul_mat_vec_qIL9ggml_type2ELi7ELb0ELb0EEvPKvS2_PKi31ggml_cuda_mm_fusion_args_devicePfj15HIP_vector_typeIjLj3EEjjjS8_jjjS8_jjjj
	.p2align	8
	.type	_ZL13mul_mat_vec_qIL9ggml_type2ELi7ELb0ELb0EEvPKvS2_PKi31ggml_cuda_mm_fusion_args_devicePfj15HIP_vector_typeIjLj3EEjjjS8_jjjS8_jjjj,@function
_ZL13mul_mat_vec_qIL9ggml_type2ELi7ELb0ELb0EEvPKvS2_PKi31ggml_cuda_mm_fusion_args_devicePfj15HIP_vector_typeIjLj3EEjjjS8_jjjS8_jjjj: ; @_ZL13mul_mat_vec_qIL9ggml_type2ELi7ELb0ELb0EEvPKvS2_PKi31ggml_cuda_mm_fusion_args_devicePfj15HIP_vector_typeIjLj3EEjjjS8_jjjS8_jjjj
; %bb.0:
	v_bfe_u32 v13, v0, 10, 10
	v_lshlrev_b32_e32 v1, 6, v13
	v_and_b32_e32 v12, 0x3ff, v0
	s_mov_b32 s20, 0
	s_load_dword s5, s[0:1], 0x40
	s_load_dwordx4 s[8:11], s[0:1], 0x50
	s_load_dword s25, s[0:1], 0x60
	s_load_dwordx4 s[12:15], s[0:1], 0x68
	;; [unrolled: 2-line block ×3, first 2 shown]
	s_mov_b32 s21, s20
	v_add_u16_e32 v0, v1, v12
	s_waitcnt lgkmcnt(0)
	s_lshr_b32 s5, s5, 5
	v_mov_b32_e32 v15, 0
	s_mov_b32 s22, s20
	s_mov_b32 s23, s20
	v_mov_b64_e32 v[2:3], s[20:21]
	v_lshrrev_b16_e32 v24, 1, v0
	s_lshl_b32 s2, s2, 1
	v_mov_b32_e32 v14, v15
	v_mov_b64_e32 v[4:5], s[22:23]
	v_cmp_gt_u32_e32 vcc, s5, v24
	scratch_store_dwordx2 off, v[14:15], off offset:48
	scratch_store_dwordx4 off, v[2:5], off offset:32
	scratch_store_dwordx4 off, v[2:5], off offset:16
	scratch_store_dwordx4 off, v[2:5], off
	s_and_saveexec_b64 s[6:7], vcc
	s_cbranch_execz .LBB22_4
; %bb.1:
	s_load_dwordx4 s[20:23], s[0:1], 0x0
	s_mul_i32 s17, s4, s17
	s_mul_hi_u32 s19, s17, 36
	s_mul_i32 s17, s17, 36
	s_mul_i32 s13, s3, s13
	s_waitcnt lgkmcnt(0)
	s_add_u32 s17, s22, s17
	s_addc_u32 s19, s23, s19
	s_mul_hi_u32 s23, s13, 36
	s_mul_i32 s13, s13, 36
	s_add_u32 s22, s17, s13
	s_mul_hi_u32 s11, s11, s3
	s_addc_u32 s23, s19, s23
	s_add_i32 s11, s3, s11
	v_and_b32_e32 v3, 1, v12
	s_lshr_b32 s11, s11, s25
	v_lshlrev_b32_e32 v14, 3, v3
	v_and_b32_e32 v3, v1, v12
	v_xor_b32_e32 v1, v1, v12
	s_mul_i32 s17, s11, s12
	s_mul_hi_u32 s11, s15, s4
	v_lshrrev_b16_e32 v1, 1, v1
	s_add_i32 s11, s4, s11
	v_add_u16_e32 v1, v3, v1
	s_lshr_b32 s11, s11, s24
	v_lshlrev_b32_e32 v0, 1, v12
	v_mad_u64_u32 v[16:17], s[12:13], v1, 36, s[22:23]
	s_mul_i32 s16, s11, s16
	v_and_b32_e32 v0, 2, v0
	s_add_i32 s13, s2, 1
	v_lshlrev_b32_e32 v2, 1, v0
	s_mul_i32 s26, s2, s8
	s_add_i32 s12, s16, s17
	s_mul_i32 s8, s8, s13
	s_lshl_b32 s11, s9, 1
	s_mul_i32 s15, s9, 3
	s_lshl_b32 s19, s9, 2
	s_mul_i32 s24, s9, 5
	s_mul_i32 s25, s9, 6
	s_add_i32 s8, s12, s8
	s_add_i32 s26, s12, s26
	s_mov_b64 s[12:13], 0
	v_lshlrev_b32_e32 v20, 1, v2
	v_lshlrev_b32_e32 v22, 2, v0
	s_mov_b64 s[16:17], 0x480
	v_mov_b32_e32 v21, v15
	v_mov_b32_e32 v23, v15
	;; [unrolled: 1-line block ×16, first 2 shown]
.LBB22_2:                               ; =>This Inner Loop Header: Depth=1
	v_lshl_add_u64 v[26:27], v[16:17], 0, v[14:15]
	global_load_dword v48, v[16:17], off
	global_load_dwordx2 v[28:29], v[26:27], off offset:4
	global_load_dwordx2 v[30:31], v[26:27], off offset:20
	v_add_u32_e32 v25, s26, v24
	v_add_u32_e32 v32, s8, v24
	v_mad_i64_i32 v[26:27], s[28:29], v25, 18, s[20:21]
	v_mad_i64_i32 v[32:33], s[28:29], v32, 18, s[20:21]
	v_lshl_add_u64 v[42:43], v[26:27], 0, v[20:21]
	v_lshl_add_u64 v[44:45], v[32:33], 0, v[20:21]
	global_load_dword v25, v[42:43], off offset:2
	global_load_dword v60, v[42:43], off offset:6
	;; [unrolled: 1-line block ×4, first 2 shown]
	global_load_ushort v63, v[32:33], off
                                        ; kill: killed $vgpr44_vgpr45
                                        ; kill: killed $vgpr42_vgpr43
                                        ; kill: killed $vgpr32_vgpr33
	s_nop 0
	global_load_ushort v44, v[26:27], off
	v_mov_b32_e32 v49, 0
	v_mov_b32_e32 v50, 0
	v_add_u32_e32 v34, s9, v24
	v_add_u32_e32 v36, s11, v24
	v_add_u32_e32 v38, s15, v24
	v_add_u32_e32 v40, s19, v24
	v_mad_u64_u32 v[34:35], s[28:29], v34, 36, s[22:23]
	v_mad_u64_u32 v[36:37], s[28:29], v36, 36, s[22:23]
	;; [unrolled: 1-line block ×4, first 2 shown]
	v_lshl_add_u64 v[46:47], v[34:35], 0, v[22:23]
	v_mov_b32_e32 v51, 0
	v_mov_b32_e32 v52, 0
	;; [unrolled: 1-line block ×8, first 2 shown]
	v_add_u32_e32 v59, s24, v24
	v_mov_b32_e32 v68, 0
	v_lshl_add_u64 v[16:17], v[16:17], 0, s[16:17]
	s_waitcnt vmcnt(5)
	v_and_b32_e32 v45, 0xf0f0f0f, v25
	v_lshrrev_b32_e32 v25, 4, v25
	s_waitcnt vmcnt(3)
	v_and_b32_e32 v65, 0xf0f0f0f, v61
	v_lshrrev_b32_e32 v26, 4, v61
	v_and_b32_e32 v25, 0xf0f0f0f, v25
	v_dot4c_i32_i8_e32 v49, v45, v28
	v_and_b32_e32 v66, 0xf0f0f0f, v26
	v_dot4c_i32_i8_e32 v50, v65, v28
	v_and_b32_e32 v64, 0xf0f0f0f, v60
	s_waitcnt vmcnt(2)
	v_and_b32_e32 v61, 0xf0f0f0f, v62
	v_dot4c_i32_i8_e32 v49, v25, v30
	v_dot4c_i32_i8_e32 v50, v66, v30
	;; [unrolled: 1-line block ×4, first 2 shown]
	v_lshrrev_b32_e32 v28, 4, v60
	v_lshrrev_b32_e32 v29, 4, v62
	v_and_b32_e32 v60, 0xf0f0f0f, v28
	v_and_b32_e32 v62, 0xf0f0f0f, v29
	v_dot4c_i32_i8_e32 v49, v60, v31
	v_dot4c_i32_i8_e32 v50, v62, v31
	v_cvt_f32_f16_sdwa v29, v48 dst_sel:DWORD dst_unused:UNUSED_PAD src0_sel:WORD_1
	v_cvt_f32_f16_e32 v28, v48
	v_cvt_f32_i32_e32 v30, v49
	v_cvt_f32_i32_e32 v31, v50
	v_mul_f32_e32 v32, 4.0, v29
	v_lshl_add_u64 v[26:27], v[36:37], 0, v[22:23]
	v_pk_fma_f32 v[28:29], v[28:29], v[30:31], v[32:33] op_sel_hi:[0,1,0] neg_lo:[0,0,1] neg_hi:[0,0,1]
	v_lshl_add_u64 v[30:31], v[40:41], 0, v[22:23]
	global_load_dwordx2 v[32:33], v[46:47], off offset:20
	global_load_dword v48, v[36:37], off
	global_load_dword v49, v[34:35], off
                                        ; kill: killed $vgpr36_vgpr37
                                        ; kill: killed $vgpr34_vgpr35
	s_nop 0
	global_load_dwordx2 v[34:35], v[30:31], off offset:20
	global_load_dword v50, v[40:41], off
	global_load_dword v67, v[38:39], off
	v_lshl_add_u64 v[36:37], v[38:39], 0, v[22:23]
	global_load_dwordx2 v[38:39], v[46:47], off offset:4
	v_mov_b32_e32 v47, 0
	s_waitcnt vmcnt(0)
	v_dot4c_i32_i8_e32 v51, v45, v38
	v_dot4c_i32_i8_e32 v52, v65, v38
	;; [unrolled: 1-line block ×6, first 2 shown]
	global_load_dwordx2 v[38:39], v[26:27], off offset:4
	global_load_dwordx2 v[40:41], v[26:27], off offset:20
	v_add_u32_e32 v32, s25, v24
	v_dot4c_i32_i8_e32 v51, v60, v33
	v_dot4c_i32_i8_e32 v52, v62, v33
	v_add_u32_e32 v24, 32, v24
	v_cmp_le_u32_e32 vcc, s5, v24
	s_or_b64 s[12:13], vcc, s[12:13]
	v_cvt_f32_i32_e32 v33, v52
	s_waitcnt vmcnt(1)
	v_dot4c_i32_i8_e32 v54, v45, v38
	v_dot4c_i32_i8_e32 v53, v65, v38
	s_waitcnt vmcnt(0)
	v_dot4c_i32_i8_e32 v54, v25, v40
	v_dot4c_i32_i8_e32 v53, v66, v40
	;; [unrolled: 1-line block ×4, first 2 shown]
	global_load_dwordx2 v[26:27], v[36:37], off offset:4
	global_load_dwordx2 v[38:39], v[36:37], off offset:20
	v_dot4c_i32_i8_e32 v54, v60, v41
	global_load_dwordx2 v[30:31], v[30:31], off offset:4
	v_dot4c_i32_i8_e32 v53, v62, v41
	v_cvt_f32_f16_sdwa v41, v50 dst_sel:DWORD dst_unused:UNUSED_PAD src0_sel:WORD_1
	v_cvt_f32_i32_e32 v52, v54
	s_waitcnt vmcnt(2)
	v_dot4c_i32_i8_e32 v56, v45, v26
	v_dot4c_i32_i8_e32 v55, v65, v26
	s_waitcnt vmcnt(1)
	v_dot4c_i32_i8_e32 v56, v25, v38
	v_dot4c_i32_i8_e32 v55, v66, v38
	;; [unrolled: 3-line block ×3, first 2 shown]
	v_dot4c_i32_i8_e32 v56, v64, v27
	v_dot4c_i32_i8_e32 v55, v61, v27
	v_mad_u64_u32 v[26:27], s[28:29], v59, 36, s[22:23]
	v_dot4c_i32_i8_e32 v58, v25, v34
	v_dot4c_i32_i8_e32 v57, v66, v34
	;; [unrolled: 1-line block ×4, first 2 shown]
	v_mad_u64_u32 v[30:31], s[28:29], v32, 36, s[22:23]
	v_lshl_add_u64 v[36:37], v[26:27], 0, v[22:23]
	global_load_dword v46, v[30:31], off
	global_load_dwordx2 v[42:43], v[36:37], off offset:20
	global_load_dword v40, v[26:27], off
                                        ; kill: killed $vgpr26_vgpr27
	s_nop 0
	global_load_dwordx2 v[26:27], v[36:37], off offset:4
	v_mov_b32_e32 v59, 0
	v_cvt_f32_i32_e32 v32, v51
	v_dot4c_i32_i8_e32 v56, v60, v39
	v_dot4c_i32_i8_e32 v55, v62, v39
	;; [unrolled: 1-line block ×4, first 2 shown]
	v_cvt_f32_i32_e32 v53, v53
	v_cvt_f32_i32_e32 v55, v55
	;; [unrolled: 1-line block ×5, first 2 shown]
	s_waitcnt vmcnt(1)
	v_cvt_f32_f16_sdwa v39, v40 dst_sel:DWORD dst_unused:UNUSED_PAD src0_sel:WORD_1
	v_cvt_f32_f16_e32 v38, v40
	s_waitcnt vmcnt(0)
	v_dot4c_i32_i8_e32 v47, v45, v26
	v_dot4c_i32_i8_e32 v59, v65, v26
	;; [unrolled: 1-line block ×6, first 2 shown]
	v_lshl_add_u64 v[26:27], v[30:31], 0, v[22:23]
	global_load_dwordx2 v[30:31], v[26:27], off offset:4
	global_load_dwordx2 v[36:37], v[26:27], off offset:20
	v_dot4c_i32_i8_e32 v47, v60, v43
	v_dot4c_i32_i8_e32 v59, v62, v43
	v_cvt_f32_f16_e32 v40, v46
	v_cvt_f32_f16_e32 v27, v63
	v_cvt_f32_i32_e32 v58, v47
	v_cvt_f32_i32_e32 v59, v59
	v_cvt_f32_f16_e32 v26, v44
	v_pk_fma_f32 v[8:9], v[28:29], v[26:27], v[8:9]
	s_waitcnt vmcnt(1)
	v_dot4c_i32_i8_e32 v68, v45, v30
	v_mov_b32_e32 v45, 0
	s_waitcnt vmcnt(0)
	v_dot4c_i32_i8_e32 v68, v25, v36
	v_cvt_f32_f16_sdwa v25, v49 dst_sel:DWORD dst_unused:UNUSED_PAD src0_sel:WORD_1
	v_dot4c_i32_i8_e32 v45, v65, v30
	v_cvt_f32_f16_e32 v30, v49
	v_dot4c_i32_i8_e32 v45, v66, v36
	v_dot4c_i32_i8_e32 v68, v64, v31
	;; [unrolled: 1-line block ×3, first 2 shown]
	v_mul_f32_e32 v34, 4.0, v25
	v_pk_fma_f32 v[30:31], v[30:31], v[32:33], v[34:35] op_sel_hi:[0,1,0] neg_lo:[0,0,1] neg_hi:[0,0,1]
	v_cvt_f32_f16_sdwa v25, v48 dst_sel:DWORD dst_unused:UNUSED_PAD src0_sel:WORD_1
	v_cvt_f32_f16_sdwa v33, v67 dst_sel:DWORD dst_unused:UNUSED_PAD src0_sel:WORD_1
	;; [unrolled: 1-line block ×3, first 2 shown]
	v_dot4c_i32_i8_e32 v68, v60, v37
	v_dot4c_i32_i8_e32 v45, v62, v37
	v_cvt_f32_f16_e32 v32, v48
	v_cvt_f32_f16_e32 v34, v67
	;; [unrolled: 1-line block ×3, first 2 shown]
	v_cvt_f32_i32_e32 v61, v45
	v_cvt_f32_i32_e32 v60, v68
	v_mul_f32_e32 v42, 4.0, v25
	v_mul_f32_e32 v44, 4.0, v33
	;; [unrolled: 1-line block ×5, first 2 shown]
	v_pk_fma_f32 v[32:33], v[32:33], v[52:53], v[42:43] op_sel_hi:[0,1,0] neg_lo:[0,0,1] neg_hi:[0,0,1]
	v_pk_fma_f32 v[34:35], v[34:35], v[54:55], v[44:45] op_sel_hi:[0,1,0] neg_lo:[0,0,1] neg_hi:[0,0,1]
	;; [unrolled: 1-line block ×5, first 2 shown]
	v_pk_fma_f32 v[10:11], v[30:31], v[26:27], v[10:11]
	v_pk_fma_f32 v[4:5], v[32:33], v[26:27], v[4:5]
	;; [unrolled: 1-line block ×6, first 2 shown]
	s_andn2_b64 exec, exec, s[12:13]
	s_cbranch_execnz .LBB22_2
; %bb.3:
	s_or_b64 exec, exec, s[12:13]
	scratch_store_dwordx4 off, v[8:11], off
	scratch_store_dwordx4 off, v[4:7], off offset:16
	scratch_store_dwordx4 off, v[0:3], off offset:32
	scratch_store_dwordx2 off, v[18:19], off offset:48
.LBB22_4:
	s_or_b64 exec, exec, s[6:7]
	s_mov_b32 s5, 0
	v_cmp_eq_u32_e32 vcc, 0, v13
	s_waitcnt lgkmcnt(0)
	; wave barrier
	s_and_saveexec_b64 s[6:7], vcc
	s_cbranch_execz .LBB22_19
; %bb.5:
	scratch_load_dwordx2 v[2:3], off, off
	v_mbcnt_lo_u32_b32 v0, -1, 0
	v_mbcnt_hi_u32_b32 v13, -1, v0
	s_load_dwordx2 s[6:7], s[0:1], 0x38
	s_mul_i32 s0, s3, s14
	v_or_b32_e32 v1, s2, v12
	v_and_b32_e32 v0, 64, v13
	s_mul_i32 s4, s4, s18
	s_add_i32 s2, s0, s2
	v_cmp_gt_u32_e64 s[0:1], s10, v1
	v_xor_b32_e32 v1, 32, v13
	v_add_u32_e32 v14, 64, v0
	s_add_i32 s4, s2, s4
	v_cmp_lt_i32_e64 s[2:3], v1, v14
	v_cmp_gt_u32_e32 vcc, 2, v12
	s_nop 0
	v_cndmask_b32_e64 v0, v13, v1, s[2:3]
	v_lshlrev_b32_e32 v0, 2, v0
	v_xor_b32_e32 v1, 16, v13
	v_cmp_lt_i32_e64 s[2:3], v1, v14
	s_waitcnt vmcnt(0)
	ds_bpermute_b32 v4, v0, v2
	ds_bpermute_b32 v5, v0, v3
	v_cndmask_b32_e64 v1, v13, v1, s[2:3]
	v_lshlrev_b32_e32 v1, 2, v1
	s_waitcnt lgkmcnt(0)
	v_pk_add_f32 v[4:5], v[2:3], v[4:5]
	ds_bpermute_b32 v6, v1, v4
	ds_bpermute_b32 v7, v1, v5
	v_xor_b32_e32 v2, 8, v13
	v_cmp_lt_i32_e64 s[2:3], v2, v14
	v_xor_b32_e32 v3, 4, v13
	s_waitcnt lgkmcnt(0)
	v_pk_add_f32 v[4:5], v[4:5], v[6:7]
	v_cndmask_b32_e64 v2, v13, v2, s[2:3]
	v_lshlrev_b32_e32 v2, 2, v2
	ds_bpermute_b32 v6, v2, v4
	ds_bpermute_b32 v7, v2, v5
	v_cmp_lt_i32_e64 s[2:3], v3, v14
	s_waitcnt lgkmcnt(0)
	v_pk_add_f32 v[6:7], v[4:5], v[6:7]
	v_cndmask_b32_e64 v3, v13, v3, s[2:3]
	v_lshlrev_b32_e32 v3, 2, v3
	ds_bpermute_b32 v8, v3, v6
	ds_bpermute_b32 v9, v3, v7
	v_xor_b32_e32 v4, 2, v13
	v_cmp_lt_i32_e64 s[2:3], v4, v14
	v_xor_b32_e32 v5, 1, v13
	s_waitcnt lgkmcnt(0)
	v_pk_add_f32 v[8:9], v[6:7], v[8:9]
	v_cndmask_b32_e64 v4, v13, v4, s[2:3]
	v_lshlrev_b32_e32 v4, 2, v4
	ds_bpermute_b32 v10, v4, v8
	ds_bpermute_b32 v11, v4, v9
	v_cmp_lt_i32_e64 s[2:3], v5, v14
	s_waitcnt lgkmcnt(0)
	v_pk_add_f32 v[8:9], v[8:9], v[10:11]
	v_cndmask_b32_e64 v5, v13, v5, s[2:3]
	v_lshlrev_b32_e32 v6, 2, v5
	ds_bpermute_b32 v10, v6, v8
	ds_bpermute_b32 v11, v6, v9
	s_lshl_b64 s[2:3], s[4:5], 2
	s_add_u32 s2, s6, s2
	s_addc_u32 s3, s7, s3
	s_and_b64 s[0:1], vcc, s[0:1]
	s_waitcnt lgkmcnt(0)
	v_pk_add_f32 v[8:9], v[8:9], v[10:11]
	v_lshlrev_b32_e32 v5, 2, v12
	scratch_store_dwordx2 off, v[8:9], off
	s_and_saveexec_b64 s[4:5], s[0:1]
	s_cbranch_execz .LBB22_7
; %bb.6:
	scratch_load_dword v7, v5, off
	s_waitcnt vmcnt(0)
	global_store_dword v5, v7, s[2:3]
.LBB22_7:
	s_or_b64 exec, exec, s[4:5]
	scratch_load_dwordx2 v[8:9], off, off offset:8
	s_waitcnt vmcnt(0)
	ds_bpermute_b32 v10, v0, v8
	ds_bpermute_b32 v11, v0, v9
	s_waitcnt lgkmcnt(0)
	v_pk_add_f32 v[8:9], v[8:9], v[10:11]
	ds_bpermute_b32 v10, v1, v8
	ds_bpermute_b32 v11, v1, v9
	s_waitcnt lgkmcnt(0)
	v_pk_add_f32 v[8:9], v[8:9], v[10:11]
	;; [unrolled: 4-line block ×6, first 2 shown]
	scratch_store_dwordx2 off, v[8:9], off offset:8
	s_and_saveexec_b64 s[4:5], s[0:1]
	s_cbranch_execz .LBB22_9
; %bb.8:
	scratch_load_dword v7, v5, off offset:8
	v_add_u32_e32 v8, s10, v12
	v_mov_b32_e32 v9, 0
	v_lshl_add_u64 v[8:9], v[8:9], 2, s[2:3]
	s_waitcnt vmcnt(0)
	global_store_dword v[8:9], v7, off
.LBB22_9:
	s_or_b64 exec, exec, s[4:5]
	scratch_load_dwordx2 v[8:9], off, off offset:16
	s_waitcnt vmcnt(0)
	ds_bpermute_b32 v10, v0, v8
	ds_bpermute_b32 v11, v0, v9
	s_waitcnt lgkmcnt(0)
	v_pk_add_f32 v[8:9], v[8:9], v[10:11]
	ds_bpermute_b32 v10, v1, v8
	ds_bpermute_b32 v11, v1, v9
	s_waitcnt lgkmcnt(0)
	v_pk_add_f32 v[8:9], v[8:9], v[10:11]
	;; [unrolled: 4-line block ×6, first 2 shown]
	scratch_store_dwordx2 off, v[8:9], off offset:16
	s_and_saveexec_b64 s[4:5], s[0:1]
	s_cbranch_execz .LBB22_11
; %bb.10:
	scratch_load_dword v7, v5, off offset:16
	v_lshl_or_b32 v8, s10, 1, v12
	v_mov_b32_e32 v9, 0
	v_lshl_add_u64 v[8:9], v[8:9], 2, s[2:3]
	s_waitcnt vmcnt(0)
	global_store_dword v[8:9], v7, off
.LBB22_11:
	s_or_b64 exec, exec, s[4:5]
	scratch_load_dwordx2 v[8:9], off, off offset:24
	s_waitcnt vmcnt(0)
	ds_bpermute_b32 v10, v0, v8
	ds_bpermute_b32 v11, v0, v9
	s_waitcnt lgkmcnt(0)
	v_pk_add_f32 v[8:9], v[8:9], v[10:11]
	ds_bpermute_b32 v10, v1, v8
	ds_bpermute_b32 v11, v1, v9
	s_waitcnt lgkmcnt(0)
	v_pk_add_f32 v[8:9], v[8:9], v[10:11]
	;; [unrolled: 4-line block ×6, first 2 shown]
	scratch_store_dwordx2 off, v[8:9], off offset:24
	s_and_saveexec_b64 s[4:5], s[0:1]
	s_cbranch_execz .LBB22_13
; %bb.12:
	scratch_load_dword v7, v5, off offset:24
	v_mad_u64_u32 v[8:9], s[6:7], s10, 3, v[12:13]
	v_mov_b32_e32 v9, 0
	v_lshl_add_u64 v[8:9], v[8:9], 2, s[2:3]
	s_waitcnt vmcnt(0)
	global_store_dword v[8:9], v7, off
.LBB22_13:
	s_or_b64 exec, exec, s[4:5]
	scratch_load_dwordx2 v[8:9], off, off offset:32
	s_waitcnt vmcnt(0)
	ds_bpermute_b32 v10, v0, v8
	ds_bpermute_b32 v11, v0, v9
	s_waitcnt lgkmcnt(0)
	v_pk_add_f32 v[8:9], v[8:9], v[10:11]
	ds_bpermute_b32 v10, v1, v8
	ds_bpermute_b32 v11, v1, v9
	s_waitcnt lgkmcnt(0)
	v_pk_add_f32 v[8:9], v[8:9], v[10:11]
	;; [unrolled: 4-line block ×6, first 2 shown]
	scratch_store_dwordx2 off, v[8:9], off offset:32
	s_and_saveexec_b64 s[4:5], s[0:1]
	s_cbranch_execz .LBB22_15
; %bb.14:
	scratch_load_dword v7, v5, off offset:32
	v_lshl_or_b32 v8, s10, 2, v12
	v_mov_b32_e32 v9, 0
	v_lshl_add_u64 v[8:9], v[8:9], 2, s[2:3]
	s_waitcnt vmcnt(0)
	global_store_dword v[8:9], v7, off
.LBB22_15:
	s_or_b64 exec, exec, s[4:5]
	scratch_load_dwordx2 v[8:9], off, off offset:40
	s_waitcnt vmcnt(0)
	ds_bpermute_b32 v10, v0, v8
	ds_bpermute_b32 v11, v0, v9
	s_waitcnt lgkmcnt(0)
	v_pk_add_f32 v[8:9], v[8:9], v[10:11]
	ds_bpermute_b32 v10, v1, v8
	ds_bpermute_b32 v11, v1, v9
	s_waitcnt lgkmcnt(0)
	v_pk_add_f32 v[8:9], v[8:9], v[10:11]
	;; [unrolled: 4-line block ×6, first 2 shown]
	scratch_store_dwordx2 off, v[8:9], off offset:40
	s_and_saveexec_b64 s[4:5], s[0:1]
	s_cbranch_execz .LBB22_17
; %bb.16:
	scratch_load_dword v7, v5, off offset:40
	v_mad_u64_u32 v[8:9], s[6:7], s10, 5, v[12:13]
	v_mov_b32_e32 v9, 0
	v_lshl_add_u64 v[8:9], v[8:9], 2, s[2:3]
	s_waitcnt vmcnt(0)
	global_store_dword v[8:9], v7, off
.LBB22_17:
	s_or_b64 exec, exec, s[4:5]
	scratch_load_dwordx2 v[8:9], off, off offset:48
	s_waitcnt vmcnt(0)
	ds_bpermute_b32 v10, v0, v8
	ds_bpermute_b32 v11, v0, v9
	s_waitcnt lgkmcnt(0)
	v_pk_add_f32 v[8:9], v[8:9], v[10:11]
	ds_bpermute_b32 v0, v1, v8
	ds_bpermute_b32 v1, v1, v9
	s_waitcnt lgkmcnt(0)
	v_pk_add_f32 v[0:1], v[8:9], v[0:1]
	;; [unrolled: 4-line block ×6, first 2 shown]
	scratch_store_dwordx2 off, v[0:1], off offset:48
	s_and_b64 exec, exec, s[0:1]
	s_cbranch_execz .LBB22_19
; %bb.18:
	scratch_load_dword v2, v5, off offset:48
	s_mul_i32 s0, s10, 6
	v_or_b32_e32 v0, s0, v12
	v_mov_b32_e32 v1, 0
	v_lshl_add_u64 v[0:1], v[0:1], 2, s[2:3]
	s_waitcnt vmcnt(0)
	global_store_dword v[0:1], v2, off
.LBB22_19:
	s_endpgm
	.section	.rodata,"a",@progbits
	.p2align	6, 0x0
	.amdhsa_kernel _ZL13mul_mat_vec_qIL9ggml_type2ELi7ELb0ELb0EEvPKvS2_PKi31ggml_cuda_mm_fusion_args_devicePfj15HIP_vector_typeIjLj3EEjjjS8_jjjS8_jjjj
		.amdhsa_group_segment_fixed_size 0
		.amdhsa_private_segment_fixed_size 64
		.amdhsa_kernarg_size 144
		.amdhsa_user_sgpr_count 2
		.amdhsa_user_sgpr_dispatch_ptr 0
		.amdhsa_user_sgpr_queue_ptr 0
		.amdhsa_user_sgpr_kernarg_segment_ptr 1
		.amdhsa_user_sgpr_dispatch_id 0
		.amdhsa_user_sgpr_kernarg_preload_length 0
		.amdhsa_user_sgpr_kernarg_preload_offset 0
		.amdhsa_user_sgpr_private_segment_size 0
		.amdhsa_uses_dynamic_stack 0
		.amdhsa_enable_private_segment 1
		.amdhsa_system_sgpr_workgroup_id_x 1
		.amdhsa_system_sgpr_workgroup_id_y 1
		.amdhsa_system_sgpr_workgroup_id_z 1
		.amdhsa_system_sgpr_workgroup_info 0
		.amdhsa_system_vgpr_workitem_id 1
		.amdhsa_next_free_vgpr 69
		.amdhsa_next_free_sgpr 30
		.amdhsa_accum_offset 72
		.amdhsa_reserve_vcc 1
		.amdhsa_float_round_mode_32 0
		.amdhsa_float_round_mode_16_64 0
		.amdhsa_float_denorm_mode_32 3
		.amdhsa_float_denorm_mode_16_64 3
		.amdhsa_dx10_clamp 1
		.amdhsa_ieee_mode 1
		.amdhsa_fp16_overflow 0
		.amdhsa_tg_split 0
		.amdhsa_exception_fp_ieee_invalid_op 0
		.amdhsa_exception_fp_denorm_src 0
		.amdhsa_exception_fp_ieee_div_zero 0
		.amdhsa_exception_fp_ieee_overflow 0
		.amdhsa_exception_fp_ieee_underflow 0
		.amdhsa_exception_fp_ieee_inexact 0
		.amdhsa_exception_int_div_zero 0
	.end_amdhsa_kernel
	.section	.text._ZL13mul_mat_vec_qIL9ggml_type2ELi7ELb0ELb0EEvPKvS2_PKi31ggml_cuda_mm_fusion_args_devicePfj15HIP_vector_typeIjLj3EEjjjS8_jjjS8_jjjj,"axG",@progbits,_ZL13mul_mat_vec_qIL9ggml_type2ELi7ELb0ELb0EEvPKvS2_PKi31ggml_cuda_mm_fusion_args_devicePfj15HIP_vector_typeIjLj3EEjjjS8_jjjS8_jjjj,comdat
.Lfunc_end22:
	.size	_ZL13mul_mat_vec_qIL9ggml_type2ELi7ELb0ELb0EEvPKvS2_PKi31ggml_cuda_mm_fusion_args_devicePfj15HIP_vector_typeIjLj3EEjjjS8_jjjS8_jjjj, .Lfunc_end22-_ZL13mul_mat_vec_qIL9ggml_type2ELi7ELb0ELb0EEvPKvS2_PKi31ggml_cuda_mm_fusion_args_devicePfj15HIP_vector_typeIjLj3EEjjjS8_jjjS8_jjjj
                                        ; -- End function
	.section	.AMDGPU.csdata,"",@progbits
; Kernel info:
; codeLenInByte = 3492
; NumSgprs: 36
; NumVgprs: 69
; NumAgprs: 0
; TotalNumVgprs: 69
; ScratchSize: 64
; MemoryBound: 0
; FloatMode: 240
; IeeeMode: 1
; LDSByteSize: 0 bytes/workgroup (compile time only)
; SGPRBlocks: 4
; VGPRBlocks: 8
; NumSGPRsForWavesPerEU: 36
; NumVGPRsForWavesPerEU: 69
; AccumOffset: 72
; Occupancy: 7
; WaveLimiterHint : 0
; COMPUTE_PGM_RSRC2:SCRATCH_EN: 1
; COMPUTE_PGM_RSRC2:USER_SGPR: 2
; COMPUTE_PGM_RSRC2:TRAP_HANDLER: 0
; COMPUTE_PGM_RSRC2:TGID_X_EN: 1
; COMPUTE_PGM_RSRC2:TGID_Y_EN: 1
; COMPUTE_PGM_RSRC2:TGID_Z_EN: 1
; COMPUTE_PGM_RSRC2:TIDIG_COMP_CNT: 1
; COMPUTE_PGM_RSRC3_GFX90A:ACCUM_OFFSET: 17
; COMPUTE_PGM_RSRC3_GFX90A:TG_SPLIT: 0
	.section	.text._ZL13mul_mat_vec_qIL9ggml_type2ELi8ELb0ELb0EEvPKvS2_PKi31ggml_cuda_mm_fusion_args_devicePfj15HIP_vector_typeIjLj3EEjjjS8_jjjS8_jjjj,"axG",@progbits,_ZL13mul_mat_vec_qIL9ggml_type2ELi8ELb0ELb0EEvPKvS2_PKi31ggml_cuda_mm_fusion_args_devicePfj15HIP_vector_typeIjLj3EEjjjS8_jjjS8_jjjj,comdat
	.globl	_ZL13mul_mat_vec_qIL9ggml_type2ELi8ELb0ELb0EEvPKvS2_PKi31ggml_cuda_mm_fusion_args_devicePfj15HIP_vector_typeIjLj3EEjjjS8_jjjS8_jjjj ; -- Begin function _ZL13mul_mat_vec_qIL9ggml_type2ELi8ELb0ELb0EEvPKvS2_PKi31ggml_cuda_mm_fusion_args_devicePfj15HIP_vector_typeIjLj3EEjjjS8_jjjS8_jjjj
	.p2align	8
	.type	_ZL13mul_mat_vec_qIL9ggml_type2ELi8ELb0ELb0EEvPKvS2_PKi31ggml_cuda_mm_fusion_args_devicePfj15HIP_vector_typeIjLj3EEjjjS8_jjjS8_jjjj,@function
_ZL13mul_mat_vec_qIL9ggml_type2ELi8ELb0ELb0EEvPKvS2_PKi31ggml_cuda_mm_fusion_args_devicePfj15HIP_vector_typeIjLj3EEjjjS8_jjjS8_jjjj: ; @_ZL13mul_mat_vec_qIL9ggml_type2ELi8ELb0ELb0EEvPKvS2_PKi31ggml_cuda_mm_fusion_args_devicePfj15HIP_vector_typeIjLj3EEjjjS8_jjjS8_jjjj
; %bb.0:
	v_bfe_u32 v17, v0, 10, 10
	v_lshlrev_b32_e32 v1, 6, v17
	v_and_b32_e32 v16, 0x3ff, v0
	s_mov_b32 s20, 0
	s_load_dword s5, s[0:1], 0x40
	s_load_dwordx4 s[8:11], s[0:1], 0x50
	s_load_dword s25, s[0:1], 0x60
	s_load_dwordx4 s[12:15], s[0:1], 0x68
	;; [unrolled: 2-line block ×3, first 2 shown]
	s_mov_b32 s21, s20
	v_add_u16_e32 v0, v1, v16
	s_waitcnt lgkmcnt(0)
	s_lshr_b32 s5, s5, 5
	s_mov_b32 s22, s20
	s_mov_b32 s23, s20
	v_mov_b64_e32 v[2:3], s[20:21]
	v_lshrrev_b16_e32 v26, 1, v0
	s_lshl_b32 s2, s2, 1
	v_mov_b64_e32 v[4:5], s[22:23]
	v_cmp_gt_u32_e32 vcc, s5, v26
	scratch_store_dwordx4 off, v[2:5], off offset:48
	scratch_store_dwordx4 off, v[2:5], off offset:32
	;; [unrolled: 1-line block ×3, first 2 shown]
	scratch_store_dwordx4 off, v[2:5], off
	s_and_saveexec_b64 s[6:7], vcc
	s_cbranch_execz .LBB23_4
; %bb.1:
	s_load_dwordx4 s[20:23], s[0:1], 0x0
	s_mul_i32 s17, s4, s17
	s_mul_hi_u32 s19, s17, 36
	s_mul_i32 s17, s17, 36
	s_mul_i32 s13, s3, s13
	s_waitcnt lgkmcnt(0)
	s_add_u32 s17, s22, s17
	s_addc_u32 s19, s23, s19
	s_mul_hi_u32 s23, s13, 36
	s_mul_i32 s13, s13, 36
	s_add_u32 s22, s17, s13
	s_mul_hi_u32 s11, s11, s3
	s_addc_u32 s23, s19, s23
	s_add_i32 s11, s3, s11
	v_and_b32_e32 v3, 1, v16
	s_lshr_b32 s11, s11, s25
	v_lshlrev_b32_e32 v18, 3, v3
	v_and_b32_e32 v3, v1, v16
	v_xor_b32_e32 v1, v1, v16
	s_mul_i32 s17, s11, s12
	s_mul_hi_u32 s11, s15, s4
	v_lshrrev_b16_e32 v1, 1, v1
	s_add_i32 s11, s4, s11
	v_add_u16_e32 v1, v3, v1
	s_lshr_b32 s11, s11, s24
	v_lshlrev_b32_e32 v0, 1, v16
	v_mad_u64_u32 v[20:21], s[12:13], v1, 36, s[22:23]
	s_mul_i32 s16, s11, s16
	v_and_b32_e32 v0, 2, v0
	s_add_i32 s13, s2, 1
	v_lshlrev_b32_e32 v2, 1, v0
	v_mov_b32_e32 v19, 0
	s_mul_i32 s27, s2, s8
	s_add_i32 s12, s16, s17
	s_mul_i32 s8, s8, s13
	s_lshl_b32 s11, s9, 1
	s_mul_i32 s15, s9, 3
	s_lshl_b32 s19, s9, 2
	s_mul_i32 s24, s9, 5
	s_mul_i32 s25, s9, 6
	;; [unrolled: 1-line block ×3, first 2 shown]
	s_add_i32 s8, s12, s8
	s_add_i32 s27, s12, s27
	s_mov_b64 s[12:13], 0
	v_lshlrev_b32_e32 v22, 1, v2
	v_lshlrev_b32_e32 v24, 2, v0
	s_mov_b64 s[16:17], 0x480
	v_mov_b32_e32 v23, v19
	v_mov_b32_e32 v25, v19
	;; [unrolled: 1-line block ×18, first 2 shown]
.LBB23_2:                               ; =>This Inner Loop Header: Depth=1
	v_lshl_add_u64 v[28:29], v[20:21], 0, v[18:19]
	v_add_u32_e32 v27, s27, v26
	global_load_dword v44, v[20:21], off
	global_load_dwordx2 v[30:31], v[28:29], off offset:4
	global_load_dwordx2 v[32:33], v[28:29], off offset:20
	v_add_u32_e32 v34, s8, v26
	v_mad_i64_i32 v[28:29], s[28:29], v27, 18, s[20:21]
	v_mad_i64_i32 v[34:35], s[28:29], v34, 18, s[20:21]
	v_lshl_add_u64 v[40:41], v[28:29], 0, v[22:23]
	v_lshl_add_u64 v[42:43], v[34:35], 0, v[22:23]
	global_load_dword v27, v[40:41], off offset:2
	global_load_dword v61, v[40:41], off offset:6
	;; [unrolled: 1-line block ×4, first 2 shown]
                                        ; kill: killed $vgpr40_vgpr41
                                        ; kill: killed $vgpr42_vgpr43
	global_load_ushort v64, v[34:35], off
	global_load_ushort v65, v[28:29], off
	v_mov_b32_e32 v45, 0
	v_mov_b32_e32 v46, 0
	v_add_u32_e32 v36, s9, v26
	v_mad_u64_u32 v[36:37], s[28:29], v36, 36, s[22:23]
	v_add_u32_e32 v38, s11, v26
	v_mad_u64_u32 v[38:39], s[28:29], v38, 36, s[22:23]
	v_mov_b32_e32 v47, 0
	v_mov_b32_e32 v48, 0
	v_add_u32_e32 v51, s15, v26
	v_mov_b32_e32 v49, 0
	v_mov_b32_e32 v50, 0
	v_add_u32_e32 v54, s19, v26
	v_mov_b32_e32 v52, 0
	v_mov_b32_e32 v53, 0
	;; [unrolled: 1-line block ×4, first 2 shown]
	v_add_u32_e32 v57, s24, v26
	v_add_u32_e32 v60, s25, v26
	v_mov_b32_e32 v58, 0
	v_mov_b32_e32 v59, 0
	v_mov_b32_e32 v70, 0
	v_lshl_add_u64 v[20:21], v[20:21], 0, s[16:17]
	s_waitcnt vmcnt(8)
	v_cvt_f32_f16_sdwa v29, v44 dst_sel:DWORD dst_unused:UNUSED_PAD src0_sel:WORD_1
	s_waitcnt vmcnt(5)
	v_and_b32_e32 v66, 0xf0f0f0f, v27
	v_lshrrev_b32_e32 v27, 4, v27
	s_waitcnt vmcnt(3)
	v_and_b32_e32 v68, 0xf0f0f0f, v62
	v_lshrrev_b32_e32 v28, 4, v62
	v_and_b32_e32 v27, 0xf0f0f0f, v27
	v_dot4c_i32_i8_e32 v45, v66, v30
	v_and_b32_e32 v69, 0xf0f0f0f, v28
	v_dot4c_i32_i8_e32 v46, v68, v30
	v_and_b32_e32 v67, 0xf0f0f0f, v61
	s_waitcnt vmcnt(2)
	v_and_b32_e32 v62, 0xf0f0f0f, v63
	v_dot4c_i32_i8_e32 v45, v27, v32
	v_dot4c_i32_i8_e32 v46, v69, v32
	;; [unrolled: 1-line block ×4, first 2 shown]
	v_lshrrev_b32_e32 v30, 4, v61
	v_lshrrev_b32_e32 v31, 4, v63
	v_and_b32_e32 v61, 0xf0f0f0f, v30
	v_and_b32_e32 v63, 0xf0f0f0f, v31
	v_dot4c_i32_i8_e32 v45, v61, v33
	v_dot4c_i32_i8_e32 v46, v63, v33
	v_cvt_f32_f16_e32 v28, v44
	v_mul_f32_e32 v30, 4.0, v29
	v_cvt_f32_i32_e32 v32, v45
	v_cvt_f32_i32_e32 v33, v46
	v_add_u32_e32 v46, s26, v26
	v_add_u32_e32 v26, 32, v26
	v_cmp_le_u32_e32 vcc, s5, v26
	v_pk_fma_f32 v[28:29], v[28:29], v[32:33], v[30:31] op_sel_hi:[0,1,0] neg_lo:[0,0,1] neg_hi:[0,0,1]
	v_lshl_add_u64 v[30:31], v[36:37], 0, v[24:25]
	global_load_dwordx2 v[32:33], v[30:31], off offset:20
	global_load_dword v42, v[38:39], off
	global_load_dword v34, v[36:37], off
	s_or_b64 s[12:13], vcc, s[12:13]
	global_load_dwordx2 v[30:31], v[30:31], off offset:4
	s_waitcnt vmcnt(0)
	v_dot4c_i32_i8_e32 v47, v66, v30
	v_dot4c_i32_i8_e32 v48, v68, v30
	;; [unrolled: 1-line block ×8, first 2 shown]
	v_cvt_f32_f16_sdwa v33, v34 dst_sel:DWORD dst_unused:UNUSED_PAD src0_sel:WORD_1
	v_cvt_f32_f16_e32 v32, v34
	v_cvt_f32_i32_e32 v34, v47
	v_cvt_f32_i32_e32 v35, v48
	v_mad_u64_u32 v[30:31], s[28:29], v51, 36, s[22:23]
	v_mul_f32_e32 v36, 4.0, v33
	v_pk_fma_f32 v[32:33], v[32:33], v[34:35], v[36:37] op_sel_hi:[0,1,0] neg_lo:[0,0,1] neg_hi:[0,0,1]
	v_lshl_add_u64 v[36:37], v[38:39], 0, v[24:25]
	v_lshl_add_u64 v[38:39], v[30:31], 0, v[24:25]
	global_load_dword v44, v[30:31], off
	global_load_dwordx2 v[40:41], v[36:37], off offset:4
                                        ; kill: killed $vgpr30_vgpr31
	s_nop 0
	global_load_dwordx2 v[30:31], v[36:37], off offset:20
	v_cvt_f32_f16_sdwa v36, v42 dst_sel:DWORD dst_unused:UNUSED_PAD src0_sel:WORD_1
	v_mad_u64_u32 v[34:35], s[28:29], v54, 36, s[22:23]
	v_mov_b32_e32 v51, 0
	v_mul_f32_e32 v36, 4.0, v36
	s_waitcnt vmcnt(1)
	v_dot4c_i32_i8_e32 v49, v66, v40
	v_dot4c_i32_i8_e32 v50, v68, v40
	s_waitcnt vmcnt(0)
	v_dot4c_i32_i8_e32 v49, v27, v30
	v_dot4c_i32_i8_e32 v50, v69, v30
	;; [unrolled: 1-line block ×6, first 2 shown]
	v_cvt_f32_f16_e32 v30, v42
	s_nop 0
	v_cvt_f32_i32_e32 v40, v49
	v_cvt_f32_i32_e32 v41, v50
	v_pk_fma_f32 v[30:31], v[30:31], v[40:41], v[36:37] op_sel_hi:[0,1,0] neg_lo:[0,0,1] neg_hi:[0,0,1]
	v_lshl_add_u64 v[36:37], v[34:35], 0, v[24:25]
	global_load_dwordx2 v[40:41], v[36:37], off offset:20
	global_load_dword v48, v[34:35], off
	global_load_dwordx2 v[42:43], v[38:39], off offset:4
                                        ; kill: killed $vgpr34_vgpr35
	s_nop 0
	global_load_dwordx2 v[34:35], v[38:39], off offset:20
	v_mad_u64_u32 v[38:39], s[28:29], v57, 36, s[22:23]
	global_load_dwordx2 v[36:37], v[36:37], off offset:4
	s_waitcnt vmcnt(2)
	v_dot4c_i32_i8_e32 v52, v66, v42
	v_dot4c_i32_i8_e32 v53, v68, v42
	s_waitcnt vmcnt(1)
	v_dot4c_i32_i8_e32 v52, v27, v34
	v_dot4c_i32_i8_e32 v53, v69, v34
	;; [unrolled: 1-line block ×6, first 2 shown]
	v_cvt_f32_f16_sdwa v35, v44 dst_sel:DWORD dst_unused:UNUSED_PAD src0_sel:WORD_1
	v_cvt_f32_f16_e32 v34, v44
	v_cvt_f32_i32_e32 v42, v52
	v_cvt_f32_i32_e32 v43, v53
	v_mul_f32_e32 v44, 4.0, v35
	s_waitcnt vmcnt(0)
	v_dot4c_i32_i8_e32 v56, v66, v36
	v_dot4c_i32_i8_e32 v55, v68, v36
	v_pk_fma_f32 v[34:35], v[34:35], v[42:43], v[44:45] op_sel_hi:[0,1,0] neg_lo:[0,0,1] neg_hi:[0,0,1]
	v_mad_u64_u32 v[42:43], s[28:29], v60, 36, s[22:23]
	v_lshl_add_u64 v[44:45], v[38:39], 0, v[24:25]
	v_dot4c_i32_i8_e32 v56, v27, v40
	v_dot4c_i32_i8_e32 v55, v69, v40
	;; [unrolled: 1-line block ×4, first 2 shown]
	global_load_dwordx2 v[36:37], v[44:45], off offset:20
	global_load_dword v49, v[42:43], off
	global_load_dword v40, v[38:39], off
	v_lshl_add_u64 v[38:39], v[42:43], 0, v[24:25]
	global_load_dwordx2 v[42:43], v[44:45], off offset:4
	v_mov_b32_e32 v53, 0
	v_mov_b32_e32 v60, 0
	v_dot4c_i32_i8_e32 v56, v61, v41
	v_dot4c_i32_i8_e32 v55, v63, v41
	s_waitcnt vmcnt(1)
	v_cvt_f32_f16_sdwa v41, v40 dst_sel:DWORD dst_unused:UNUSED_PAD src0_sel:WORD_1
	s_nop 0
	v_cvt_f32_i32_e32 v55, v55
	s_waitcnt vmcnt(0)
	v_dot4c_i32_i8_e32 v58, v66, v42
	v_dot4c_i32_i8_e32 v59, v68, v42
	;; [unrolled: 1-line block ×6, first 2 shown]
	global_load_dwordx2 v[42:43], v[38:39], off offset:4
	global_load_dwordx2 v[44:45], v[38:39], off offset:20
	v_mad_u64_u32 v[38:39], s[28:29], v46, 36, s[22:23]
	global_load_dword v50, v[38:39], off
	v_lshl_add_u64 v[38:39], v[38:39], 0, v[24:25]
	global_load_dwordx2 v[46:47], v[38:39], off offset:4
	v_dot4c_i32_i8_e32 v58, v61, v37
	global_load_dwordx2 v[38:39], v[38:39], off offset:20
	v_dot4c_i32_i8_e32 v59, v63, v37
	v_cvt_f32_f16_sdwa v37, v49 dst_sel:DWORD dst_unused:UNUSED_PAD src0_sel:WORD_1
	v_cvt_f32_f16_e32 v36, v48
	v_cvt_f32_i32_e32 v54, v56
	v_cvt_f32_i32_e32 v57, v59
	;; [unrolled: 1-line block ×3, first 2 shown]
	s_waitcnt vmcnt(4)
	v_dot4c_i32_i8_e32 v70, v66, v42
	v_dot4c_i32_i8_e32 v51, v68, v42
	s_waitcnt vmcnt(3)
	v_dot4c_i32_i8_e32 v70, v27, v44
	v_dot4c_i32_i8_e32 v51, v69, v44
	;; [unrolled: 1-line block ×4, first 2 shown]
	s_waitcnt vmcnt(1)
	v_dot4c_i32_i8_e32 v53, v66, v46
	v_dot4c_i32_i8_e32 v60, v68, v46
	s_waitcnt vmcnt(0)
	v_dot4c_i32_i8_e32 v53, v27, v38
	v_dot4c_i32_i8_e32 v60, v69, v38
	;; [unrolled: 1-line block ×4, first 2 shown]
	v_cvt_f32_f16_sdwa v27, v48 dst_sel:DWORD dst_unused:UNUSED_PAD src0_sel:WORD_1
	v_dot4c_i32_i8_e32 v70, v61, v45
	v_dot4c_i32_i8_e32 v51, v63, v45
	v_cvt_f32_f16_sdwa v45, v50 dst_sel:DWORD dst_unused:UNUSED_PAD src0_sel:WORD_1
	v_dot4c_i32_i8_e32 v53, v61, v39
	v_dot4c_i32_i8_e32 v60, v63, v39
	v_cvt_f32_f16_e32 v38, v40
	v_cvt_f32_f16_e32 v40, v49
	;; [unrolled: 1-line block ×3, first 2 shown]
	v_cvt_f32_i32_e32 v59, v51
	v_cvt_f32_i32_e32 v58, v70
	;; [unrolled: 1-line block ×4, first 2 shown]
	v_cvt_f32_f16_e32 v43, v64
	v_cvt_f32_f16_e32 v42, v65
	v_mul_f32_e32 v46, 4.0, v27
	v_mul_f32_e32 v48, 4.0, v41
	;; [unrolled: 1-line block ×4, first 2 shown]
	v_pk_fma_f32 v[36:37], v[36:37], v[54:55], v[46:47] op_sel_hi:[0,1,0] neg_lo:[0,0,1] neg_hi:[0,0,1]
	v_pk_fma_f32 v[38:39], v[38:39], v[56:57], v[48:49] op_sel_hi:[0,1,0] neg_lo:[0,0,1] neg_hi:[0,0,1]
	;; [unrolled: 1-line block ×4, first 2 shown]
	v_pk_fma_f32 v[12:13], v[28:29], v[42:43], v[12:13]
	v_pk_fma_f32 v[14:15], v[32:33], v[42:43], v[14:15]
	;; [unrolled: 1-line block ×8, first 2 shown]
	s_andn2_b64 exec, exec, s[12:13]
	s_cbranch_execnz .LBB23_2
; %bb.3:
	s_or_b64 exec, exec, s[12:13]
	scratch_store_dwordx4 off, v[12:15], off
	scratch_store_dwordx4 off, v[8:11], off offset:16
	scratch_store_dwordx4 off, v[4:7], off offset:32
	;; [unrolled: 1-line block ×3, first 2 shown]
.LBB23_4:
	s_or_b64 exec, exec, s[6:7]
	s_mov_b32 s5, 0
	v_cmp_eq_u32_e32 vcc, 0, v17
	s_waitcnt lgkmcnt(0)
	; wave barrier
	s_and_saveexec_b64 s[6:7], vcc
	s_cbranch_execz .LBB23_21
; %bb.5:
	scratch_load_dwordx2 v[2:3], off, off
	v_mbcnt_lo_u32_b32 v0, -1, 0
	v_mbcnt_hi_u32_b32 v12, -1, v0
	s_load_dwordx2 s[6:7], s[0:1], 0x38
	s_mul_i32 s0, s3, s14
	v_or_b32_e32 v1, s2, v16
	v_and_b32_e32 v0, 64, v12
	s_mul_i32 s4, s4, s18
	s_add_i32 s2, s0, s2
	v_cmp_gt_u32_e64 s[0:1], s10, v1
	v_xor_b32_e32 v1, 32, v12
	v_add_u32_e32 v13, 64, v0
	s_add_i32 s4, s2, s4
	v_cmp_lt_i32_e64 s[2:3], v1, v13
	v_cmp_gt_u32_e32 vcc, 2, v16
	s_nop 0
	v_cndmask_b32_e64 v0, v12, v1, s[2:3]
	v_lshlrev_b32_e32 v0, 2, v0
	v_xor_b32_e32 v1, 16, v12
	v_cmp_lt_i32_e64 s[2:3], v1, v13
	s_waitcnt vmcnt(0)
	ds_bpermute_b32 v4, v0, v2
	ds_bpermute_b32 v5, v0, v3
	v_cndmask_b32_e64 v1, v12, v1, s[2:3]
	v_lshlrev_b32_e32 v1, 2, v1
	s_waitcnt lgkmcnt(0)
	v_pk_add_f32 v[4:5], v[2:3], v[4:5]
	ds_bpermute_b32 v6, v1, v4
	ds_bpermute_b32 v7, v1, v5
	v_xor_b32_e32 v2, 8, v12
	v_cmp_lt_i32_e64 s[2:3], v2, v13
	v_xor_b32_e32 v3, 4, v12
	s_waitcnt lgkmcnt(0)
	v_pk_add_f32 v[4:5], v[4:5], v[6:7]
	v_cndmask_b32_e64 v2, v12, v2, s[2:3]
	v_lshlrev_b32_e32 v2, 2, v2
	ds_bpermute_b32 v6, v2, v4
	ds_bpermute_b32 v7, v2, v5
	v_cmp_lt_i32_e64 s[2:3], v3, v13
	s_waitcnt lgkmcnt(0)
	v_pk_add_f32 v[6:7], v[4:5], v[6:7]
	v_cndmask_b32_e64 v3, v12, v3, s[2:3]
	v_lshlrev_b32_e32 v3, 2, v3
	ds_bpermute_b32 v8, v3, v6
	ds_bpermute_b32 v9, v3, v7
	v_xor_b32_e32 v4, 2, v12
	v_cmp_lt_i32_e64 s[2:3], v4, v13
	v_xor_b32_e32 v5, 1, v12
	s_waitcnt lgkmcnt(0)
	v_pk_add_f32 v[8:9], v[6:7], v[8:9]
	v_cndmask_b32_e64 v4, v12, v4, s[2:3]
	v_lshlrev_b32_e32 v4, 2, v4
	ds_bpermute_b32 v10, v4, v8
	ds_bpermute_b32 v11, v4, v9
	v_cmp_lt_i32_e64 s[2:3], v5, v13
	s_waitcnt lgkmcnt(0)
	v_pk_add_f32 v[8:9], v[8:9], v[10:11]
	v_cndmask_b32_e64 v5, v12, v5, s[2:3]
	v_lshlrev_b32_e32 v6, 2, v5
	ds_bpermute_b32 v10, v6, v8
	ds_bpermute_b32 v11, v6, v9
	s_lshl_b64 s[2:3], s[4:5], 2
	s_add_u32 s2, s6, s2
	s_addc_u32 s3, s7, s3
	s_and_b64 s[0:1], vcc, s[0:1]
	s_waitcnt lgkmcnt(0)
	v_pk_add_f32 v[8:9], v[8:9], v[10:11]
	v_lshlrev_b32_e32 v5, 2, v16
	scratch_store_dwordx2 off, v[8:9], off
	s_and_saveexec_b64 s[4:5], s[0:1]
	s_cbranch_execz .LBB23_7
; %bb.6:
	scratch_load_dword v7, v5, off
	s_waitcnt vmcnt(0)
	global_store_dword v5, v7, s[2:3]
.LBB23_7:
	s_or_b64 exec, exec, s[4:5]
	scratch_load_dwordx2 v[8:9], off, off offset:8
	s_waitcnt vmcnt(0)
	ds_bpermute_b32 v10, v0, v8
	ds_bpermute_b32 v11, v0, v9
	s_waitcnt lgkmcnt(0)
	v_pk_add_f32 v[8:9], v[8:9], v[10:11]
	ds_bpermute_b32 v10, v1, v8
	ds_bpermute_b32 v11, v1, v9
	s_waitcnt lgkmcnt(0)
	v_pk_add_f32 v[8:9], v[8:9], v[10:11]
	;; [unrolled: 4-line block ×6, first 2 shown]
	scratch_store_dwordx2 off, v[8:9], off offset:8
	s_and_saveexec_b64 s[4:5], s[0:1]
	s_cbranch_execz .LBB23_9
; %bb.8:
	scratch_load_dword v7, v5, off offset:8
	v_add_u32_e32 v8, s10, v16
	v_mov_b32_e32 v9, 0
	v_lshl_add_u64 v[8:9], v[8:9], 2, s[2:3]
	s_waitcnt vmcnt(0)
	global_store_dword v[8:9], v7, off
.LBB23_9:
	s_or_b64 exec, exec, s[4:5]
	scratch_load_dwordx2 v[8:9], off, off offset:16
	s_waitcnt vmcnt(0)
	ds_bpermute_b32 v10, v0, v8
	ds_bpermute_b32 v11, v0, v9
	s_waitcnt lgkmcnt(0)
	v_pk_add_f32 v[8:9], v[8:9], v[10:11]
	ds_bpermute_b32 v10, v1, v8
	ds_bpermute_b32 v11, v1, v9
	s_waitcnt lgkmcnt(0)
	v_pk_add_f32 v[8:9], v[8:9], v[10:11]
	;; [unrolled: 4-line block ×6, first 2 shown]
	scratch_store_dwordx2 off, v[8:9], off offset:16
	s_and_saveexec_b64 s[4:5], s[0:1]
	s_cbranch_execz .LBB23_11
; %bb.10:
	scratch_load_dword v7, v5, off offset:16
	v_lshl_or_b32 v8, s10, 1, v16
	v_mov_b32_e32 v9, 0
	v_lshl_add_u64 v[8:9], v[8:9], 2, s[2:3]
	s_waitcnt vmcnt(0)
	global_store_dword v[8:9], v7, off
.LBB23_11:
	s_or_b64 exec, exec, s[4:5]
	scratch_load_dwordx2 v[8:9], off, off offset:24
	s_waitcnt vmcnt(0)
	ds_bpermute_b32 v10, v0, v8
	ds_bpermute_b32 v11, v0, v9
	s_waitcnt lgkmcnt(0)
	v_pk_add_f32 v[8:9], v[8:9], v[10:11]
	ds_bpermute_b32 v10, v1, v8
	ds_bpermute_b32 v11, v1, v9
	s_waitcnt lgkmcnt(0)
	v_pk_add_f32 v[8:9], v[8:9], v[10:11]
	;; [unrolled: 4-line block ×6, first 2 shown]
	scratch_store_dwordx2 off, v[8:9], off offset:24
	s_and_saveexec_b64 s[4:5], s[0:1]
	s_cbranch_execz .LBB23_13
; %bb.12:
	scratch_load_dword v7, v5, off offset:24
	v_mad_u64_u32 v[8:9], s[6:7], s10, 3, v[16:17]
	v_mov_b32_e32 v9, 0
	v_lshl_add_u64 v[8:9], v[8:9], 2, s[2:3]
	s_waitcnt vmcnt(0)
	global_store_dword v[8:9], v7, off
.LBB23_13:
	s_or_b64 exec, exec, s[4:5]
	scratch_load_dwordx2 v[8:9], off, off offset:32
	s_waitcnt vmcnt(0)
	ds_bpermute_b32 v10, v0, v8
	ds_bpermute_b32 v11, v0, v9
	s_waitcnt lgkmcnt(0)
	v_pk_add_f32 v[8:9], v[8:9], v[10:11]
	ds_bpermute_b32 v10, v1, v8
	ds_bpermute_b32 v11, v1, v9
	s_waitcnt lgkmcnt(0)
	v_pk_add_f32 v[8:9], v[8:9], v[10:11]
	ds_bpermute_b32 v10, v2, v8
	ds_bpermute_b32 v11, v2, v9
	s_waitcnt lgkmcnt(0)
	v_pk_add_f32 v[8:9], v[8:9], v[10:11]
	ds_bpermute_b32 v10, v3, v8
	ds_bpermute_b32 v11, v3, v9
	s_waitcnt lgkmcnt(0)
	v_pk_add_f32 v[8:9], v[8:9], v[10:11]
	ds_bpermute_b32 v10, v4, v8
	ds_bpermute_b32 v11, v4, v9
	s_waitcnt lgkmcnt(0)
	v_pk_add_f32 v[8:9], v[8:9], v[10:11]
	ds_bpermute_b32 v10, v6, v8
	ds_bpermute_b32 v11, v6, v9
	s_waitcnt lgkmcnt(0)
	v_pk_add_f32 v[8:9], v[8:9], v[10:11]
	scratch_store_dwordx2 off, v[8:9], off offset:32
	s_and_saveexec_b64 s[4:5], s[0:1]
	s_cbranch_execz .LBB23_15
; %bb.14:
	scratch_load_dword v7, v5, off offset:32
	v_lshl_or_b32 v8, s10, 2, v16
	v_mov_b32_e32 v9, 0
	v_lshl_add_u64 v[8:9], v[8:9], 2, s[2:3]
	s_waitcnt vmcnt(0)
	global_store_dword v[8:9], v7, off
.LBB23_15:
	s_or_b64 exec, exec, s[4:5]
	scratch_load_dwordx2 v[8:9], off, off offset:40
	s_waitcnt vmcnt(0)
	ds_bpermute_b32 v10, v0, v8
	ds_bpermute_b32 v11, v0, v9
	s_waitcnt lgkmcnt(0)
	v_pk_add_f32 v[8:9], v[8:9], v[10:11]
	ds_bpermute_b32 v10, v1, v8
	ds_bpermute_b32 v11, v1, v9
	s_waitcnt lgkmcnt(0)
	v_pk_add_f32 v[8:9], v[8:9], v[10:11]
	;; [unrolled: 4-line block ×6, first 2 shown]
	scratch_store_dwordx2 off, v[8:9], off offset:40
	s_and_saveexec_b64 s[4:5], s[0:1]
	s_cbranch_execz .LBB23_17
; %bb.16:
	scratch_load_dword v7, v5, off offset:40
	v_mad_u64_u32 v[8:9], s[6:7], s10, 5, v[16:17]
	v_mov_b32_e32 v9, 0
	v_lshl_add_u64 v[8:9], v[8:9], 2, s[2:3]
	s_waitcnt vmcnt(0)
	global_store_dword v[8:9], v7, off
.LBB23_17:
	s_or_b64 exec, exec, s[4:5]
	scratch_load_dwordx2 v[8:9], off, off offset:48
	s_waitcnt vmcnt(0)
	ds_bpermute_b32 v10, v0, v8
	ds_bpermute_b32 v11, v0, v9
	s_waitcnt lgkmcnt(0)
	v_pk_add_f32 v[8:9], v[8:9], v[10:11]
	ds_bpermute_b32 v10, v1, v8
	ds_bpermute_b32 v11, v1, v9
	s_waitcnt lgkmcnt(0)
	v_pk_add_f32 v[8:9], v[8:9], v[10:11]
	;; [unrolled: 4-line block ×6, first 2 shown]
	scratch_store_dwordx2 off, v[8:9], off offset:48
	s_and_saveexec_b64 s[4:5], s[0:1]
	s_cbranch_execz .LBB23_19
; %bb.18:
	scratch_load_dword v7, v5, off offset:48
	s_mul_i32 s6, s10, 6
	v_or_b32_e32 v8, s6, v16
	v_mov_b32_e32 v9, 0
	v_lshl_add_u64 v[8:9], v[8:9], 2, s[2:3]
	s_waitcnt vmcnt(0)
	global_store_dword v[8:9], v7, off
.LBB23_19:
	s_or_b64 exec, exec, s[4:5]
	scratch_load_dwordx2 v[8:9], off, off offset:56
	s_waitcnt vmcnt(0)
	ds_bpermute_b32 v10, v0, v8
	ds_bpermute_b32 v11, v0, v9
	s_waitcnt lgkmcnt(0)
	v_pk_add_f32 v[8:9], v[8:9], v[10:11]
	ds_bpermute_b32 v0, v1, v8
	ds_bpermute_b32 v1, v1, v9
	s_waitcnt lgkmcnt(0)
	v_pk_add_f32 v[0:1], v[8:9], v[0:1]
	;; [unrolled: 4-line block ×6, first 2 shown]
	scratch_store_dwordx2 off, v[0:1], off offset:56
	s_and_b64 exec, exec, s[0:1]
	s_cbranch_execz .LBB23_21
; %bb.20:
	scratch_load_dword v2, v5, off offset:56
	v_mad_u64_u32 v[0:1], s[0:1], s10, 7, v[16:17]
	v_mov_b32_e32 v1, 0
	v_lshl_add_u64 v[0:1], v[0:1], 2, s[2:3]
	s_waitcnt vmcnt(0)
	global_store_dword v[0:1], v2, off
.LBB23_21:
	s_endpgm
	.section	.rodata,"a",@progbits
	.p2align	6, 0x0
	.amdhsa_kernel _ZL13mul_mat_vec_qIL9ggml_type2ELi8ELb0ELb0EEvPKvS2_PKi31ggml_cuda_mm_fusion_args_devicePfj15HIP_vector_typeIjLj3EEjjjS8_jjjS8_jjjj
		.amdhsa_group_segment_fixed_size 0
		.amdhsa_private_segment_fixed_size 80
		.amdhsa_kernarg_size 144
		.amdhsa_user_sgpr_count 2
		.amdhsa_user_sgpr_dispatch_ptr 0
		.amdhsa_user_sgpr_queue_ptr 0
		.amdhsa_user_sgpr_kernarg_segment_ptr 1
		.amdhsa_user_sgpr_dispatch_id 0
		.amdhsa_user_sgpr_kernarg_preload_length 0
		.amdhsa_user_sgpr_kernarg_preload_offset 0
		.amdhsa_user_sgpr_private_segment_size 0
		.amdhsa_uses_dynamic_stack 0
		.amdhsa_enable_private_segment 1
		.amdhsa_system_sgpr_workgroup_id_x 1
		.amdhsa_system_sgpr_workgroup_id_y 1
		.amdhsa_system_sgpr_workgroup_id_z 1
		.amdhsa_system_sgpr_workgroup_info 0
		.amdhsa_system_vgpr_workitem_id 1
		.amdhsa_next_free_vgpr 71
		.amdhsa_next_free_sgpr 30
		.amdhsa_accum_offset 72
		.amdhsa_reserve_vcc 1
		.amdhsa_float_round_mode_32 0
		.amdhsa_float_round_mode_16_64 0
		.amdhsa_float_denorm_mode_32 3
		.amdhsa_float_denorm_mode_16_64 3
		.amdhsa_dx10_clamp 1
		.amdhsa_ieee_mode 1
		.amdhsa_fp16_overflow 0
		.amdhsa_tg_split 0
		.amdhsa_exception_fp_ieee_invalid_op 0
		.amdhsa_exception_fp_denorm_src 0
		.amdhsa_exception_fp_ieee_div_zero 0
		.amdhsa_exception_fp_ieee_overflow 0
		.amdhsa_exception_fp_ieee_underflow 0
		.amdhsa_exception_fp_ieee_inexact 0
		.amdhsa_exception_int_div_zero 0
	.end_amdhsa_kernel
	.section	.text._ZL13mul_mat_vec_qIL9ggml_type2ELi8ELb0ELb0EEvPKvS2_PKi31ggml_cuda_mm_fusion_args_devicePfj15HIP_vector_typeIjLj3EEjjjS8_jjjS8_jjjj,"axG",@progbits,_ZL13mul_mat_vec_qIL9ggml_type2ELi8ELb0ELb0EEvPKvS2_PKi31ggml_cuda_mm_fusion_args_devicePfj15HIP_vector_typeIjLj3EEjjjS8_jjjS8_jjjj,comdat
.Lfunc_end23:
	.size	_ZL13mul_mat_vec_qIL9ggml_type2ELi8ELb0ELb0EEvPKvS2_PKi31ggml_cuda_mm_fusion_args_devicePfj15HIP_vector_typeIjLj3EEjjjS8_jjjS8_jjjj, .Lfunc_end23-_ZL13mul_mat_vec_qIL9ggml_type2ELi8ELb0ELb0EEvPKvS2_PKi31ggml_cuda_mm_fusion_args_devicePfj15HIP_vector_typeIjLj3EEjjjS8_jjjS8_jjjj
                                        ; -- End function
	.section	.AMDGPU.csdata,"",@progbits
; Kernel info:
; codeLenInByte = 3880
; NumSgprs: 36
; NumVgprs: 71
; NumAgprs: 0
; TotalNumVgprs: 71
; ScratchSize: 80
; MemoryBound: 0
; FloatMode: 240
; IeeeMode: 1
; LDSByteSize: 0 bytes/workgroup (compile time only)
; SGPRBlocks: 4
; VGPRBlocks: 8
; NumSGPRsForWavesPerEU: 36
; NumVGPRsForWavesPerEU: 71
; AccumOffset: 72
; Occupancy: 7
; WaveLimiterHint : 0
; COMPUTE_PGM_RSRC2:SCRATCH_EN: 1
; COMPUTE_PGM_RSRC2:USER_SGPR: 2
; COMPUTE_PGM_RSRC2:TRAP_HANDLER: 0
; COMPUTE_PGM_RSRC2:TGID_X_EN: 1
; COMPUTE_PGM_RSRC2:TGID_Y_EN: 1
; COMPUTE_PGM_RSRC2:TGID_Z_EN: 1
; COMPUTE_PGM_RSRC2:TIDIG_COMP_CNT: 1
; COMPUTE_PGM_RSRC3_GFX90A:ACCUM_OFFSET: 17
; COMPUTE_PGM_RSRC3_GFX90A:TG_SPLIT: 0
	.section	.text._ZL17mul_mat_vec_q_moeIL9ggml_type3ELi2EEvPKvS2_PKiPfj15HIP_vector_typeIjLj3EEjjjjjjjjj,"axG",@progbits,_ZL17mul_mat_vec_q_moeIL9ggml_type3ELi2EEvPKvS2_PKiPfj15HIP_vector_typeIjLj3EEjjjjjjjjj,comdat
	.globl	_ZL17mul_mat_vec_q_moeIL9ggml_type3ELi2EEvPKvS2_PKiPfj15HIP_vector_typeIjLj3EEjjjjjjjjj ; -- Begin function _ZL17mul_mat_vec_q_moeIL9ggml_type3ELi2EEvPKvS2_PKiPfj15HIP_vector_typeIjLj3EEjjjjjjjjj
	.p2align	8
	.type	_ZL17mul_mat_vec_q_moeIL9ggml_type3ELi2EEvPKvS2_PKiPfj15HIP_vector_typeIjLj3EEjjjjjjjjj,@function
_ZL17mul_mat_vec_q_moeIL9ggml_type3ELi2EEvPKvS2_PKiPfj15HIP_vector_typeIjLj3EEjjjjjjjjj: ; @_ZL17mul_mat_vec_q_moeIL9ggml_type3ELi2EEvPKvS2_PKiPfj15HIP_vector_typeIjLj3EEjjjjjjjjj
; %bb.0:
	s_load_dwordx8 s[4:11], s[0:1], 0x30
	v_bfe_u32 v8, v0, 10, 10
	s_waitcnt lgkmcnt(0)
	v_cmp_gt_u32_e32 vcc, s11, v8
	s_and_saveexec_b64 s[12:13], vcc
	s_cbranch_execz .LBB24_7
; %bb.1:
	s_load_dword s11, s[0:1], 0x20
	s_load_dword s20, s[0:1], 0x50
	s_load_dwordx8 s[12:19], s[0:1], 0x0
	v_and_b32_e32 v9, 0x3ff, v0
	v_lshrrev_b32_e32 v10, 1, v9
	s_waitcnt lgkmcnt(0)
	s_lshr_b32 s11, s11, 5
	s_lshl_b32 s2, s2, 1
	v_cmp_gt_u32_e32 vcc, s11, v10
	v_mov_b32_e32 v1, 0
	v_mov_b32_e32 v0, 0
	s_and_saveexec_b64 s[24:25], vcc
	s_cbranch_execz .LBB24_5
; %bb.2:
	v_mul_lo_u32 v2, v8, s20
	v_mov_b32_e32 v0, s16
	v_mov_b32_e32 v1, s17
	v_add_u32_e32 v2, s3, v2
	v_mov_b32_e32 v3, 0
	v_lshl_add_u64 v[0:1], v[2:3], 2, v[0:1]
	global_load_dword v1, v[0:1], off
	s_load_dwordx4 s[20:23], s[0:1], 0x24
	v_mul_lo_u32 v0, v8, s6
	v_lshlrev_b32_e32 v2, 1, v9
	v_lshrrev_b32_e32 v12, 1, v9
	v_mad_u64_u32 v[6:7], s[26:27], v0, 36, 0
	s_waitcnt lgkmcnt(0)
	s_mul_hi_u32 s20, s20, s3
	s_add_i32 s20, s3, s20
	s_lshr_b32 s20, s20, s21
	s_mul_i32 s20, s20, s22
	s_sub_i32 s20, s3, s20
	s_mul_i32 s9, s20, s9
	s_mul_hi_u32 s20, s9, 36
	s_mul_i32 s9, s9, 36
	s_add_u32 s14, s14, s9
	s_addc_u32 s15, s15, s20
	s_add_i32 s9, s2, 1
	s_mul_i32 s23, s2, s5
	v_and_b32_e32 v11, 1, v9
	v_and_b32_e32 v4, 2, v2
	v_mad_u64_u32 v[6:7], s[26:27], v12, 36, v[6:7]
	s_mul_i32 s5, s5, s9
	s_mov_b64 s[0:1], 0
	s_mov_b32 s6, 0.5
	s_mov_b64 s[16:17], 0x480
	v_mov_b32_e32 v5, v3
	v_mov_b32_e32 v0, v3
	v_lshlrev_b32_e32 v2, 3, v11
	v_lshlrev_b32_e32 v4, 2, v4
	v_lshl_add_u64 v[6:7], s[14:15], 0, v[6:7]
	s_waitcnt vmcnt(0)
	v_mul_lo_u32 v1, v1, s8
	v_add_u32_e32 v11, s5, v1
	v_add_u32_e32 v12, s23, v1
	v_mov_b32_e32 v1, v3
.LBB24_3:                               ; =>This Inner Loop Header: Depth=1
	v_lshl_add_u64 v[14:15], v[6:7], 0, v[2:3]
	v_add_u32_e32 v20, v12, v10
	global_load_dword v13, v[6:7], off
	v_add_u32_e32 v21, v11, v10
	global_load_dwordx2 v[16:17], v[14:15], off offset:4
	global_load_dwordx2 v[18:19], v[14:15], off offset:20
	v_mad_i64_i32 v[14:15], s[8:9], v20, 20, s[12:13]
	v_mad_i64_i32 v[20:21], s[8:9], v21, 20, s[12:13]
	v_lshl_add_u64 v[22:23], v[14:15], 0, v[4:5]
	v_lshl_add_u64 v[24:25], v[20:21], 0, v[4:5]
	global_load_dwordx2 v[26:27], v[22:23], off offset:4
	global_load_dwordx2 v[28:29], v[24:25], off offset:4
	global_load_dword v30, v[20:21], off
	global_load_dword v31, v[14:15], off
	v_mov_b32_e32 v14, 0
	v_mov_b32_e32 v15, 0
	v_add_u32_e32 v10, 32, v10
	v_cmp_le_u32_e32 vcc, s11, v10
	v_lshl_add_u64 v[6:7], v[6:7], 0, s[16:17]
	s_or_b64 s[0:1], vcc, s[0:1]
	s_waitcnt vmcnt(3)
	v_and_b32_e32 v20, 0xf0f0f0f, v26
	v_lshrrev_b32_e32 v21, 4, v26
	s_waitcnt vmcnt(2)
	v_and_b32_e32 v25, 0xf0f0f0f, v28
	v_lshrrev_b32_e32 v26, 4, v28
	v_and_b32_e32 v21, 0xf0f0f0f, v21
	v_dot4c_i32_i8_e32 v14, v20, v16
	v_and_b32_e32 v26, 0xf0f0f0f, v26
	v_dot4c_i32_i8_e32 v15, v25, v16
	v_and_b32_e32 v22, 0xf0f0f0f, v27
	v_lshrrev_b32_e32 v23, 4, v27
	v_and_b32_e32 v27, 0xf0f0f0f, v29
	v_lshrrev_b32_e32 v28, 4, v29
	v_dot4c_i32_i8_e32 v14, v21, v18
	v_dot4c_i32_i8_e32 v15, v26, v18
	v_and_b32_e32 v20, 0xf0f0f0f, v23
	v_and_b32_e32 v16, 0xf0f0f0f, v28
	v_dot4c_i32_i8_e32 v14, v22, v17
	v_dot4c_i32_i8_e32 v15, v27, v17
	s_waitcnt vmcnt(0)
	v_pk_mul_f16 v24, v31, v13
	v_pk_mul_f16 v13, v30, v13
	v_dot4c_i32_i8_e32 v14, v20, v19
	v_dot4c_i32_i8_e32 v15, v16, v19
	v_cvt_f32_f16_e32 v23, v24
	v_cvt_f32_f16_e32 v25, v13
	v_cvt_f32_i32_e32 v14, v14
	v_cvt_f32_i32_e32 v15, v15
	v_mul_f32_e32 v14, v14, v23
	v_mul_f32_e32 v15, v15, v25
	v_fma_mix_f32 v14, v24, s6, v14 op_sel:[1,0,0] op_sel_hi:[1,0,0]
	v_fma_mix_f32 v13, v13, s6, v15 op_sel:[1,0,0] op_sel_hi:[1,0,0]
	v_add_f32_e32 v0, v0, v14
	v_add_f32_e32 v1, v1, v13
	s_andn2_b64 exec, exec, s[0:1]
	s_cbranch_execnz .LBB24_3
; %bb.4:
	s_or_b64 exec, exec, s[0:1]
.LBB24_5:
	s_or_b64 exec, exec, s[24:25]
	v_mbcnt_lo_u32_b32 v2, -1, 0
	v_mbcnt_hi_u32_b32 v4, -1, v2
	v_and_b32_e32 v2, 64, v4
	v_add_u32_e32 v5, 64, v2
	v_xor_b32_e32 v2, 32, v4
	v_cmp_lt_i32_e32 vcc, v2, v5
	v_xor_b32_e32 v6, 16, v4
	s_nop 0
	v_cndmask_b32_e32 v2, v4, v2, vcc
	v_lshlrev_b32_e32 v3, 2, v2
	ds_bpermute_b32 v2, v3, v0
	ds_bpermute_b32 v3, v3, v1
	v_cmp_lt_i32_e32 vcc, v6, v5
	s_waitcnt lgkmcnt(0)
	v_pk_add_f32 v[0:1], v[0:1], v[2:3]
	v_cndmask_b32_e32 v6, v4, v6, vcc
	v_lshlrev_b32_e32 v6, 2, v6
	ds_bpermute_b32 v2, v6, v0
	ds_bpermute_b32 v3, v6, v1
	v_xor_b32_e32 v6, 8, v4
	v_cmp_lt_i32_e32 vcc, v6, v5
	s_waitcnt lgkmcnt(0)
	v_pk_add_f32 v[0:1], v[0:1], v[2:3]
	v_cndmask_b32_e32 v6, v4, v6, vcc
	v_lshlrev_b32_e32 v6, 2, v6
	ds_bpermute_b32 v2, v6, v0
	ds_bpermute_b32 v3, v6, v1
	v_xor_b32_e32 v6, 4, v4
	;; [unrolled: 8-line block ×4, first 2 shown]
	v_cmp_lt_i32_e32 vcc, v6, v5
	s_waitcnt lgkmcnt(0)
	v_pk_add_f32 v[0:1], v[0:1], v[2:3]
	v_cndmask_b32_e32 v4, v4, v6, vcc
	v_lshlrev_b32_e32 v4, 2, v4
	ds_bpermute_b32 v2, v4, v0
	ds_bpermute_b32 v3, v4, v1
	v_add_u32_e32 v4, s2, v9
	v_cmp_gt_u32_e32 vcc, 2, v9
	v_cmp_gt_u32_e64 s[0:1], s4, v4
	s_and_b64 s[0:1], vcc, s[0:1]
	s_and_b64 exec, exec, s[0:1]
	s_cbranch_execz .LBB24_7
; %bb.6:
	v_cmp_eq_u32_e32 vcc, 1, v9
	s_mul_i32 s3, s3, s10
	v_mov_b32_e32 v4, s18
	s_waitcnt lgkmcnt(0)
	v_cndmask_b32_e32 v2, v2, v3, vcc
	v_cndmask_b32_e32 v0, v0, v1, vcc
	v_add_f32_e32 v2, v0, v2
	v_mul_lo_u32 v0, v8, s7
	v_or_b32_e32 v1, s2, v9
	v_mov_b32_e32 v5, s19
	v_add3_u32 v0, v1, v0, s3
	v_mov_b32_e32 v1, 0
	v_lshl_add_u64 v[0:1], v[0:1], 2, v[4:5]
	global_store_dword v[0:1], v2, off
.LBB24_7:
	s_endpgm
	.section	.rodata,"a",@progbits
	.p2align	6, 0x0
	.amdhsa_kernel _ZL17mul_mat_vec_q_moeIL9ggml_type3ELi2EEvPKvS2_PKiPfj15HIP_vector_typeIjLj3EEjjjjjjjjj
		.amdhsa_group_segment_fixed_size 0
		.amdhsa_private_segment_fixed_size 0
		.amdhsa_kernarg_size 84
		.amdhsa_user_sgpr_count 2
		.amdhsa_user_sgpr_dispatch_ptr 0
		.amdhsa_user_sgpr_queue_ptr 0
		.amdhsa_user_sgpr_kernarg_segment_ptr 1
		.amdhsa_user_sgpr_dispatch_id 0
		.amdhsa_user_sgpr_kernarg_preload_length 0
		.amdhsa_user_sgpr_kernarg_preload_offset 0
		.amdhsa_user_sgpr_private_segment_size 0
		.amdhsa_uses_dynamic_stack 0
		.amdhsa_enable_private_segment 0
		.amdhsa_system_sgpr_workgroup_id_x 1
		.amdhsa_system_sgpr_workgroup_id_y 1
		.amdhsa_system_sgpr_workgroup_id_z 0
		.amdhsa_system_sgpr_workgroup_info 0
		.amdhsa_system_vgpr_workitem_id 1
		.amdhsa_next_free_vgpr 32
		.amdhsa_next_free_sgpr 28
		.amdhsa_accum_offset 32
		.amdhsa_reserve_vcc 1
		.amdhsa_float_round_mode_32 0
		.amdhsa_float_round_mode_16_64 0
		.amdhsa_float_denorm_mode_32 3
		.amdhsa_float_denorm_mode_16_64 3
		.amdhsa_dx10_clamp 1
		.amdhsa_ieee_mode 1
		.amdhsa_fp16_overflow 0
		.amdhsa_tg_split 0
		.amdhsa_exception_fp_ieee_invalid_op 0
		.amdhsa_exception_fp_denorm_src 0
		.amdhsa_exception_fp_ieee_div_zero 0
		.amdhsa_exception_fp_ieee_overflow 0
		.amdhsa_exception_fp_ieee_underflow 0
		.amdhsa_exception_fp_ieee_inexact 0
		.amdhsa_exception_int_div_zero 0
	.end_amdhsa_kernel
	.section	.text._ZL17mul_mat_vec_q_moeIL9ggml_type3ELi2EEvPKvS2_PKiPfj15HIP_vector_typeIjLj3EEjjjjjjjjj,"axG",@progbits,_ZL17mul_mat_vec_q_moeIL9ggml_type3ELi2EEvPKvS2_PKiPfj15HIP_vector_typeIjLj3EEjjjjjjjjj,comdat
.Lfunc_end24:
	.size	_ZL17mul_mat_vec_q_moeIL9ggml_type3ELi2EEvPKvS2_PKiPfj15HIP_vector_typeIjLj3EEjjjjjjjjj, .Lfunc_end24-_ZL17mul_mat_vec_q_moeIL9ggml_type3ELi2EEvPKvS2_PKiPfj15HIP_vector_typeIjLj3EEjjjjjjjjj
                                        ; -- End function
	.section	.AMDGPU.csdata,"",@progbits
; Kernel info:
; codeLenInByte = 1028
; NumSgprs: 34
; NumVgprs: 32
; NumAgprs: 0
; TotalNumVgprs: 32
; ScratchSize: 0
; MemoryBound: 0
; FloatMode: 240
; IeeeMode: 1
; LDSByteSize: 0 bytes/workgroup (compile time only)
; SGPRBlocks: 4
; VGPRBlocks: 3
; NumSGPRsForWavesPerEU: 34
; NumVGPRsForWavesPerEU: 32
; AccumOffset: 32
; Occupancy: 8
; WaveLimiterHint : 1
; COMPUTE_PGM_RSRC2:SCRATCH_EN: 0
; COMPUTE_PGM_RSRC2:USER_SGPR: 2
; COMPUTE_PGM_RSRC2:TRAP_HANDLER: 0
; COMPUTE_PGM_RSRC2:TGID_X_EN: 1
; COMPUTE_PGM_RSRC2:TGID_Y_EN: 1
; COMPUTE_PGM_RSRC2:TGID_Z_EN: 0
; COMPUTE_PGM_RSRC2:TIDIG_COMP_CNT: 1
; COMPUTE_PGM_RSRC3_GFX90A:ACCUM_OFFSET: 7
; COMPUTE_PGM_RSRC3_GFX90A:TG_SPLIT: 0
	.section	.text._ZL13mul_mat_vec_qIL9ggml_type3ELi1ELb1ELb1EEvPKvS2_PKi31ggml_cuda_mm_fusion_args_devicePfj15HIP_vector_typeIjLj3EEjjjS8_jjjS8_jjjj,"axG",@progbits,_ZL13mul_mat_vec_qIL9ggml_type3ELi1ELb1ELb1EEvPKvS2_PKi31ggml_cuda_mm_fusion_args_devicePfj15HIP_vector_typeIjLj3EEjjjS8_jjjS8_jjjj,comdat
	.globl	_ZL13mul_mat_vec_qIL9ggml_type3ELi1ELb1ELb1EEvPKvS2_PKi31ggml_cuda_mm_fusion_args_devicePfj15HIP_vector_typeIjLj3EEjjjS8_jjjS8_jjjj ; -- Begin function _ZL13mul_mat_vec_qIL9ggml_type3ELi1ELb1ELb1EEvPKvS2_PKi31ggml_cuda_mm_fusion_args_devicePfj15HIP_vector_typeIjLj3EEjjjS8_jjjS8_jjjj
	.p2align	8
	.type	_ZL13mul_mat_vec_qIL9ggml_type3ELi1ELb1ELb1EEvPKvS2_PKi31ggml_cuda_mm_fusion_args_devicePfj15HIP_vector_typeIjLj3EEjjjS8_jjjS8_jjjj,@function
_ZL13mul_mat_vec_qIL9ggml_type3ELi1ELb1ELb1EEvPKvS2_PKi31ggml_cuda_mm_fusion_args_devicePfj15HIP_vector_typeIjLj3EEjjjS8_jjjS8_jjjj: ; @_ZL13mul_mat_vec_qIL9ggml_type3ELi1ELb1ELb1EEvPKvS2_PKi31ggml_cuda_mm_fusion_args_devicePfj15HIP_vector_typeIjLj3EEjjjS8_jjjS8_jjjj
; %bb.0:
	s_load_dwordx8 s[16:23], s[2:3], 0x0
	s_load_dwordx4 s[36:39], s[2:3], 0x20
	s_load_dwordx4 s[40:43], s[2:3], 0x40
	;; [unrolled: 1-line block ×3, first 2 shown]
	s_mov_b32 s14, s5
	s_waitcnt lgkmcnt(0)
	s_cmp_lg_u64 s[20:21], 0
	s_cselect_b64 s[8:9], -1, 0
	s_cmp_eq_u64 s[20:21], 0
	s_mov_b64 s[10:11], 0
	s_cbranch_scc1 .LBB25_5
; %bb.1:
	s_mov_b32 s15, 0
	s_lshl_b64 s[12:13], s[14:15], 2
	s_add_u32 s12, s20, s12
	s_addc_u32 s13, s21, s13
	s_load_dword s44, s[12:13], 0x0
	s_load_dword s33, s[2:3], 0x50
	;; [unrolled: 1-line block ×3, first 2 shown]
	s_andn2_b64 vcc, exec, s[10:11]
	s_cbranch_vccnz .LBB25_3
.LBB25_2:
	s_load_dwordx2 s[10:11], s[2:3], 0x5c
	s_waitcnt lgkmcnt(0)
	s_mul_hi_u32 s5, s10, s14
	s_add_i32 s5, s14, s5
	s_lshr_b32 s44, s5, s11
.LBB25_3:
	s_andn2_b64 vcc, exec, s[8:9]
	s_cbranch_vccnz .LBB25_6
; %bb.4:
	s_mul_hi_u32 s5, s41, s14
	s_add_i32 s5, s14, s5
	s_lshr_b32 s5, s5, s42
	s_mul_i32 s5, s5, s43
	s_sub_i32 s41, s14, s5
	s_waitcnt lgkmcnt(0)
	s_mov_b32 s15, s44
	s_branch .LBB25_7
.LBB25_5:
                                        ; implicit-def: $sgpr44
	s_load_dword s33, s[2:3], 0x50
	s_load_dword s45, s[2:3], 0x78
	s_branch .LBB25_2
.LBB25_6:
	s_mov_b32 s15, s14
	s_mov_b32 s41, s14
.LBB25_7:
	s_load_dword s7, s[2:3], 0x58
	s_load_dwordx4 s[28:31], s[2:3], 0x80
	s_lshl_b32 s20, s4, 1
	s_cmp_eq_u64 s[22:23], 0
	v_and_b32_e32 v14, 0x3ff, v0
	v_bfe_u32 v19, v0, 10, 10
	s_cselect_b64 s[8:9], -1, 0
	s_and_b64 vcc, exec, s[8:9]
	v_mov_b32_e32 v15, 0
	v_cmp_gt_u32_e64 s[4:5], 2, v14
	v_cmp_eq_u32_e64 s[10:11], 0, v19
	v_or_b32_e32 v1, s20, v14
	v_mov_b32_e32 v16, 0
	s_cbranch_vccnz .LBB25_11
; %bb.8:
	s_waitcnt lgkmcnt(0)
	v_cmp_gt_u32_e32 vcc, s7, v1
	s_and_b64 s[4:5], s[4:5], vcc
	s_mov_b32 s13, 0
	s_and_b64 s[10:11], s[4:5], s[10:11]
	v_mov_b32_e32 v16, 0
	s_and_saveexec_b64 s[4:5], s[10:11]
	s_cbranch_execz .LBB25_10
; %bb.9:
	s_mul_i32 s12, s6, s30
	s_lshl_b64 s[10:11], s[12:13], 2
	s_add_u32 s21, s22, s10
	s_mul_i32 s12, s15, s26
	s_addc_u32 s22, s23, s11
	s_lshl_b64 s[10:11], s[12:13], 2
	s_add_u32 s12, s21, s10
	s_addc_u32 s13, s22, s11
	s_ashr_i32 s21, s20, 31
	s_lshl_b64 s[10:11], s[20:21], 2
	s_add_u32 s10, s12, s10
	s_addc_u32 s11, s13, s11
	v_lshlrev_b32_e32 v2, 2, v14
	global_load_dword v16, v2, s[10:11]
.LBB25_10:
	s_or_b64 exec, exec, s[4:5]
.LBB25_11:
	s_cmp_lg_u64 s[36:37], 0
	s_cselect_b64 s[22:23], -1, 0
	s_cmp_lg_u64 s[38:39], 0
	s_cselect_b64 s[4:5], -1, 0
	s_and_b64 s[10:11], s[4:5], s[22:23]
	s_andn2_b64 vcc, exec, s[10:11]
	s_cbranch_vccnz .LBB25_15
; %bb.12:
	v_cmp_gt_u32_e32 vcc, 2, v14
	s_waitcnt lgkmcnt(0)
	v_cmp_gt_u32_e64 s[12:13], s7, v1
	v_cmp_eq_u32_e64 s[10:11], 0, v19
	s_and_b64 s[12:13], vcc, s[12:13]
	s_mov_b32 s35, 0
	s_and_b64 s[12:13], s[12:13], s[10:11]
	v_mov_b32_e32 v15, 0
	s_and_saveexec_b64 s[10:11], s[12:13]
	s_cbranch_execz .LBB25_14
; %bb.13:
	s_mul_i32 s34, s6, s30
	s_lshl_b64 s[12:13], s[34:35], 2
	s_add_u32 s21, s38, s12
	s_mul_i32 s34, s15, s26
	s_addc_u32 s31, s39, s13
	s_lshl_b64 s[12:13], s[34:35], 2
	s_add_u32 s15, s21, s12
	s_addc_u32 s31, s31, s13
	s_ashr_i32 s21, s20, 31
	s_lshl_b64 s[12:13], s[20:21], 2
	s_add_u32 s12, s15, s12
	s_addc_u32 s13, s31, s13
	v_lshlrev_b32_e32 v1, 2, v14
	global_load_dword v15, v1, s[12:13]
.LBB25_14:
	s_or_b64 exec, exec, s[10:11]
.LBB25_15:
	s_load_dwordx2 s[0:1], s[0:1], 0x4
	v_bfe_u32 v1, v0, 20, 10
	v_lshlrev_b32_e32 v0, 6, v19
	s_lshr_b32 s15, s40, 5
	v_mov_b32_e32 v22, 0
	s_waitcnt lgkmcnt(0)
	s_lshr_b32 s0, s0, 16
	v_mul_u32_u24_e32 v2, s1, v19
	s_mul_i32 s0, s0, s1
	v_mad_u32_u24 v2, s0, v14, v2
	v_add_lshl_u32 v1, v2, v1, 3
	v_add_u32_e32 v18, 0x800, v1
	v_add_u32_e32 v17, 0x400, v1
	v_add_u16_e32 v1, v0, v14
	v_lshrrev_b16_e32 v20, 1, v1
	v_cndmask_b32_e64 v1, 0, 1, s[22:23]
	v_cmp_gt_u32_e32 vcc, s15, v20
	v_cmp_ne_u32_e64 s[10:11], 1, v1
	v_mov_b32_e32 v24, 0
	v_mov_b32_e32 v23, 0
	;; [unrolled: 1-line block ×3, first 2 shown]
	ds_write2_b32 v18, v22, v22 offset1:1
	ds_write2_b32 v17, v22, v22 offset1:1
	s_and_saveexec_b64 s[0:1], vcc
	s_cbranch_execz .LBB25_23
; %bb.16:
	s_mul_hi_u32 s21, s27, s6
	s_add_i32 s21, s6, s21
	s_mul_i32 s12, s6, s29
	s_lshr_b32 s21, s21, s45
	s_mul_i32 s21, s21, s28
	s_mul_hi_u32 s28, s12, 36
	s_mul_i32 s12, s12, 36
	s_mul_i32 s13, s41, s25
	s_add_u32 s12, s18, s12
	s_mul_hi_u32 s27, s13, 36
	s_mul_i32 s13, s13, 36
	s_addc_u32 s18, s19, s28
	v_add_u32_e32 v2, v0, v14
	s_add_u32 s12, s12, s13
	v_lshrrev_b32_e32 v2, 1, v2
	s_addc_u32 s13, s18, s27
	v_mad_u64_u32 v[2:3], s[12:13], v2, 36, s[12:13]
	s_mul_i32 s24, s44, s24
	v_lshlrev_b32_e32 v0, 1, v14
	s_add_i32 s12, s20, 1
	v_and_b32_e32 v4, 2, v0
	v_mov_b32_e32 v1, 0
	s_mul_i32 s25, s20, s33
	v_and_b32_e32 v0, 1, v14
	s_add_i32 s24, s21, s24
	s_mul_i32 s33, s33, s12
	v_lshlrev_b32_e32 v0, 3, v0
	s_add_i32 s21, s24, s33
	s_add_i32 s24, s24, s25
	s_mov_b64 s[12:13], 0
	v_lshlrev_b32_e32 v4, 2, v4
	v_mov_b32_e32 v5, v1
	s_mov_b32 s25, 0.5
	s_mov_b64 s[18:19], 0x900
	v_mov_b32_e32 v21, v1
	v_mov_b32_e32 v23, v1
	;; [unrolled: 1-line block ×4, first 2 shown]
	s_branch .LBB25_18
.LBB25_17:                              ;   in Loop: Header=BB25_18 Depth=1
	s_waitcnt vmcnt(1)
	v_and_b32_e32 v28, 0xf0f0f0f, v12
	v_lshrrev_b32_e32 v12, 4, v12
	v_mov_b32_e32 v29, 0
	v_and_b32_e32 v12, 0xf0f0f0f, v12
	v_dot4c_i32_i8_e32 v29, v28, v8
	v_dot4c_i32_i8_e32 v29, v12, v6
	v_and_b32_e32 v12, 0xf0f0f0f, v13
	v_lshrrev_b32_e32 v13, 4, v13
	v_and_b32_e32 v13, 0xf0f0f0f, v13
	v_dot4c_i32_i8_e32 v29, v12, v9
	v_dot4c_i32_i8_e32 v29, v13, v7
	s_waitcnt vmcnt(0)
	v_pk_mul_f16 v12, v27, v25
	v_and_b32_e32 v28, 0xf0f0f0f, v10
	v_lshrrev_b32_e32 v10, 4, v10
	v_cvt_f32_i32_e32 v27, v29
	v_mov_b32_e32 v29, 0
	v_and_b32_e32 v10, 0xf0f0f0f, v10
	v_dot4c_i32_i8_e32 v29, v28, v8
	v_dot4c_i32_i8_e32 v29, v10, v6
	v_and_b32_e32 v6, 0xf0f0f0f, v11
	v_lshrrev_b32_e32 v8, 4, v11
	v_and_b32_e32 v8, 0xf0f0f0f, v8
	v_dot4c_i32_i8_e32 v29, v6, v9
	v_dot4c_i32_i8_e32 v29, v8, v7
	v_pk_mul_f16 v6, v26, v25
	v_cvt_f32_f16_e32 v13, v12
	v_cvt_f32_f16_e32 v7, v6
	v_cvt_f32_i32_e32 v8, v29
	v_add_u32_e32 v20, 64, v20
	v_mul_f32_e32 v9, v27, v13
	v_fma_mix_f32 v9, v12, s25, v9 op_sel:[1,0,0] op_sel_hi:[1,0,0]
	v_mul_f32_e32 v7, v8, v7
	v_fma_mix_f32 v6, v6, s25, v7 op_sel:[1,0,0] op_sel_hi:[1,0,0]
	v_cmp_le_u32_e32 vcc, s15, v20
	v_add_f32_e32 v23, v23, v9
	v_add_f32_e32 v22, v22, v6
	s_or_b64 s[12:13], vcc, s[12:13]
	v_lshl_add_u64 v[2:3], v[2:3], 0, s[18:19]
	s_andn2_b64 exec, exec, s[12:13]
	s_cbranch_execz .LBB25_22
.LBB25_18:                              ; =>This Inner Loop Header: Depth=1
	v_add_u32_e32 v12, s24, v20
	v_lshl_add_u64 v[10:11], v[2:3], 0, v[0:1]
	v_mad_i64_i32 v[28:29], s[28:29], v12, 20, s[16:17]
	global_load_dwordx2 v[8:9], v[10:11], off offset:4
	global_load_dwordx2 v[6:7], v[10:11], off offset:20
	global_load_dword v25, v[2:3], off
	v_lshl_add_u64 v[30:31], v[28:29], 0, v[4:5]
	global_load_dwordx2 v[10:11], v[30:31], off offset:4
	global_load_dword v26, v[28:29], off
	s_and_b64 vcc, exec, s[10:11]
	s_cbranch_vccnz .LBB25_20
; %bb.19:                               ;   in Loop: Header=BB25_18 Depth=1
	v_mad_i64_i32 v[12:13], s[28:29], v12, 20, s[36:37]
	v_lshl_add_u64 v[28:29], v[12:13], 0, v[4:5]
	global_load_dwordx2 v[30:31], v[28:29], off offset:4
	global_load_dword v27, v[12:13], off
	v_mov_b32_e32 v12, 0
	s_waitcnt vmcnt(1)
	v_and_b32_e32 v13, 0xf0f0f0f, v30
	v_lshrrev_b32_e32 v28, 4, v30
	v_and_b32_e32 v28, 0xf0f0f0f, v28
	v_dot4c_i32_i8_e32 v12, v13, v8
	v_and_b32_e32 v29, 0xf0f0f0f, v31
	v_lshrrev_b32_e32 v30, 4, v31
	v_dot4c_i32_i8_e32 v12, v28, v6
	v_and_b32_e32 v13, 0xf0f0f0f, v30
	v_dot4c_i32_i8_e32 v12, v29, v9
	s_waitcnt vmcnt(0)
	v_pk_mul_f16 v27, v25, v27
	v_dot4c_i32_i8_e32 v12, v13, v7
	v_cvt_f32_f16_e32 v13, v27
	s_nop 1
	v_cvt_f32_i32_e32 v12, v12
	v_mul_f32_e32 v12, v13, v12
	v_fma_mix_f32 v12, v27, s25, v12 op_sel:[1,0,0] op_sel_hi:[1,0,0]
	s_nop 0
	v_add_f32_e32 v24, v24, v12
.LBB25_20:                              ;   in Loop: Header=BB25_18 Depth=1
	v_add_u32_e32 v28, s21, v20
	v_mad_i64_i32 v[30:31], s[28:29], v28, 20, s[16:17]
	v_lshl_add_u64 v[32:33], v[30:31], 0, v[4:5]
	global_load_dwordx2 v[12:13], v[32:33], off offset:4
	global_load_dword v27, v[30:31], off
	s_and_b64 vcc, exec, s[10:11]
	s_cbranch_vccnz .LBB25_17
; %bb.21:                               ;   in Loop: Header=BB25_18 Depth=1
	v_mad_i64_i32 v[28:29], s[28:29], v28, 20, s[36:37]
	v_lshl_add_u64 v[30:31], v[28:29], 0, v[4:5]
	global_load_dwordx2 v[32:33], v[30:31], off offset:4
	global_load_dword v34, v[28:29], off
	v_mov_b32_e32 v28, 0
	s_waitcnt vmcnt(1)
	v_and_b32_e32 v29, 0xf0f0f0f, v32
	v_lshrrev_b32_e32 v30, 4, v32
	v_and_b32_e32 v30, 0xf0f0f0f, v30
	v_dot4c_i32_i8_e32 v28, v29, v8
	v_and_b32_e32 v31, 0xf0f0f0f, v33
	v_lshrrev_b32_e32 v32, 4, v33
	v_dot4c_i32_i8_e32 v28, v30, v6
	v_and_b32_e32 v29, 0xf0f0f0f, v32
	v_dot4c_i32_i8_e32 v28, v31, v9
	s_waitcnt vmcnt(0)
	v_pk_mul_f16 v33, v25, v34
	v_dot4c_i32_i8_e32 v28, v29, v7
	v_cvt_f32_f16_e32 v29, v33
	s_nop 1
	v_cvt_f32_i32_e32 v28, v28
	v_mul_f32_e32 v28, v29, v28
	v_fma_mix_f32 v28, v33, s25, v28 op_sel:[1,0,0] op_sel_hi:[1,0,0]
	s_nop 0
	v_add_f32_e32 v21, v21, v28
	s_branch .LBB25_17
.LBB25_22:
	s_or_b64 exec, exec, s[12:13]
	ds_write2_b32 v18, v22, v23 offset1:1
	ds_write2_b32 v17, v24, v21 offset1:1
.LBB25_23:
	s_or_b64 exec, exec, s[0:1]
	s_load_dword s15, s[2:3], 0x30
	s_mov_b32 s16, 0
	v_cmp_eq_u32_e64 s[0:1], 0, v19
	v_cmp_ne_u32_e32 vcc, 0, v19
	v_lshlrev_b32_e32 v0, 2, v14
	s_and_saveexec_b64 s[12:13], vcc
	s_cbranch_execz .LBB25_28
; %bb.24:
	v_add_u32_e32 v1, -1, v19
	v_lshl_or_b32 v2, v1, 9, v0
	s_and_b64 vcc, exec, s[22:23]
	ds_write_b32 v2, v22
	s_cbranch_vccz .LBB25_26
; %bb.25:
	s_movk_i32 s16, 0x200
	ds_write2st64_b32 v2, v23, v24 offset0:1 offset1:2
	s_branch .LBB25_27
.LBB25_26:
	v_mov_b32_e32 v21, v23
.LBB25_27:
	v_lshlrev_b32_e32 v1, 9, v1
	v_add3_u32 v1, s16, v1, v0
	ds_write_b32 v1, v21 offset:256
.LBB25_28:
	s_or_b64 exec, exec, s[12:13]
	s_waitcnt lgkmcnt(0)
	s_barrier
	s_and_saveexec_b64 s[12:13], s[0:1]
	s_cbranch_execz .LBB25_61
; %bb.29:
	ds_read_b32 v2, v0
	ds_read_b32 v3, v18
	s_and_b64 vcc, exec, s[10:11]
	s_cbranch_vccnz .LBB25_31
; %bb.30:
	ds_read_b32 v1, v0 offset:512
	ds_read_b32 v4, v17
	s_waitcnt lgkmcnt(0)
	v_add_f32_e32 v1, v1, v4
	ds_write_b32 v17, v1
.LBB25_31:
	v_mbcnt_lo_u32_b32 v1, -1, 0
	v_mbcnt_hi_u32_b32 v6, -1, v1
	v_and_b32_e32 v1, 64, v6
	v_add_u32_e32 v7, 64, v1
	v_xor_b32_e32 v1, 32, v6
	v_cmp_lt_i32_e32 vcc, v1, v7
	s_waitcnt lgkmcnt(0)
	v_add_f32_e32 v3, v2, v3
	v_xor_b32_e32 v2, 16, v6
	v_cndmask_b32_e32 v1, v6, v1, vcc
	v_lshlrev_b32_e32 v1, 2, v1
	ds_bpermute_b32 v4, v1, v3
	v_cmp_lt_i32_e32 vcc, v2, v7
	v_xor_b32_e32 v10, 1, v6
	s_waitcnt lgkmcnt(0)
	v_add_f32_e32 v4, v3, v4
	v_cndmask_b32_e32 v2, v6, v2, vcc
	v_lshlrev_b32_e32 v2, 2, v2
	ds_bpermute_b32 v5, v2, v4
	v_xor_b32_e32 v3, 8, v6
	v_cmp_lt_i32_e32 vcc, v3, v7
	s_waitcnt lgkmcnt(0)
	v_add_f32_e32 v5, v4, v5
	v_cndmask_b32_e32 v3, v6, v3, vcc
	v_lshlrev_b32_e32 v3, 2, v3
	ds_bpermute_b32 v8, v3, v5
	v_xor_b32_e32 v4, 4, v6
	v_cmp_lt_i32_e32 vcc, v4, v7
	;; [unrolled: 7-line block ×3, first 2 shown]
	s_waitcnt lgkmcnt(0)
	v_add_f32_e32 v8, v8, v9
	v_cndmask_b32_e32 v5, v6, v5, vcc
	v_lshlrev_b32_e32 v5, 2, v5
	ds_bpermute_b32 v9, v5, v8
	v_cmp_lt_i32_e32 vcc, v10, v7
	s_waitcnt lgkmcnt(0)
	v_add_f32_e32 v7, v8, v9
	v_cndmask_b32_e32 v6, v6, v10, vcc
	v_lshlrev_b32_e32 v6, 2, v6
	ds_bpermute_b32 v8, v6, v7
	s_and_b64 vcc, exec, s[10:11]
	s_waitcnt lgkmcnt(0)
	v_add_f32_e32 v7, v7, v8
	ds_write_b32 v18, v7
	s_cbranch_vccnz .LBB25_33
; %bb.32:
	ds_read_b32 v7, v17
	s_waitcnt lgkmcnt(0)
	ds_bpermute_b32 v8, v1, v7
	s_waitcnt lgkmcnt(0)
	v_add_f32_e32 v7, v7, v8
	ds_bpermute_b32 v8, v2, v7
	s_waitcnt lgkmcnt(0)
	v_add_f32_e32 v7, v7, v8
	;; [unrolled: 3-line block ×6, first 2 shown]
	ds_write_b32 v17, v7
.LBB25_33:
	ds_read_b32 v7, v0 offset:256
	ds_read_b32 v8, v18 offset:4
	s_and_b64 vcc, exec, s[10:11]
	s_cbranch_vccnz .LBB25_35
; %bb.34:
	ds_read_b32 v9, v0 offset:768
	ds_read_b32 v10, v17 offset:4
	s_waitcnt lgkmcnt(0)
	v_add_f32_e32 v9, v9, v10
	ds_write_b32 v17, v9 offset:4
.LBB25_35:
	s_waitcnt lgkmcnt(0)
	v_add_f32_e32 v7, v7, v8
	ds_bpermute_b32 v8, v1, v7
	s_and_b64 vcc, exec, s[10:11]
	s_waitcnt lgkmcnt(0)
	v_add_f32_e32 v7, v7, v8
	ds_bpermute_b32 v8, v2, v7
	s_waitcnt lgkmcnt(0)
	v_add_f32_e32 v7, v7, v8
	ds_bpermute_b32 v8, v3, v7
	;; [unrolled: 3-line block ×5, first 2 shown]
	s_waitcnt lgkmcnt(0)
	v_add_f32_e32 v7, v7, v8
	ds_write_b32 v18, v7 offset:4
	s_cbranch_vccnz .LBB25_37
; %bb.36:
	ds_read_b32 v7, v17 offset:4
	s_waitcnt lgkmcnt(0)
	ds_bpermute_b32 v1, v1, v7
	s_waitcnt lgkmcnt(0)
	v_add_f32_e32 v1, v7, v1
	ds_bpermute_b32 v2, v2, v1
	s_waitcnt lgkmcnt(0)
	v_add_f32_e32 v1, v1, v2
	;; [unrolled: 3-line block ×6, first 2 shown]
	ds_write_b32 v17, v1 offset:4
.LBB25_37:
	v_add_u32_e32 v1, s20, v14
	v_cmp_gt_u32_e32 vcc, 2, v14
	v_cmp_gt_u32_e64 s[0:1], s7, v1
	s_and_b64 s[0:1], vcc, s[0:1]
	s_and_b64 exec, exec, s[0:1]
	s_cbranch_execz .LBB25_61
; %bb.38:
	v_lshl_add_u32 v1, v14, 2, v18
	ds_read_b32 v1, v1
	s_and_b64 vcc, exec, s[10:11]
	s_waitcnt vmcnt(0) lgkmcnt(0)
	v_add_f32_e32 v2, v16, v1
	v_cndmask_b32_e64 v1, v2, v1, s[8:9]
	s_cbranch_vccnz .LBB25_60
; %bb.39:
	v_lshl_add_u32 v2, v14, 2, v17
	ds_read_b32 v2, v2
	s_cmp_lt_i32 s15, 2
	s_mov_b64 s[0:1], 0
	s_waitcnt lgkmcnt(0)
	v_add_f32_e32 v3, v15, v2
	v_cndmask_b32_e64 v2, v2, v3, s[4:5]
	s_cbranch_scc1 .LBB25_43
; %bb.40:
	s_cmp_gt_i32 s15, 2
	s_cbranch_scc0 .LBB25_44
; %bb.41:
	s_cmp_eq_u32 s15, 3
	s_cbranch_scc0 .LBB25_45
; %bb.42:
	v_max_f32_e32 v3, v2, v2
	v_min_f32_e32 v3, 0x40e00000, v3
	v_mul_f32_e32 v5, 0xbfd9db23, v3
	s_mov_b32 s4, 0x3fb8aa3b
	v_mul_f32_e32 v4, 0x3fb8aa3b, v5
	v_fma_f32 v6, v5, s4, -v4
	v_rndne_f32_e32 v7, v4
	v_fmamk_f32 v6, v5, 0x32a5705f, v6
	v_sub_f32_e32 v4, v4, v7
	v_add_f32_e32 v4, v4, v6
	v_exp_f32_e32 v6, v4
	v_cvt_i32_f32_e32 v7, v7
	s_mov_b32 s4, 0xc2ce8ed0
	v_max_f32_e32 v4, v1, v1
	v_cmp_ngt_f32_e32 vcc, s4, v5
	v_ldexp_f32 v6, v6, v7
	s_mov_b32 s4, 0x42b17218
	v_min_f32_e32 v4, 0x40e00000, v4
	v_cndmask_b32_e32 v6, 0, v6, vcc
	v_mov_b32_e32 v7, 0x7f800000
	v_cmp_nlt_f32_e32 vcc, s4, v5
	v_max_f32_e32 v4, 0xc0e00000, v4
	s_nop 0
	v_cndmask_b32_e32 v5, v7, v6, vcc
	v_pk_add_f32 v[4:5], v[4:5], 1.0 op_sel_hi:[1,0]
	s_nop 0
	v_div_scale_f32 v6, s[4:5], v5, v5, v3
	v_rcp_f32_e32 v7, v6
	s_mov_b64 s[4:5], 0
	v_fma_f32 v8, -v6, v7, 1.0
	v_fmac_f32_e32 v7, v8, v7
	v_div_scale_f32 v8, vcc, v3, v5, v3
	v_mul_f32_e32 v9, v8, v7
	v_fma_f32 v10, -v6, v9, v8
	v_fmac_f32_e32 v9, v10, v7
	v_fma_f32 v6, -v6, v9, v8
	v_div_fmas_f32 v6, v6, v7, v9
	v_div_fixup_f32 v3, v6, v5, v3
	v_mul_f32_e32 v3, v4, v3
	s_branch .LBB25_46
.LBB25_43:
                                        ; implicit-def: $vgpr3
	s_mov_b64 s[4:5], 0
	s_cbranch_execnz .LBB25_50
	s_branch .LBB25_51
.LBB25_44:
	s_mov_b64 s[8:9], -1
	s_mov_b64 s[4:5], 0
                                        ; implicit-def: $vgpr3
	s_branch .LBB25_47
.LBB25_45:
	s_mov_b64 s[4:5], -1
                                        ; implicit-def: $vgpr3
.LBB25_46:
	s_mov_b64 s[8:9], 0
.LBB25_47:
	s_and_b64 vcc, exec, s[8:9]
	s_cbranch_vccz .LBB25_49
; %bb.48:
	v_mul_f32_e32 v3, 0xbfb8aa3b, v2
	s_mov_b32 s7, 0xbfb8aa3b
	v_rndne_f32_e32 v4, v3
	v_sub_f32_e32 v5, v3, v4
	v_fma_f32 v3, v2, s7, -v3
	v_fmamk_f32 v3, v2, 0xb2a5705f, v3
	v_add_f32_e32 v3, v5, v3
	v_exp_f32_e32 v3, v3
	v_cvt_i32_f32_e32 v4, v4
	s_mov_b32 s7, 0x42ce8ed0
	v_cmp_nlt_f32_e32 vcc, s7, v2
	s_mov_b32 s7, 0xc2b17218
	v_ldexp_f32 v3, v3, v4
	v_cndmask_b32_e32 v3, 0, v3, vcc
	v_mov_b32_e32 v4, 0x7f800000
	v_cmp_ngt_f32_e32 vcc, s7, v2
	s_nop 1
	v_cndmask_b32_e32 v3, v4, v3, vcc
	v_add_f32_e32 v3, 1.0, v3
	v_div_scale_f32 v4, s[8:9], v3, v3, v2
	v_rcp_f32_e32 v5, v4
	s_nop 0
	v_fma_f32 v6, -v4, v5, 1.0
	v_fmac_f32_e32 v5, v6, v5
	v_div_scale_f32 v6, vcc, v2, v3, v2
	v_mul_f32_e32 v7, v6, v5
	v_fma_f32 v8, -v4, v7, v6
	v_fmac_f32_e32 v7, v8, v5
	v_fma_f32 v4, -v4, v7, v6
	v_div_fmas_f32 v4, v4, v5, v7
	v_div_fixup_f32 v3, v4, v3, v2
	v_mul_f32_e32 v3, v1, v3
.LBB25_49:
	s_branch .LBB25_51
.LBB25_50:
	s_cmp_lg_u32 s15, 1
	s_mov_b64 s[0:1], -1
	s_cselect_b64 s[4:5], -1, 0
                                        ; implicit-def: $vgpr3
.LBB25_51:
	s_andn2_b64 vcc, exec, s[4:5]
	s_cbranch_vccz .LBB25_53
; %bb.52:
	s_andn2_b64 vcc, exec, s[0:1]
	s_cbranch_vccz .LBB25_54
	s_branch .LBB25_59
.LBB25_53:
	v_mul_f32_e32 v3, v1, v2
	s_cbranch_execnz .LBB25_59
.LBB25_54:
	v_mul_f32_e32 v4, 0x3d372713, v2
	v_mul_f32_e32 v3, 0x3f4c422a, v2
	v_fma_f32 v4, v2, v4, 1.0
	v_mul_f32_e32 v3, v3, v4
	s_mov_b32 s0, 0x3f200000
	v_cmp_nlt_f32_e64 s[0:1], |v3|, s0
                                        ; implicit-def: $vgpr4
	s_and_saveexec_b64 s[4:5], s[0:1]
	s_xor_b64 s[0:1], exec, s[4:5]
	s_cbranch_execz .LBB25_56
; %bb.55:
	v_add_f32_e64 v4, |v3|, |v3|
	v_mul_f32_e32 v5, 0x3fb8aa3b, v4
	s_mov_b32 s4, 0x3fb8aa3b
	v_rndne_f32_e32 v6, v5
	v_sub_f32_e32 v7, v5, v6
	v_fma_f32 v5, v4, s4, -v5
	v_fmamk_f32 v5, v4, 0x32a5705f, v5
	v_add_f32_e32 v5, v7, v5
	v_exp_f32_e32 v5, v5
	v_cvt_i32_f32_e32 v6, v6
	s_mov_b32 s4, 0xc2ce8ed0
	v_cmp_ngt_f32_e32 vcc, s4, v4
	s_mov_b32 s4, 0x42b17218
	v_ldexp_f32 v5, v5, v6
	v_cndmask_b32_e32 v5, 0, v5, vcc
	v_mov_b32_e32 v6, 0x7f800000
	v_cmp_nlt_f32_e32 vcc, s4, v4
	s_nop 1
	v_cndmask_b32_e32 v4, v6, v5, vcc
	v_add_f32_e32 v4, 1.0, v4
	v_rcp_f32_e32 v4, v4
	s_nop 0
	v_fma_f32 v4, v4, -2.0, 1.0
.LBB25_56:
	s_andn2_saveexec_b64 s[0:1], s[0:1]
; %bb.57:
	v_mul_f32_e32 v4, v3, v3
	v_mov_b32_e32 v5, 0x3ca908c9
	v_fmac_f32_e32 v5, 0xbbbac73d, v4
	v_fmaak_f32 v5, v4, v5, 0xbd5c1c4e
	v_fmaak_f32 v5, v4, v5, 0x3e088382
	;; [unrolled: 1-line block ×3, first 2 shown]
	v_mul_f32_e64 v5, |v3|, v5
	v_fma_f32 v4, v4, v5, |v3|
; %bb.58:
	s_or_b64 exec, exec, s[0:1]
	s_brev_b32 s0, -2
	v_bfi_b32 v3, s0, v4, v3
	v_mul_f32_e32 v2, 0.5, v2
	v_add_f32_e32 v3, 1.0, v3
	v_mul_f32_e32 v2, v2, v3
	v_mul_f32_e32 v3, v1, v2
.LBB25_59:
	v_mov_b32_e32 v1, v3
.LBB25_60:
	s_load_dwordx2 s[0:1], s[2:3], 0x38
	s_mul_i32 s4, s14, s26
	s_mul_i32 s6, s6, s30
	s_add_i32 s2, s4, s20
	s_add_i32 s2, s2, s6
	s_mov_b32 s3, 0
	s_lshl_b64 s[2:3], s[2:3], 2
	s_waitcnt lgkmcnt(0)
	s_add_u32 s0, s0, s2
	s_addc_u32 s1, s1, s3
	global_store_dword v0, v1, s[0:1]
.LBB25_61:
	s_endpgm
	.section	.rodata,"a",@progbits
	.p2align	6, 0x0
	.amdhsa_kernel _ZL13mul_mat_vec_qIL9ggml_type3ELi1ELb1ELb1EEvPKvS2_PKi31ggml_cuda_mm_fusion_args_devicePfj15HIP_vector_typeIjLj3EEjjjS8_jjjS8_jjjj
		.amdhsa_group_segment_fixed_size 3072
		.amdhsa_private_segment_fixed_size 0
		.amdhsa_kernarg_size 144
		.amdhsa_user_sgpr_count 4
		.amdhsa_user_sgpr_dispatch_ptr 1
		.amdhsa_user_sgpr_queue_ptr 0
		.amdhsa_user_sgpr_kernarg_segment_ptr 1
		.amdhsa_user_sgpr_dispatch_id 0
		.amdhsa_user_sgpr_kernarg_preload_length 0
		.amdhsa_user_sgpr_kernarg_preload_offset 0
		.amdhsa_user_sgpr_private_segment_size 0
		.amdhsa_uses_dynamic_stack 0
		.amdhsa_enable_private_segment 0
		.amdhsa_system_sgpr_workgroup_id_x 1
		.amdhsa_system_sgpr_workgroup_id_y 1
		.amdhsa_system_sgpr_workgroup_id_z 1
		.amdhsa_system_sgpr_workgroup_info 0
		.amdhsa_system_vgpr_workitem_id 2
		.amdhsa_next_free_vgpr 35
		.amdhsa_next_free_sgpr 46
		.amdhsa_accum_offset 36
		.amdhsa_reserve_vcc 1
		.amdhsa_float_round_mode_32 0
		.amdhsa_float_round_mode_16_64 0
		.amdhsa_float_denorm_mode_32 3
		.amdhsa_float_denorm_mode_16_64 3
		.amdhsa_dx10_clamp 1
		.amdhsa_ieee_mode 1
		.amdhsa_fp16_overflow 0
		.amdhsa_tg_split 0
		.amdhsa_exception_fp_ieee_invalid_op 0
		.amdhsa_exception_fp_denorm_src 0
		.amdhsa_exception_fp_ieee_div_zero 0
		.amdhsa_exception_fp_ieee_overflow 0
		.amdhsa_exception_fp_ieee_underflow 0
		.amdhsa_exception_fp_ieee_inexact 0
		.amdhsa_exception_int_div_zero 0
	.end_amdhsa_kernel
	.section	.text._ZL13mul_mat_vec_qIL9ggml_type3ELi1ELb1ELb1EEvPKvS2_PKi31ggml_cuda_mm_fusion_args_devicePfj15HIP_vector_typeIjLj3EEjjjS8_jjjS8_jjjj,"axG",@progbits,_ZL13mul_mat_vec_qIL9ggml_type3ELi1ELb1ELb1EEvPKvS2_PKi31ggml_cuda_mm_fusion_args_devicePfj15HIP_vector_typeIjLj3EEjjjS8_jjjS8_jjjj,comdat
.Lfunc_end25:
	.size	_ZL13mul_mat_vec_qIL9ggml_type3ELi1ELb1ELb1EEvPKvS2_PKi31ggml_cuda_mm_fusion_args_devicePfj15HIP_vector_typeIjLj3EEjjjS8_jjjS8_jjjj, .Lfunc_end25-_ZL13mul_mat_vec_qIL9ggml_type3ELi1ELb1ELb1EEvPKvS2_PKi31ggml_cuda_mm_fusion_args_devicePfj15HIP_vector_typeIjLj3EEjjjS8_jjjS8_jjjj
                                        ; -- End function
	.section	.AMDGPU.csdata,"",@progbits
; Kernel info:
; codeLenInByte = 3280
; NumSgprs: 52
; NumVgprs: 35
; NumAgprs: 0
; TotalNumVgprs: 35
; ScratchSize: 0
; MemoryBound: 0
; FloatMode: 240
; IeeeMode: 1
; LDSByteSize: 3072 bytes/workgroup (compile time only)
; SGPRBlocks: 6
; VGPRBlocks: 4
; NumSGPRsForWavesPerEU: 52
; NumVGPRsForWavesPerEU: 35
; AccumOffset: 36
; Occupancy: 8
; WaveLimiterHint : 0
; COMPUTE_PGM_RSRC2:SCRATCH_EN: 0
; COMPUTE_PGM_RSRC2:USER_SGPR: 4
; COMPUTE_PGM_RSRC2:TRAP_HANDLER: 0
; COMPUTE_PGM_RSRC2:TGID_X_EN: 1
; COMPUTE_PGM_RSRC2:TGID_Y_EN: 1
; COMPUTE_PGM_RSRC2:TGID_Z_EN: 1
; COMPUTE_PGM_RSRC2:TIDIG_COMP_CNT: 2
; COMPUTE_PGM_RSRC3_GFX90A:ACCUM_OFFSET: 8
; COMPUTE_PGM_RSRC3_GFX90A:TG_SPLIT: 0
	.section	.text._ZL13mul_mat_vec_qIL9ggml_type3ELi1ELb0ELb1EEvPKvS2_PKi31ggml_cuda_mm_fusion_args_devicePfj15HIP_vector_typeIjLj3EEjjjS8_jjjS8_jjjj,"axG",@progbits,_ZL13mul_mat_vec_qIL9ggml_type3ELi1ELb0ELb1EEvPKvS2_PKi31ggml_cuda_mm_fusion_args_devicePfj15HIP_vector_typeIjLj3EEjjjS8_jjjS8_jjjj,comdat
	.globl	_ZL13mul_mat_vec_qIL9ggml_type3ELi1ELb0ELb1EEvPKvS2_PKi31ggml_cuda_mm_fusion_args_devicePfj15HIP_vector_typeIjLj3EEjjjS8_jjjS8_jjjj ; -- Begin function _ZL13mul_mat_vec_qIL9ggml_type3ELi1ELb0ELb1EEvPKvS2_PKi31ggml_cuda_mm_fusion_args_devicePfj15HIP_vector_typeIjLj3EEjjjS8_jjjS8_jjjj
	.p2align	8
	.type	_ZL13mul_mat_vec_qIL9ggml_type3ELi1ELb0ELb1EEvPKvS2_PKi31ggml_cuda_mm_fusion_args_devicePfj15HIP_vector_typeIjLj3EEjjjS8_jjjS8_jjjj,@function
_ZL13mul_mat_vec_qIL9ggml_type3ELi1ELb0ELb1EEvPKvS2_PKi31ggml_cuda_mm_fusion_args_devicePfj15HIP_vector_typeIjLj3EEjjjS8_jjjS8_jjjj: ; @_ZL13mul_mat_vec_qIL9ggml_type3ELi1ELb0ELb1EEvPKvS2_PKi31ggml_cuda_mm_fusion_args_devicePfj15HIP_vector_typeIjLj3EEjjjS8_jjjS8_jjjj
; %bb.0:
	s_load_dwordx2 s[8:9], s[2:3], 0x10
	s_load_dwordx4 s[16:19], s[2:3], 0x40
	s_mov_b32 s20, s5
	s_mov_b64 s[14:15], 0
	s_waitcnt lgkmcnt(0)
	s_cmp_lg_u64 s[8:9], 0
	s_cselect_b64 s[12:13], -1, 0
	s_cmp_eq_u64 s[8:9], 0
	s_cbranch_scc1 .LBB26_5
; %bb.1:
	s_mov_b32 s21, 0
	s_lshl_b64 s[10:11], s[20:21], 2
	s_add_u32 s8, s8, s10
	s_addc_u32 s9, s9, s11
	s_load_dword s21, s[8:9], 0x0
	s_nop 0
	s_load_dwordx4 s[8:11], s[2:3], 0x68
	s_load_dword s5, s[2:3], 0x50
	s_andn2_b64 vcc, exec, s[14:15]
	s_cbranch_vccnz .LBB26_3
.LBB26_2:
	s_load_dwordx2 s[14:15], s[2:3], 0x5c
	s_waitcnt lgkmcnt(0)
	s_mul_hi_u32 s7, s14, s20
	s_add_i32 s7, s20, s7
	s_lshr_b32 s21, s7, s15
.LBB26_3:
	s_load_dword s22, s[2:3], 0x78
	s_andn2_b64 vcc, exec, s[12:13]
	s_cbranch_vccnz .LBB26_6
; %bb.4:
	s_mul_hi_u32 s7, s17, s20
	s_add_i32 s7, s20, s7
	s_lshr_b32 s7, s7, s18
	s_mul_i32 s7, s7, s19
	s_sub_i32 s23, s20, s7
	s_branch .LBB26_7
.LBB26_5:
                                        ; implicit-def: $sgpr21
	s_load_dwordx4 s[8:11], s[2:3], 0x68
	s_load_dword s5, s[2:3], 0x50
	s_branch .LBB26_2
.LBB26_6:
	s_mov_b32 s23, s20
.LBB26_7:
	s_load_dwordx2 s[18:19], s[0:1], 0x4
	s_load_dwordx4 s[12:15], s[2:3], 0x80
	v_bfe_u32 v8, v0, 10, 10
	v_and_b32_e32 v7, 0x3ff, v0
	v_bfe_u32 v0, v0, 20, 10
	s_waitcnt lgkmcnt(0)
	s_lshr_b32 s0, s18, 16
	v_mul_u32_u24_e32 v1, s19, v8
	s_mul_i32 s0, s0, s19
	v_mad_u32_u24 v1, s0, v7, v1
	v_add_lshl_u32 v1, v1, v0, 3
	v_lshlrev_b32_e32 v0, 6, v8
	v_mov_b32_e32 v10, 0
	v_add_u32_e32 v6, 0x200, v1
	ds_write2_b32 v1, v10, v10 offset0:128 offset1:129
	v_add_u16_e32 v1, v0, v7
	s_lshr_b32 s15, s16, 5
	v_lshrrev_b16_e32 v9, 1, v1
	s_lshl_b32 s7, s4, 1
	v_cmp_gt_u32_e32 vcc, s15, v9
	v_mov_b32_e32 v11, 0
	s_and_saveexec_b64 s[0:1], vcc
	s_cbranch_execz .LBB26_11
; %bb.8:
	s_load_dwordx4 s[16:19], s[2:3], 0x0
	s_mul_i32 s4, s6, s13
	s_mul_i32 s13, s21, s8
	s_mul_hi_u32 s8, s11, s6
	s_add_i32 s8, s6, s8
	s_lshr_b32 s8, s8, s22
	s_mul_i32 s11, s8, s12
	s_mul_hi_u32 s8, s4, 36
	s_mul_i32 s4, s4, 36
	s_mul_i32 s9, s23, s9
	s_waitcnt lgkmcnt(0)
	s_add_u32 s4, s18, s4
	s_mul_hi_u32 s21, s9, 36
	s_mul_i32 s9, s9, 36
	s_addc_u32 s18, s19, s8
	v_add_u32_e32 v2, v0, v7
	s_add_u32 s8, s4, s9
	v_lshrrev_b32_e32 v2, 1, v2
	s_addc_u32 s9, s18, s21
	v_mad_u64_u32 v[2:3], s[8:9], v2, 36, s[8:9]
	v_lshlrev_b32_e32 v0, 1, v7
	s_add_i32 s8, s7, 1
	v_and_b32_e32 v4, 2, v0
	v_mov_b32_e32 v1, 0
	s_mul_i32 s12, s7, s5
	v_and_b32_e32 v0, 1, v7
	s_add_i32 s4, s11, s13
	s_mul_i32 s5, s5, s8
	v_lshlrev_b32_e32 v0, 3, v0
	s_add_i32 s11, s4, s5
	s_add_i32 s12, s4, s12
	s_mov_b64 s[4:5], 0
	v_lshlrev_b32_e32 v4, 2, v4
	v_mov_b32_e32 v5, v1
	s_mov_b32 s13, 0.5
	s_mov_b64 s[8:9], 0x900
	v_mov_b32_e32 v11, v1
	v_mov_b32_e32 v10, v1
.LBB26_9:                               ; =>This Inner Loop Header: Depth=1
	v_lshl_add_u64 v[12:13], v[2:3], 0, v[0:1]
	v_add_u32_e32 v18, s12, v9
	global_load_dword v28, v[2:3], off
	v_add_u32_e32 v19, s11, v9
	global_load_dwordx2 v[14:15], v[12:13], off offset:4
	global_load_dwordx2 v[16:17], v[12:13], off offset:20
	v_mad_i64_i32 v[12:13], s[18:19], v18, 20, s[16:17]
	v_mad_i64_i32 v[18:19], s[18:19], v19, 20, s[16:17]
	v_lshl_add_u64 v[20:21], v[12:13], 0, v[4:5]
	v_lshl_add_u64 v[22:23], v[18:19], 0, v[4:5]
	global_load_dwordx2 v[24:25], v[20:21], off offset:4
	global_load_dwordx2 v[26:27], v[22:23], off offset:4
	global_load_dword v29, v[18:19], off
	global_load_dword v30, v[12:13], off
	v_mov_b32_e32 v12, 0
	v_mov_b32_e32 v13, 0
	v_add_u32_e32 v9, 64, v9
	v_cmp_le_u32_e32 vcc, s15, v9
	v_lshl_add_u64 v[2:3], v[2:3], 0, s[8:9]
	s_or_b64 s[4:5], vcc, s[4:5]
	s_waitcnt vmcnt(3)
	v_and_b32_e32 v18, 0xf0f0f0f, v24
	v_lshrrev_b32_e32 v19, 4, v24
	s_waitcnt vmcnt(2)
	v_and_b32_e32 v23, 0xf0f0f0f, v26
	v_lshrrev_b32_e32 v24, 4, v26
	v_and_b32_e32 v19, 0xf0f0f0f, v19
	v_dot4c_i32_i8_e32 v12, v18, v14
	v_and_b32_e32 v24, 0xf0f0f0f, v24
	v_dot4c_i32_i8_e32 v13, v23, v14
	v_and_b32_e32 v20, 0xf0f0f0f, v25
	v_lshrrev_b32_e32 v21, 4, v25
	v_and_b32_e32 v25, 0xf0f0f0f, v27
	v_lshrrev_b32_e32 v26, 4, v27
	v_dot4c_i32_i8_e32 v12, v19, v16
	v_dot4c_i32_i8_e32 v13, v24, v16
	v_and_b32_e32 v18, 0xf0f0f0f, v21
	v_and_b32_e32 v14, 0xf0f0f0f, v26
	v_dot4c_i32_i8_e32 v12, v20, v15
	v_dot4c_i32_i8_e32 v13, v25, v15
	s_waitcnt vmcnt(0)
	v_pk_mul_f16 v22, v30, v28
	v_pk_mul_f16 v27, v29, v28
	v_dot4c_i32_i8_e32 v12, v18, v17
	v_dot4c_i32_i8_e32 v13, v14, v17
	v_cvt_f32_f16_e32 v21, v22
	v_cvt_f32_f16_e32 v23, v27
	v_cvt_f32_i32_e32 v12, v12
	v_cvt_f32_i32_e32 v13, v13
	v_mul_f32_e32 v12, v12, v21
	v_mul_f32_e32 v13, v13, v23
	v_fma_mix_f32 v12, v22, s13, v12 op_sel:[1,0,0] op_sel_hi:[1,0,0]
	v_fma_mix_f32 v13, v27, s13, v13 op_sel:[1,0,0] op_sel_hi:[1,0,0]
	v_add_f32_e32 v10, v10, v12
	v_add_f32_e32 v11, v11, v13
	s_andn2_b64 exec, exec, s[4:5]
	s_cbranch_execnz .LBB26_9
; %bb.10:
	s_or_b64 exec, exec, s[4:5]
	ds_write2_b32 v6, v10, v11 offset1:1
.LBB26_11:
	s_or_b64 exec, exec, s[0:1]
	v_cmp_eq_u32_e32 vcc, 0, v8
	v_cmp_ne_u32_e64 s[0:1], 0, v8
	v_lshlrev_b32_e32 v0, 2, v7
	s_and_saveexec_b64 s[4:5], s[0:1]
	s_cbranch_execz .LBB26_13
; %bb.12:
	v_lshl_or_b32 v1, v8, 9, v0
	v_add_u32_e32 v1, 0xfffffe00, v1
	ds_write2st64_b32 v1, v10, v11 offset1:1
.LBB26_13:
	s_or_b64 exec, exec, s[4:5]
	s_waitcnt lgkmcnt(0)
	s_barrier
	s_and_saveexec_b64 s[0:1], vcc
	s_cbranch_execz .LBB26_16
; %bb.14:
	v_mbcnt_lo_u32_b32 v1, -1, 0
	v_mbcnt_hi_u32_b32 v1, -1, v1
	v_and_b32_e32 v2, 64, v1
	v_add_u32_e32 v8, 64, v2
	ds_read2st64_b32 v[2:3], v0 offset1:1
	ds_read2_b32 v[4:5], v6 offset1:1
	v_xor_b32_e32 v9, 32, v1
	v_cmp_lt_i32_e32 vcc, v9, v8
	s_load_dword s0, s[2:3], 0x58
	s_mov_b32 s5, 0
	v_cndmask_b32_e32 v9, v1, v9, vcc
	v_lshlrev_b32_e32 v9, 2, v9
	s_waitcnt lgkmcnt(0)
	v_pk_add_f32 v[2:3], v[2:3], v[4:5]
	ds_bpermute_b32 v4, v9, v2
	ds_bpermute_b32 v5, v9, v3
	v_xor_b32_e32 v9, 16, v1
	v_cmp_lt_i32_e32 vcc, v9, v8
	s_waitcnt lgkmcnt(0)
	v_pk_add_f32 v[2:3], v[2:3], v[4:5]
	v_cndmask_b32_e32 v9, v1, v9, vcc
	v_lshlrev_b32_e32 v9, 2, v9
	ds_bpermute_b32 v4, v9, v2
	ds_bpermute_b32 v5, v9, v3
	v_xor_b32_e32 v9, 8, v1
	v_cmp_lt_i32_e32 vcc, v9, v8
	s_waitcnt lgkmcnt(0)
	v_pk_add_f32 v[2:3], v[2:3], v[4:5]
	v_cndmask_b32_e32 v9, v1, v9, vcc
	v_lshlrev_b32_e32 v9, 2, v9
	;; [unrolled: 8-line block ×5, first 2 shown]
	ds_bpermute_b32 v4, v1, v2
	ds_bpermute_b32 v5, v1, v3
	v_or_b32_e32 v1, s7, v7
	v_cmp_gt_u32_e32 vcc, 2, v7
	v_cmp_gt_u32_e64 s[0:1], s0, v1
	s_and_b64 s[0:1], vcc, s[0:1]
	s_waitcnt lgkmcnt(0)
	v_pk_add_f32 v[2:3], v[2:3], v[4:5]
	ds_write2_b32 v6, v2, v3 offset1:1
	s_and_b64 exec, exec, s[0:1]
	s_cbranch_execz .LBB26_16
; %bb.15:
	s_load_dwordx2 s[0:1], s[2:3], 0x38
	s_mul_i32 s2, s20, s10
	v_add_u32_e32 v1, v6, v0
	s_add_i32 s2, s2, s7
	s_mul_i32 s6, s6, s14
	ds_read_b32 v1, v1
	s_add_i32 s4, s2, s6
	s_lshl_b64 s[2:3], s[4:5], 2
	s_waitcnt lgkmcnt(0)
	s_add_u32 s0, s0, s2
	s_addc_u32 s1, s1, s3
	global_store_dword v0, v1, s[0:1]
.LBB26_16:
	s_endpgm
	.section	.rodata,"a",@progbits
	.p2align	6, 0x0
	.amdhsa_kernel _ZL13mul_mat_vec_qIL9ggml_type3ELi1ELb0ELb1EEvPKvS2_PKi31ggml_cuda_mm_fusion_args_devicePfj15HIP_vector_typeIjLj3EEjjjS8_jjjS8_jjjj
		.amdhsa_group_segment_fixed_size 1536
		.amdhsa_private_segment_fixed_size 0
		.amdhsa_kernarg_size 144
		.amdhsa_user_sgpr_count 4
		.amdhsa_user_sgpr_dispatch_ptr 1
		.amdhsa_user_sgpr_queue_ptr 0
		.amdhsa_user_sgpr_kernarg_segment_ptr 1
		.amdhsa_user_sgpr_dispatch_id 0
		.amdhsa_user_sgpr_kernarg_preload_length 0
		.amdhsa_user_sgpr_kernarg_preload_offset 0
		.amdhsa_user_sgpr_private_segment_size 0
		.amdhsa_uses_dynamic_stack 0
		.amdhsa_enable_private_segment 0
		.amdhsa_system_sgpr_workgroup_id_x 1
		.amdhsa_system_sgpr_workgroup_id_y 1
		.amdhsa_system_sgpr_workgroup_id_z 1
		.amdhsa_system_sgpr_workgroup_info 0
		.amdhsa_system_vgpr_workitem_id 2
		.amdhsa_next_free_vgpr 31
		.amdhsa_next_free_sgpr 24
		.amdhsa_accum_offset 32
		.amdhsa_reserve_vcc 1
		.amdhsa_float_round_mode_32 0
		.amdhsa_float_round_mode_16_64 0
		.amdhsa_float_denorm_mode_32 3
		.amdhsa_float_denorm_mode_16_64 3
		.amdhsa_dx10_clamp 1
		.amdhsa_ieee_mode 1
		.amdhsa_fp16_overflow 0
		.amdhsa_tg_split 0
		.amdhsa_exception_fp_ieee_invalid_op 0
		.amdhsa_exception_fp_denorm_src 0
		.amdhsa_exception_fp_ieee_div_zero 0
		.amdhsa_exception_fp_ieee_overflow 0
		.amdhsa_exception_fp_ieee_underflow 0
		.amdhsa_exception_fp_ieee_inexact 0
		.amdhsa_exception_int_div_zero 0
	.end_amdhsa_kernel
	.section	.text._ZL13mul_mat_vec_qIL9ggml_type3ELi1ELb0ELb1EEvPKvS2_PKi31ggml_cuda_mm_fusion_args_devicePfj15HIP_vector_typeIjLj3EEjjjS8_jjjS8_jjjj,"axG",@progbits,_ZL13mul_mat_vec_qIL9ggml_type3ELi1ELb0ELb1EEvPKvS2_PKi31ggml_cuda_mm_fusion_args_devicePfj15HIP_vector_typeIjLj3EEjjjS8_jjjS8_jjjj,comdat
.Lfunc_end26:
	.size	_ZL13mul_mat_vec_qIL9ggml_type3ELi1ELb0ELb1EEvPKvS2_PKi31ggml_cuda_mm_fusion_args_devicePfj15HIP_vector_typeIjLj3EEjjjS8_jjjS8_jjjj, .Lfunc_end26-_ZL13mul_mat_vec_qIL9ggml_type3ELi1ELb0ELb1EEvPKvS2_PKi31ggml_cuda_mm_fusion_args_devicePfj15HIP_vector_typeIjLj3EEjjjS8_jjjS8_jjjj
                                        ; -- End function
	.section	.AMDGPU.csdata,"",@progbits
; Kernel info:
; codeLenInByte = 1316
; NumSgprs: 30
; NumVgprs: 31
; NumAgprs: 0
; TotalNumVgprs: 31
; ScratchSize: 0
; MemoryBound: 0
; FloatMode: 240
; IeeeMode: 1
; LDSByteSize: 1536 bytes/workgroup (compile time only)
; SGPRBlocks: 3
; VGPRBlocks: 3
; NumSGPRsForWavesPerEU: 30
; NumVGPRsForWavesPerEU: 31
; AccumOffset: 32
; Occupancy: 8
; WaveLimiterHint : 0
; COMPUTE_PGM_RSRC2:SCRATCH_EN: 0
; COMPUTE_PGM_RSRC2:USER_SGPR: 4
; COMPUTE_PGM_RSRC2:TRAP_HANDLER: 0
; COMPUTE_PGM_RSRC2:TGID_X_EN: 1
; COMPUTE_PGM_RSRC2:TGID_Y_EN: 1
; COMPUTE_PGM_RSRC2:TGID_Z_EN: 1
; COMPUTE_PGM_RSRC2:TIDIG_COMP_CNT: 2
; COMPUTE_PGM_RSRC3_GFX90A:ACCUM_OFFSET: 7
; COMPUTE_PGM_RSRC3_GFX90A:TG_SPLIT: 0
	.section	.text._ZL13mul_mat_vec_qIL9ggml_type3ELi1ELb1ELb0EEvPKvS2_PKi31ggml_cuda_mm_fusion_args_devicePfj15HIP_vector_typeIjLj3EEjjjS8_jjjS8_jjjj,"axG",@progbits,_ZL13mul_mat_vec_qIL9ggml_type3ELi1ELb1ELb0EEvPKvS2_PKi31ggml_cuda_mm_fusion_args_devicePfj15HIP_vector_typeIjLj3EEjjjS8_jjjS8_jjjj,comdat
	.globl	_ZL13mul_mat_vec_qIL9ggml_type3ELi1ELb1ELb0EEvPKvS2_PKi31ggml_cuda_mm_fusion_args_devicePfj15HIP_vector_typeIjLj3EEjjjS8_jjjS8_jjjj ; -- Begin function _ZL13mul_mat_vec_qIL9ggml_type3ELi1ELb1ELb0EEvPKvS2_PKi31ggml_cuda_mm_fusion_args_devicePfj15HIP_vector_typeIjLj3EEjjjS8_jjjS8_jjjj
	.p2align	8
	.type	_ZL13mul_mat_vec_qIL9ggml_type3ELi1ELb1ELb0EEvPKvS2_PKi31ggml_cuda_mm_fusion_args_devicePfj15HIP_vector_typeIjLj3EEjjjS8_jjjS8_jjjj,@function
_ZL13mul_mat_vec_qIL9ggml_type3ELi1ELb1ELb0EEvPKvS2_PKi31ggml_cuda_mm_fusion_args_devicePfj15HIP_vector_typeIjLj3EEjjjS8_jjjS8_jjjj: ; @_ZL13mul_mat_vec_qIL9ggml_type3ELi1ELb1ELb0EEvPKvS2_PKi31ggml_cuda_mm_fusion_args_devicePfj15HIP_vector_typeIjLj3EEjjjS8_jjjS8_jjjj
; %bb.0:
	s_load_dwordx8 s[16:23], s[0:1], 0x0
	s_load_dwordx4 s[36:39], s[0:1], 0x20
	s_load_dwordx4 s[8:11], s[0:1], 0x40
	;; [unrolled: 1-line block ×3, first 2 shown]
	s_mov_b32 s14, s3
	s_waitcnt lgkmcnt(0)
	s_cmp_lg_u64 s[20:21], 0
	s_cselect_b64 s[6:7], -1, 0
	s_cmp_eq_u64 s[20:21], 0
	s_mov_b64 s[12:13], 0
	s_cbranch_scc1 .LBB27_5
; %bb.1:
	s_mov_b32 s15, 0
	s_lshl_b64 s[28:29], s[14:15], 2
	s_add_u32 s20, s20, s28
	s_addc_u32 s21, s21, s29
	s_load_dword s5, s[20:21], 0x0
	s_load_dword s15, s[0:1], 0x50
	;; [unrolled: 1-line block ×3, first 2 shown]
	s_andn2_b64 vcc, exec, s[12:13]
	s_cbranch_vccnz .LBB27_3
.LBB27_2:
	s_load_dwordx2 s[12:13], s[0:1], 0x5c
	s_waitcnt lgkmcnt(0)
	s_mul_hi_u32 s3, s12, s14
	s_add_i32 s3, s14, s3
	s_lshr_b32 s5, s3, s13
.LBB27_3:
	s_andn2_b64 vcc, exec, s[6:7]
	s_cbranch_vccnz .LBB27_6
; %bb.4:
	s_mul_hi_u32 s3, s9, s14
	s_add_i32 s3, s14, s3
	s_lshr_b32 s3, s3, s10
	s_mul_i32 s3, s3, s11
	s_sub_i32 s34, s14, s3
	s_waitcnt lgkmcnt(0)
	s_mov_b32 s3, s5
	s_branch .LBB27_7
.LBB27_5:
                                        ; implicit-def: $sgpr5
	s_load_dword s15, s[0:1], 0x50
	s_load_dword s33, s[0:1], 0x78
	s_branch .LBB27_2
.LBB27_6:
	s_mov_b32 s3, s14
	s_mov_b32 s34, s14
.LBB27_7:
	s_load_dwordx4 s[28:31], s[0:1], 0x80
	v_bfe_u32 v16, v0, 10, 10
	v_and_b32_e32 v13, 0x3ff, v0
	s_cmp_lg_u64 s[22:23], 0
	v_or_b32_e32 v0, v16, v13
	s_cselect_b64 s[12:13], -1, 0
	v_cmp_eq_u32_e32 vcc, 0, v0
	s_mov_b32 s21, 0
	s_and_b64 s[40:41], vcc, s[12:13]
	v_mov_b32_e32 v14, 0
	s_mul_i32 s10, s3, s26
	v_lshlrev_b32_e32 v12, 2, v13
	v_mov_b32_e32 v15, 0
	s_and_saveexec_b64 s[6:7], s[40:41]
	s_cbranch_execz .LBB27_9
; %bb.8:
	s_waitcnt lgkmcnt(0)
	s_mul_i32 s20, s4, s30
	s_lshl_b64 s[40:41], s[20:21], 2
	s_add_u32 s3, s22, s40
	s_mov_b32 s11, s21
	s_addc_u32 s9, s23, s41
	s_lshl_b64 s[20:21], s[10:11], 2
	s_add_u32 s11, s3, s20
	s_addc_u32 s9, s9, s21
	s_ashr_i32 s3, s2, 31
	s_lshl_b64 s[20:21], s[2:3], 2
	s_add_u32 s20, s11, s20
	s_addc_u32 s21, s9, s21
	global_load_dword v15, v12, s[20:21]
.LBB27_9:
	s_or_b64 exec, exec, s[6:7]
	s_cmp_lg_u64 s[36:37], 0
	s_cselect_b64 s[20:21], -1, 0
	s_cmp_lg_u64 s[38:39], 0
	s_cselect_b64 s[6:7], -1, 0
	s_and_b64 s[22:23], s[6:7], s[20:21]
	s_and_b64 s[40:41], vcc, s[22:23]
	s_and_saveexec_b64 s[22:23], s[40:41]
	s_cbranch_execz .LBB27_11
; %bb.10:
	s_waitcnt lgkmcnt(0)
	s_mul_i32 s40, s4, s30
	s_mov_b32 s41, 0
	s_lshl_b64 s[42:43], s[40:41], 2
	s_add_u32 s3, s38, s42
	s_mov_b32 s11, s41
	s_addc_u32 s9, s39, s43
	s_lshl_b64 s[10:11], s[10:11], 2
	s_add_u32 s31, s3, s10
	s_addc_u32 s9, s9, s11
	s_ashr_i32 s3, s2, 31
	s_lshl_b64 s[10:11], s[2:3], 2
	s_add_u32 s10, s31, s10
	s_addc_u32 s11, s9, s11
	global_load_dword v14, v12, s[10:11]
.LBB27_11:
	s_or_b64 exec, exec, s[22:23]
	v_lshlrev_b32_e32 v0, 6, v16
	v_xor_b32_e32 v2, v0, v13
	v_and_b32_e32 v1, v0, v13
	v_lshrrev_b16_e32 v2, 1, v2
	s_lshr_b32 s3, s8, 5
	v_add_u16_e32 v19, v1, v2
	v_cndmask_b32_e64 v1, 0, 1, s[20:21]
	v_cmp_gt_u32_e32 vcc, s3, v19
	v_mov_b32_e32 v18, 0
	v_cmp_ne_u32_e64 s[8:9], 1, v1
	v_mov_b32_e32 v17, 0
	s_and_saveexec_b64 s[10:11], vcc
	s_cbranch_execz .LBB27_17
; %bb.12:
	s_mul_hi_u32 s22, s27, s4
	s_add_i32 s22, s4, s22
	s_waitcnt lgkmcnt(0)
	s_lshr_b32 s22, s22, s33
	s_mul_i32 s5, s5, s24
	s_mul_i32 s22, s22, s28
	;; [unrolled: 1-line block ×4, first 2 shown]
	s_add_i32 s5, s22, s5
	s_add_i32 s5, s5, s15
	s_mul_hi_u32 s22, s20, 36
	s_mul_i32 s20, s20, 36
	s_mul_i32 s21, s34, s25
	s_add_u32 s18, s18, s20
	s_mul_hi_u32 s15, s21, 36
	s_mul_i32 s21, s21, 36
	s_addc_u32 s19, s19, s22
	v_add_u32_e32 v2, v0, v13
	s_add_u32 s18, s18, s21
	v_lshlrev_b32_e32 v0, 1, v13
	v_lshrrev_b32_e32 v2, 1, v2
	s_addc_u32 s19, s19, s15
	v_and_b32_e32 v4, 2, v0
	v_mov_b32_e32 v1, 0
	v_and_b32_e32 v0, 1, v13
	v_mad_u64_u32 v[2:3], s[18:19], v2, 36, s[18:19]
	v_lshlrev_b32_e32 v0, 3, v0
	s_mov_b64 s[18:19], 0
	v_lshlrev_b32_e32 v4, 2, v4
	v_mov_b32_e32 v5, v1
	s_mov_b32 s15, 0.5
	s_mov_b64 s[20:21], 0x900
	v_mov_b32_e32 v18, v1
	v_mov_b32_e32 v17, v1
	s_branch .LBB27_14
.LBB27_13:                              ;   in Loop: Header=BB27_14 Depth=1
	s_waitcnt vmcnt(4)
	v_and_b32_e32 v22, 0xf0f0f0f, v6
	v_lshrrev_b32_e32 v6, 4, v6
	v_mov_b32_e32 v23, 0
	v_and_b32_e32 v6, 0xf0f0f0f, v6
	s_waitcnt vmcnt(2)
	v_dot4c_i32_i8_e32 v23, v22, v10
	s_waitcnt vmcnt(1)
	v_dot4c_i32_i8_e32 v23, v6, v8
	v_and_b32_e32 v6, 0xf0f0f0f, v7
	v_lshrrev_b32_e32 v7, 4, v7
	v_and_b32_e32 v7, 0xf0f0f0f, v7
	v_dot4c_i32_i8_e32 v23, v6, v11
	v_dot4c_i32_i8_e32 v23, v7, v9
	s_waitcnt vmcnt(0)
	v_pk_mul_f16 v6, v20, v21
	v_add_u32_e32 v19, 64, v19
	v_cvt_f32_f16_e32 v7, v6
	v_cvt_f32_i32_e32 v8, v23
	v_cmp_le_u32_e32 vcc, s3, v19
	s_or_b64 s[18:19], vcc, s[18:19]
	v_lshl_add_u64 v[2:3], v[2:3], 0, s[20:21]
	v_mul_f32_e32 v7, v8, v7
	v_fma_mix_f32 v6, v6, s15, v7 op_sel:[1,0,0] op_sel_hi:[1,0,0]
	s_nop 0
	v_add_f32_e32 v18, v18, v6
	s_andn2_b64 exec, exec, s[18:19]
	s_cbranch_execz .LBB27_16
.LBB27_14:                              ; =>This Inner Loop Header: Depth=1
	v_add_u32_e32 v22, s5, v19
	v_mad_i64_i32 v[24:25], s[22:23], v22, 20, s[16:17]
	v_lshl_add_u64 v[26:27], v[24:25], 0, v[4:5]
	v_lshl_add_u64 v[28:29], v[2:3], 0, v[0:1]
	global_load_dwordx2 v[6:7], v[26:27], off offset:4
	global_load_dword v20, v[24:25], off
	global_load_dwordx2 v[10:11], v[28:29], off offset:4
	global_load_dwordx2 v[8:9], v[28:29], off offset:20
	global_load_dword v21, v[2:3], off
	s_and_b64 vcc, exec, s[8:9]
	s_cbranch_vccnz .LBB27_13
; %bb.15:                               ;   in Loop: Header=BB27_14 Depth=1
	v_mad_i64_i32 v[22:23], s[22:23], v22, 20, s[36:37]
	v_lshl_add_u64 v[24:25], v[22:23], 0, v[4:5]
	global_load_dwordx2 v[26:27], v[24:25], off offset:4
	global_load_dword v28, v[22:23], off
	v_mov_b32_e32 v22, 0
	s_waitcnt vmcnt(1)
	v_and_b32_e32 v23, 0xf0f0f0f, v26
	v_lshrrev_b32_e32 v24, 4, v26
	v_and_b32_e32 v24, 0xf0f0f0f, v24
	v_dot4c_i32_i8_e32 v22, v23, v10
	v_and_b32_e32 v25, 0xf0f0f0f, v27
	v_lshrrev_b32_e32 v26, 4, v27
	v_dot4c_i32_i8_e32 v22, v24, v8
	v_and_b32_e32 v23, 0xf0f0f0f, v26
	v_dot4c_i32_i8_e32 v22, v25, v11
	s_waitcnt vmcnt(0)
	v_pk_mul_f16 v27, v21, v28
	v_dot4c_i32_i8_e32 v22, v23, v9
	v_cvt_f32_f16_e32 v23, v27
	s_nop 1
	v_cvt_f32_i32_e32 v22, v22
	v_mul_f32_e32 v22, v23, v22
	v_fma_mix_f32 v22, v27, s15, v22 op_sel:[1,0,0] op_sel_hi:[1,0,0]
	s_nop 0
	v_add_f32_e32 v17, v17, v22
	s_branch .LBB27_13
.LBB27_16:
	s_or_b64 exec, exec, s[18:19]
.LBB27_17:
	s_or_b64 exec, exec, s[10:11]
	s_load_dword s3, s[0:1], 0x30
	v_cmp_eq_u32_e64 s[10:11], 0, v16
	v_cmp_ne_u32_e32 vcc, 0, v16
	s_and_saveexec_b64 s[16:17], vcc
	s_cbranch_execz .LBB27_20
; %bb.18:
	v_add_u32_e32 v0, -1, v16
	v_lshl_add_u32 v0, v0, 8, v12
	s_and_b64 vcc, exec, s[8:9]
	ds_write_b32 v0, v18
	s_cbranch_vccnz .LBB27_20
; %bb.19:
	ds_write_b32 v0, v17 offset:256
.LBB27_20:
	s_or_b64 exec, exec, s[16:17]
	s_waitcnt lgkmcnt(0)
	s_barrier
	s_and_saveexec_b64 s[16:17], s[10:11]
	s_cbranch_execz .LBB27_49
; %bb.21:
	ds_read_b32 v0, v12
	s_and_b64 vcc, exec, s[8:9]
	s_cbranch_vccnz .LBB27_23
; %bb.22:
	ds_read_b32 v1, v12 offset:256
	s_waitcnt lgkmcnt(0)
	v_add_f32_e32 v17, v17, v1
.LBB27_23:
	s_waitcnt lgkmcnt(0)
	v_add_f32_e32 v1, v18, v0
	v_mbcnt_lo_u32_b32 v0, -1, 0
	v_mbcnt_hi_u32_b32 v4, -1, v0
	v_and_b32_e32 v0, 64, v4
	v_add_u32_e32 v7, 64, v0
	v_xor_b32_e32 v0, 32, v4
	v_cmp_lt_i32_e32 vcc, v0, v7
	v_xor_b32_e32 v3, 16, v4
	v_xor_b32_e32 v5, 8, v4
	v_cndmask_b32_e32 v0, v4, v0, vcc
	v_lshlrev_b32_e32 v0, 2, v0
	ds_bpermute_b32 v2, v0, v1
	v_cmp_lt_i32_e32 vcc, v3, v7
	v_xor_b32_e32 v6, 4, v4
	v_xor_b32_e32 v8, 2, v4
	;; [unrolled: 1-line block ×3, first 2 shown]
	s_waitcnt lgkmcnt(0)
	v_add_f32_e32 v2, v1, v2
	v_cndmask_b32_e32 v1, v4, v3, vcc
	v_lshlrev_b32_e32 v1, 2, v1
	ds_bpermute_b32 v3, v1, v2
	v_cmp_lt_i32_e32 vcc, v5, v7
	s_waitcnt lgkmcnt(0)
	v_add_f32_e32 v2, v2, v3
	v_cndmask_b32_e32 v3, v4, v5, vcc
	v_lshlrev_b32_e32 v3, 2, v3
	ds_bpermute_b32 v5, v3, v2
	v_cmp_lt_i32_e32 vcc, v6, v7
	s_waitcnt lgkmcnt(0)
	v_add_f32_e32 v2, v2, v5
	v_cndmask_b32_e32 v5, v4, v6, vcc
	v_lshlrev_b32_e32 v5, 2, v5
	ds_bpermute_b32 v6, v5, v2
	v_cmp_lt_i32_e32 vcc, v8, v7
	s_waitcnt lgkmcnt(0)
	v_add_f32_e32 v2, v2, v6
	v_cndmask_b32_e32 v6, v4, v8, vcc
	v_lshlrev_b32_e32 v6, 2, v6
	ds_bpermute_b32 v8, v6, v2
	v_cmp_lt_i32_e32 vcc, v9, v7
	s_waitcnt lgkmcnt(0)
	v_add_f32_e32 v2, v2, v8
	v_cndmask_b32_e32 v4, v4, v9, vcc
	v_lshlrev_b32_e32 v7, 2, v4
	ds_bpermute_b32 v4, v7, v2
	s_and_b64 vcc, exec, s[8:9]
	s_cbranch_vccnz .LBB27_25
; %bb.24:
	ds_bpermute_b32 v0, v0, v17
	s_waitcnt lgkmcnt(0)
	v_add_f32_e32 v0, v17, v0
	ds_bpermute_b32 v1, v1, v0
	s_waitcnt lgkmcnt(0)
	v_add_f32_e32 v0, v0, v1
	;; [unrolled: 3-line block ×6, first 2 shown]
.LBB27_25:
	v_cmp_eq_u32_e32 vcc, 0, v13
	s_and_b64 exec, exec, vcc
	s_cbranch_execz .LBB27_49
; %bb.26:
	s_waitcnt lgkmcnt(0)
	v_add_f32_e32 v0, v2, v4
	s_waitcnt vmcnt(0)
	v_add_f32_e32 v1, v15, v0
	s_and_b64 vcc, exec, s[8:9]
	v_cndmask_b32_e64 v0, v0, v1, s[12:13]
	s_cbranch_vccnz .LBB27_48
; %bb.27:
	v_add_f32_e32 v1, v14, v17
	v_cndmask_b32_e64 v1, v17, v1, s[6:7]
	s_cmp_lt_i32 s3, 2
	s_mov_b64 s[6:7], 0
	s_cbranch_scc1 .LBB27_31
; %bb.28:
	s_cmp_gt_i32 s3, 2
	s_cbranch_scc0 .LBB27_32
; %bb.29:
	s_cmp_eq_u32 s3, 3
	s_cbranch_scc0 .LBB27_33
; %bb.30:
	v_max_f32_e32 v2, v1, v1
	v_min_f32_e32 v4, 0x40e00000, v2
	v_mul_f32_e32 v3, 0xbfd9db23, v4
	s_mov_b32 s5, 0x3fb8aa3b
	v_mul_f32_e32 v2, 0x3fb8aa3b, v3
	v_fma_f32 v5, v3, s5, -v2
	v_rndne_f32_e32 v6, v2
	v_fmamk_f32 v5, v3, 0x32a5705f, v5
	v_sub_f32_e32 v2, v2, v6
	v_add_f32_e32 v2, v2, v5
	v_exp_f32_e32 v5, v2
	v_cvt_i32_f32_e32 v6, v6
	s_mov_b32 s5, 0xc2ce8ed0
	v_max_f32_e32 v2, v0, v0
	v_cmp_ngt_f32_e32 vcc, s5, v3
	v_ldexp_f32 v5, v5, v6
	s_mov_b32 s5, 0x42b17218
	v_min_f32_e32 v2, 0x40e00000, v2
	v_cndmask_b32_e32 v5, 0, v5, vcc
	v_mov_b32_e32 v6, 0x7f800000
	v_cmp_nlt_f32_e32 vcc, s5, v3
	v_max_f32_e32 v2, 0xc0e00000, v2
	s_nop 0
	v_cndmask_b32_e32 v3, v6, v5, vcc
	v_pk_add_f32 v[2:3], v[2:3], 1.0 op_sel_hi:[1,0]
	s_nop 0
	v_div_scale_f32 v5, s[8:9], v3, v3, v4
	v_rcp_f32_e32 v6, v5
	s_mov_b64 s[8:9], 0
	v_fma_f32 v7, -v5, v6, 1.0
	v_fmac_f32_e32 v6, v7, v6
	v_div_scale_f32 v7, vcc, v4, v3, v4
	v_mul_f32_e32 v8, v7, v6
	v_fma_f32 v9, -v5, v8, v7
	v_fmac_f32_e32 v8, v9, v6
	v_fma_f32 v5, -v5, v8, v7
	v_div_fmas_f32 v5, v5, v6, v8
	v_div_fixup_f32 v3, v5, v3, v4
	v_mul_f32_e32 v2, v2, v3
	s_branch .LBB27_34
.LBB27_31:
                                        ; implicit-def: $vgpr2
	s_mov_b64 s[8:9], 0
	s_cbranch_execnz .LBB27_38
	s_branch .LBB27_39
.LBB27_32:
	s_mov_b64 s[10:11], -1
	s_mov_b64 s[8:9], 0
                                        ; implicit-def: $vgpr2
	s_branch .LBB27_35
.LBB27_33:
	s_mov_b64 s[8:9], -1
                                        ; implicit-def: $vgpr2
.LBB27_34:
	s_mov_b64 s[10:11], 0
.LBB27_35:
	s_and_b64 vcc, exec, s[10:11]
	s_cbranch_vccz .LBB27_37
; %bb.36:
	v_mul_f32_e32 v2, 0xbfb8aa3b, v1
	s_mov_b32 s5, 0xbfb8aa3b
	v_rndne_f32_e32 v3, v2
	v_sub_f32_e32 v4, v2, v3
	v_fma_f32 v2, v1, s5, -v2
	v_fmamk_f32 v2, v1, 0xb2a5705f, v2
	v_add_f32_e32 v2, v4, v2
	v_exp_f32_e32 v2, v2
	v_cvt_i32_f32_e32 v3, v3
	s_mov_b32 s5, 0x42ce8ed0
	v_cmp_nlt_f32_e32 vcc, s5, v1
	s_mov_b32 s5, 0xc2b17218
	v_ldexp_f32 v2, v2, v3
	v_cndmask_b32_e32 v2, 0, v2, vcc
	v_mov_b32_e32 v3, 0x7f800000
	v_cmp_ngt_f32_e32 vcc, s5, v1
	s_nop 1
	v_cndmask_b32_e32 v2, v3, v2, vcc
	v_add_f32_e32 v2, 1.0, v2
	v_div_scale_f32 v3, s[10:11], v2, v2, v1
	v_rcp_f32_e32 v4, v3
	s_nop 0
	v_fma_f32 v5, -v3, v4, 1.0
	v_fmac_f32_e32 v4, v5, v4
	v_div_scale_f32 v5, vcc, v1, v2, v1
	v_mul_f32_e32 v6, v5, v4
	v_fma_f32 v7, -v3, v6, v5
	v_fmac_f32_e32 v6, v7, v4
	v_fma_f32 v3, -v3, v6, v5
	v_div_fmas_f32 v3, v3, v4, v6
	v_div_fixup_f32 v2, v3, v2, v1
	v_mul_f32_e32 v2, v0, v2
.LBB27_37:
	s_branch .LBB27_39
.LBB27_38:
	s_cmp_lg_u32 s3, 1
	s_mov_b64 s[6:7], -1
	s_cselect_b64 s[8:9], -1, 0
                                        ; implicit-def: $vgpr2
.LBB27_39:
	s_andn2_b64 vcc, exec, s[8:9]
	s_cbranch_vccz .LBB27_41
; %bb.40:
	s_andn2_b64 vcc, exec, s[6:7]
	s_cbranch_vccz .LBB27_42
	s_branch .LBB27_47
.LBB27_41:
	v_mul_f32_e32 v2, v0, v1
	s_cbranch_execnz .LBB27_47
.LBB27_42:
	v_mul_f32_e32 v3, 0x3d372713, v1
	v_mul_f32_e32 v2, 0x3f4c422a, v1
	v_fma_f32 v3, v1, v3, 1.0
	v_mul_f32_e32 v2, v2, v3
	s_mov_b32 s3, 0x3f200000
	v_cmp_nlt_f32_e64 s[6:7], |v2|, s3
                                        ; implicit-def: $vgpr3
	s_and_saveexec_b64 s[8:9], s[6:7]
	s_xor_b64 s[6:7], exec, s[8:9]
	s_cbranch_execz .LBB27_44
; %bb.43:
	v_add_f32_e64 v3, |v2|, |v2|
	v_mul_f32_e32 v4, 0x3fb8aa3b, v3
	s_mov_b32 s3, 0x3fb8aa3b
	v_rndne_f32_e32 v5, v4
	v_sub_f32_e32 v6, v4, v5
	v_fma_f32 v4, v3, s3, -v4
	v_fmamk_f32 v4, v3, 0x32a5705f, v4
	v_add_f32_e32 v4, v6, v4
	v_exp_f32_e32 v4, v4
	v_cvt_i32_f32_e32 v5, v5
	s_mov_b32 s3, 0xc2ce8ed0
	v_cmp_ngt_f32_e32 vcc, s3, v3
	s_mov_b32 s3, 0x42b17218
	v_ldexp_f32 v4, v4, v5
	v_cndmask_b32_e32 v4, 0, v4, vcc
	v_mov_b32_e32 v5, 0x7f800000
	v_cmp_nlt_f32_e32 vcc, s3, v3
	s_nop 1
	v_cndmask_b32_e32 v3, v5, v4, vcc
	v_add_f32_e32 v3, 1.0, v3
	v_rcp_f32_e32 v3, v3
	s_nop 0
	v_fma_f32 v3, v3, -2.0, 1.0
.LBB27_44:
	s_andn2_saveexec_b64 s[6:7], s[6:7]
; %bb.45:
	v_mul_f32_e32 v3, v2, v2
	v_mov_b32_e32 v4, 0x3ca908c9
	v_fmac_f32_e32 v4, 0xbbbac73d, v3
	v_fmaak_f32 v4, v3, v4, 0xbd5c1c4e
	v_fmaak_f32 v4, v3, v4, 0x3e088382
	;; [unrolled: 1-line block ×3, first 2 shown]
	v_mul_f32_e64 v4, |v2|, v4
	v_fma_f32 v3, v3, v4, |v2|
; %bb.46:
	s_or_b64 exec, exec, s[6:7]
	s_brev_b32 s3, -2
	v_bfi_b32 v2, s3, v3, v2
	v_mul_f32_e32 v1, 0.5, v1
	v_add_f32_e32 v2, 1.0, v2
	v_mul_f32_e32 v1, v1, v2
	v_mul_f32_e32 v2, v0, v1
.LBB27_47:
	v_mov_b32_e32 v0, v2
.LBB27_48:
	s_load_dwordx2 s[0:1], s[0:1], 0x38
	s_mul_i32 s3, s14, s26
	s_mul_i32 s4, s4, s30
	s_add_i32 s2, s3, s2
	s_add_i32 s2, s2, s4
	s_mov_b32 s3, 0
	s_lshl_b64 s[2:3], s[2:3], 2
	s_waitcnt lgkmcnt(0)
	s_add_u32 s0, s0, s2
	s_addc_u32 s1, s1, s3
	global_store_dword v12, v0, s[0:1]
.LBB27_49:
	s_endpgm
	.section	.rodata,"a",@progbits
	.p2align	6, 0x0
	.amdhsa_kernel _ZL13mul_mat_vec_qIL9ggml_type3ELi1ELb1ELb0EEvPKvS2_PKi31ggml_cuda_mm_fusion_args_devicePfj15HIP_vector_typeIjLj3EEjjjS8_jjjS8_jjjj
		.amdhsa_group_segment_fixed_size 512
		.amdhsa_private_segment_fixed_size 0
		.amdhsa_kernarg_size 144
		.amdhsa_user_sgpr_count 2
		.amdhsa_user_sgpr_dispatch_ptr 0
		.amdhsa_user_sgpr_queue_ptr 0
		.amdhsa_user_sgpr_kernarg_segment_ptr 1
		.amdhsa_user_sgpr_dispatch_id 0
		.amdhsa_user_sgpr_kernarg_preload_length 0
		.amdhsa_user_sgpr_kernarg_preload_offset 0
		.amdhsa_user_sgpr_private_segment_size 0
		.amdhsa_uses_dynamic_stack 0
		.amdhsa_enable_private_segment 0
		.amdhsa_system_sgpr_workgroup_id_x 1
		.amdhsa_system_sgpr_workgroup_id_y 1
		.amdhsa_system_sgpr_workgroup_id_z 1
		.amdhsa_system_sgpr_workgroup_info 0
		.amdhsa_system_vgpr_workitem_id 1
		.amdhsa_next_free_vgpr 30
		.amdhsa_next_free_sgpr 44
		.amdhsa_accum_offset 32
		.amdhsa_reserve_vcc 1
		.amdhsa_float_round_mode_32 0
		.amdhsa_float_round_mode_16_64 0
		.amdhsa_float_denorm_mode_32 3
		.amdhsa_float_denorm_mode_16_64 3
		.amdhsa_dx10_clamp 1
		.amdhsa_ieee_mode 1
		.amdhsa_fp16_overflow 0
		.amdhsa_tg_split 0
		.amdhsa_exception_fp_ieee_invalid_op 0
		.amdhsa_exception_fp_denorm_src 0
		.amdhsa_exception_fp_ieee_div_zero 0
		.amdhsa_exception_fp_ieee_overflow 0
		.amdhsa_exception_fp_ieee_underflow 0
		.amdhsa_exception_fp_ieee_inexact 0
		.amdhsa_exception_int_div_zero 0
	.end_amdhsa_kernel
	.section	.text._ZL13mul_mat_vec_qIL9ggml_type3ELi1ELb1ELb0EEvPKvS2_PKi31ggml_cuda_mm_fusion_args_devicePfj15HIP_vector_typeIjLj3EEjjjS8_jjjS8_jjjj,"axG",@progbits,_ZL13mul_mat_vec_qIL9ggml_type3ELi1ELb1ELb0EEvPKvS2_PKi31ggml_cuda_mm_fusion_args_devicePfj15HIP_vector_typeIjLj3EEjjjS8_jjjS8_jjjj,comdat
.Lfunc_end27:
	.size	_ZL13mul_mat_vec_qIL9ggml_type3ELi1ELb1ELb0EEvPKvS2_PKi31ggml_cuda_mm_fusion_args_devicePfj15HIP_vector_typeIjLj3EEjjjS8_jjjS8_jjjj, .Lfunc_end27-_ZL13mul_mat_vec_qIL9ggml_type3ELi1ELb1ELb0EEvPKvS2_PKi31ggml_cuda_mm_fusion_args_devicePfj15HIP_vector_typeIjLj3EEjjjS8_jjjS8_jjjj
                                        ; -- End function
	.section	.AMDGPU.csdata,"",@progbits
; Kernel info:
; codeLenInByte = 2388
; NumSgprs: 50
; NumVgprs: 30
; NumAgprs: 0
; TotalNumVgprs: 30
; ScratchSize: 0
; MemoryBound: 0
; FloatMode: 240
; IeeeMode: 1
; LDSByteSize: 512 bytes/workgroup (compile time only)
; SGPRBlocks: 6
; VGPRBlocks: 3
; NumSGPRsForWavesPerEU: 50
; NumVGPRsForWavesPerEU: 30
; AccumOffset: 32
; Occupancy: 8
; WaveLimiterHint : 0
; COMPUTE_PGM_RSRC2:SCRATCH_EN: 0
; COMPUTE_PGM_RSRC2:USER_SGPR: 2
; COMPUTE_PGM_RSRC2:TRAP_HANDLER: 0
; COMPUTE_PGM_RSRC2:TGID_X_EN: 1
; COMPUTE_PGM_RSRC2:TGID_Y_EN: 1
; COMPUTE_PGM_RSRC2:TGID_Z_EN: 1
; COMPUTE_PGM_RSRC2:TIDIG_COMP_CNT: 1
; COMPUTE_PGM_RSRC3_GFX90A:ACCUM_OFFSET: 7
; COMPUTE_PGM_RSRC3_GFX90A:TG_SPLIT: 0
	.section	.text._ZL13mul_mat_vec_qIL9ggml_type3ELi1ELb0ELb0EEvPKvS2_PKi31ggml_cuda_mm_fusion_args_devicePfj15HIP_vector_typeIjLj3EEjjjS8_jjjS8_jjjj,"axG",@progbits,_ZL13mul_mat_vec_qIL9ggml_type3ELi1ELb0ELb0EEvPKvS2_PKi31ggml_cuda_mm_fusion_args_devicePfj15HIP_vector_typeIjLj3EEjjjS8_jjjS8_jjjj,comdat
	.globl	_ZL13mul_mat_vec_qIL9ggml_type3ELi1ELb0ELb0EEvPKvS2_PKi31ggml_cuda_mm_fusion_args_devicePfj15HIP_vector_typeIjLj3EEjjjS8_jjjS8_jjjj ; -- Begin function _ZL13mul_mat_vec_qIL9ggml_type3ELi1ELb0ELb0EEvPKvS2_PKi31ggml_cuda_mm_fusion_args_devicePfj15HIP_vector_typeIjLj3EEjjjS8_jjjS8_jjjj
	.p2align	8
	.type	_ZL13mul_mat_vec_qIL9ggml_type3ELi1ELb0ELb0EEvPKvS2_PKi31ggml_cuda_mm_fusion_args_devicePfj15HIP_vector_typeIjLj3EEjjjS8_jjjS8_jjjj,@function
_ZL13mul_mat_vec_qIL9ggml_type3ELi1ELb0ELb0EEvPKvS2_PKi31ggml_cuda_mm_fusion_args_devicePfj15HIP_vector_typeIjLj3EEjjjS8_jjjS8_jjjj: ; @_ZL13mul_mat_vec_qIL9ggml_type3ELi1ELb0ELb0EEvPKvS2_PKi31ggml_cuda_mm_fusion_args_devicePfj15HIP_vector_typeIjLj3EEjjjS8_jjjS8_jjjj
; %bb.0:
	s_load_dwordx2 s[8:9], s[0:1], 0x10
	s_load_dwordx4 s[16:19], s[0:1], 0x40
	s_mov_b32 s20, s3
	s_mov_b64 s[12:13], 0
	s_waitcnt lgkmcnt(0)
	s_cmp_lg_u64 s[8:9], 0
	s_cselect_b64 s[6:7], -1, 0
	s_cmp_eq_u64 s[8:9], 0
	s_cbranch_scc1 .LBB28_5
; %bb.1:
	s_mov_b32 s21, 0
	s_lshl_b64 s[10:11], s[20:21], 2
	s_add_u32 s8, s8, s10
	s_addc_u32 s9, s9, s11
	s_load_dword s5, s[8:9], 0x0
	s_nop 0
	s_load_dwordx4 s[8:11], s[0:1], 0x68
	s_load_dword s21, s[0:1], 0x50
	s_andn2_b64 vcc, exec, s[12:13]
	s_cbranch_vccnz .LBB28_3
.LBB28_2:
	s_load_dwordx2 s[12:13], s[0:1], 0x5c
	s_waitcnt lgkmcnt(0)
	s_mul_hi_u32 s3, s12, s20
	s_add_i32 s3, s20, s3
	s_lshr_b32 s5, s3, s13
.LBB28_3:
	s_load_dword s22, s[0:1], 0x78
	s_andn2_b64 vcc, exec, s[6:7]
	s_cbranch_vccnz .LBB28_6
; %bb.4:
	s_mul_hi_u32 s3, s17, s20
	s_add_i32 s3, s20, s3
	s_lshr_b32 s3, s3, s18
	s_mul_i32 s3, s3, s19
	s_sub_i32 s23, s20, s3
	s_branch .LBB28_7
.LBB28_5:
                                        ; implicit-def: $sgpr5
	s_load_dwordx4 s[8:11], s[0:1], 0x68
	s_load_dword s21, s[0:1], 0x50
	s_branch .LBB28_2
.LBB28_6:
	s_mov_b32 s23, s20
.LBB28_7:
	s_load_dwordx4 s[12:15], s[0:1], 0x80
	v_bfe_u32 v7, v0, 10, 10
	v_lshlrev_b32_e32 v1, 6, v7
	v_and_b32_e32 v6, 0x3ff, v0
	v_add_u16_e32 v0, v1, v6
	s_lshr_b32 s3, s16, 5
	v_lshrrev_b16_e32 v8, 1, v0
	v_cmp_gt_u32_e32 vcc, s3, v8
	v_mov_b32_e32 v9, 0
	s_and_saveexec_b64 s[6:7], vcc
	s_cbranch_execz .LBB28_11
; %bb.8:
	s_waitcnt lgkmcnt(0)
	s_mul_i32 s5, s5, s8
	s_mul_hi_u32 s8, s11, s4
	s_load_dwordx4 s[16:19], s[0:1], 0x0
	s_add_i32 s8, s4, s8
	s_lshr_b32 s8, s8, s22
	s_mul_i32 s8, s8, s12
	s_mul_i32 s13, s4, s13
	s_mul_i32 s15, s2, s21
	s_add_i32 s5, s8, s5
	s_add_i32 s5, s5, s15
	s_mul_hi_u32 s8, s13, 36
	s_mul_i32 s13, s13, 36
	s_mul_i32 s9, s23, s9
	s_waitcnt lgkmcnt(0)
	s_add_u32 s12, s18, s13
	s_mul_hi_u32 s11, s9, 36
	s_mul_i32 s9, s9, 36
	s_addc_u32 s13, s19, s8
	v_add_u32_e32 v2, v1, v6
	s_add_u32 s8, s12, s9
	v_lshlrev_b32_e32 v0, 1, v6
	v_lshrrev_b32_e32 v2, 1, v2
	s_addc_u32 s9, s13, s11
	v_and_b32_e32 v4, 2, v0
	v_mov_b32_e32 v1, 0
	v_and_b32_e32 v0, 1, v6
	v_mad_u64_u32 v[2:3], s[8:9], v2, 36, s[8:9]
	v_lshlrev_b32_e32 v0, 3, v0
	s_mov_b64 s[8:9], 0
	v_lshlrev_b32_e32 v4, 2, v4
	v_mov_b32_e32 v5, v1
	s_mov_b32 s11, 0.5
	s_mov_b64 s[12:13], 0x900
	v_mov_b32_e32 v9, v1
.LBB28_9:                               ; =>This Inner Loop Header: Depth=1
	v_add_u32_e32 v12, s5, v8
	v_lshl_add_u64 v[10:11], v[2:3], 0, v[0:1]
	v_mad_i64_i32 v[12:13], s[18:19], v12, 20, s[16:17]
	global_load_dwordx2 v[14:15], v[10:11], off offset:4
	global_load_dwordx2 v[16:17], v[10:11], off offset:20
	global_load_dword v20, v[2:3], off
	v_lshl_add_u64 v[10:11], v[12:13], 0, v[4:5]
	global_load_dwordx2 v[18:19], v[10:11], off offset:4
	global_load_dword v21, v[12:13], off
	v_mov_b32_e32 v10, 0
	v_add_u32_e32 v8, 64, v8
	v_cmp_le_u32_e32 vcc, s3, v8
	v_lshl_add_u64 v[2:3], v[2:3], 0, s[12:13]
	s_or_b64 s[8:9], vcc, s[8:9]
	s_waitcnt vmcnt(1)
	v_and_b32_e32 v11, 0xf0f0f0f, v18
	v_lshrrev_b32_e32 v12, 4, v18
	v_and_b32_e32 v12, 0xf0f0f0f, v12
	v_dot4c_i32_i8_e32 v10, v11, v14
	v_and_b32_e32 v13, 0xf0f0f0f, v19
	v_lshrrev_b32_e32 v18, 4, v19
	v_dot4c_i32_i8_e32 v10, v12, v16
	v_and_b32_e32 v11, 0xf0f0f0f, v18
	v_dot4c_i32_i8_e32 v10, v13, v15
	s_waitcnt vmcnt(0)
	v_pk_mul_f16 v19, v21, v20
	v_dot4c_i32_i8_e32 v10, v11, v17
	v_cvt_f32_f16_e32 v14, v19
	s_nop 1
	v_cvt_f32_i32_e32 v10, v10
	v_mul_f32_e32 v10, v10, v14
	v_fma_mix_f32 v10, v19, s11, v10 op_sel:[1,0,0] op_sel_hi:[1,0,0]
	s_nop 0
	v_add_f32_e32 v9, v9, v10
	s_andn2_b64 exec, exec, s[8:9]
	s_cbranch_execnz .LBB28_9
; %bb.10:
	s_or_b64 exec, exec, s[8:9]
.LBB28_11:
	s_or_b64 exec, exec, s[6:7]
	v_cmp_eq_u32_e32 vcc, 0, v7
	v_cmp_ne_u32_e64 s[6:7], 0, v7
	v_lshlrev_b32_e32 v0, 2, v6
	s_waitcnt lgkmcnt(0)
	s_and_saveexec_b64 s[8:9], s[6:7]
	s_cbranch_execz .LBB28_13
; %bb.12:
	v_lshlrev_b32_e32 v1, 8, v7
	s_movk_i32 s3, 0xff00
	v_add3_u32 v1, v1, v0, s3
	ds_write_b32 v1, v9
.LBB28_13:
	s_or_b64 exec, exec, s[8:9]
	s_waitcnt lgkmcnt(0)
	s_barrier
	s_and_saveexec_b64 s[6:7], vcc
	s_cbranch_execz .LBB28_16
; %bb.14:
	v_mbcnt_lo_u32_b32 v1, -1, 0
	ds_read_b32 v0, v0
	v_mbcnt_hi_u32_b32 v1, -1, v1
	v_and_b32_e32 v2, 64, v1
	v_add_u32_e32 v2, 64, v2
	v_xor_b32_e32 v3, 32, v1
	v_cmp_lt_i32_e32 vcc, v3, v2
	s_waitcnt lgkmcnt(0)
	v_add_f32_e32 v0, v9, v0
	s_mov_b32 s3, 0
	v_cndmask_b32_e32 v3, v1, v3, vcc
	v_lshlrev_b32_e32 v3, 2, v3
	ds_bpermute_b32 v3, v3, v0
	s_waitcnt lgkmcnt(0)
	v_add_f32_e32 v0, v0, v3
	v_xor_b32_e32 v3, 16, v1
	v_cmp_lt_i32_e32 vcc, v3, v2
	s_nop 1
	v_cndmask_b32_e32 v3, v1, v3, vcc
	v_lshlrev_b32_e32 v3, 2, v3
	ds_bpermute_b32 v3, v3, v0
	s_waitcnt lgkmcnt(0)
	v_add_f32_e32 v0, v0, v3
	v_xor_b32_e32 v3, 8, v1
	v_cmp_lt_i32_e32 vcc, v3, v2
	s_nop 1
	;; [unrolled: 8-line block ×5, first 2 shown]
	v_cndmask_b32_e32 v1, v1, v3, vcc
	v_lshlrev_b32_e32 v1, 2, v1
	ds_bpermute_b32 v1, v1, v0
	v_cmp_eq_u32_e32 vcc, 0, v6
	s_and_b64 exec, exec, vcc
	s_cbranch_execz .LBB28_16
; %bb.15:
	s_load_dwordx2 s[0:1], s[0:1], 0x38
	s_mul_i32 s5, s20, s10
	s_mul_i32 s4, s4, s14
	s_add_i32 s2, s5, s2
	s_add_i32 s2, s2, s4
	s_lshl_b64 s[2:3], s[2:3], 2
	s_waitcnt lgkmcnt(0)
	s_add_u32 s0, s0, s2
	s_addc_u32 s1, s1, s3
	v_mov_b32_e32 v2, 0
	v_add_f32_e32 v0, v0, v1
	global_store_dword v2, v0, s[0:1]
.LBB28_16:
	s_endpgm
	.section	.rodata,"a",@progbits
	.p2align	6, 0x0
	.amdhsa_kernel _ZL13mul_mat_vec_qIL9ggml_type3ELi1ELb0ELb0EEvPKvS2_PKi31ggml_cuda_mm_fusion_args_devicePfj15HIP_vector_typeIjLj3EEjjjS8_jjjS8_jjjj
		.amdhsa_group_segment_fixed_size 256
		.amdhsa_private_segment_fixed_size 0
		.amdhsa_kernarg_size 144
		.amdhsa_user_sgpr_count 2
		.amdhsa_user_sgpr_dispatch_ptr 0
		.amdhsa_user_sgpr_queue_ptr 0
		.amdhsa_user_sgpr_kernarg_segment_ptr 1
		.amdhsa_user_sgpr_dispatch_id 0
		.amdhsa_user_sgpr_kernarg_preload_length 0
		.amdhsa_user_sgpr_kernarg_preload_offset 0
		.amdhsa_user_sgpr_private_segment_size 0
		.amdhsa_uses_dynamic_stack 0
		.amdhsa_enable_private_segment 0
		.amdhsa_system_sgpr_workgroup_id_x 1
		.amdhsa_system_sgpr_workgroup_id_y 1
		.amdhsa_system_sgpr_workgroup_id_z 1
		.amdhsa_system_sgpr_workgroup_info 0
		.amdhsa_system_vgpr_workitem_id 1
		.amdhsa_next_free_vgpr 22
		.amdhsa_next_free_sgpr 24
		.amdhsa_accum_offset 24
		.amdhsa_reserve_vcc 1
		.amdhsa_float_round_mode_32 0
		.amdhsa_float_round_mode_16_64 0
		.amdhsa_float_denorm_mode_32 3
		.amdhsa_float_denorm_mode_16_64 3
		.amdhsa_dx10_clamp 1
		.amdhsa_ieee_mode 1
		.amdhsa_fp16_overflow 0
		.amdhsa_tg_split 0
		.amdhsa_exception_fp_ieee_invalid_op 0
		.amdhsa_exception_fp_denorm_src 0
		.amdhsa_exception_fp_ieee_div_zero 0
		.amdhsa_exception_fp_ieee_overflow 0
		.amdhsa_exception_fp_ieee_underflow 0
		.amdhsa_exception_fp_ieee_inexact 0
		.amdhsa_exception_int_div_zero 0
	.end_amdhsa_kernel
	.section	.text._ZL13mul_mat_vec_qIL9ggml_type3ELi1ELb0ELb0EEvPKvS2_PKi31ggml_cuda_mm_fusion_args_devicePfj15HIP_vector_typeIjLj3EEjjjS8_jjjS8_jjjj,"axG",@progbits,_ZL13mul_mat_vec_qIL9ggml_type3ELi1ELb0ELb0EEvPKvS2_PKi31ggml_cuda_mm_fusion_args_devicePfj15HIP_vector_typeIjLj3EEjjjS8_jjjS8_jjjj,comdat
.Lfunc_end28:
	.size	_ZL13mul_mat_vec_qIL9ggml_type3ELi1ELb0ELb0EEvPKvS2_PKi31ggml_cuda_mm_fusion_args_devicePfj15HIP_vector_typeIjLj3EEjjjS8_jjjS8_jjjj, .Lfunc_end28-_ZL13mul_mat_vec_qIL9ggml_type3ELi1ELb0ELb0EEvPKvS2_PKi31ggml_cuda_mm_fusion_args_devicePfj15HIP_vector_typeIjLj3EEjjjS8_jjjS8_jjjj
                                        ; -- End function
	.section	.AMDGPU.csdata,"",@progbits
; Kernel info:
; codeLenInByte = 996
; NumSgprs: 30
; NumVgprs: 22
; NumAgprs: 0
; TotalNumVgprs: 22
; ScratchSize: 0
; MemoryBound: 0
; FloatMode: 240
; IeeeMode: 1
; LDSByteSize: 256 bytes/workgroup (compile time only)
; SGPRBlocks: 3
; VGPRBlocks: 2
; NumSGPRsForWavesPerEU: 30
; NumVGPRsForWavesPerEU: 22
; AccumOffset: 24
; Occupancy: 8
; WaveLimiterHint : 0
; COMPUTE_PGM_RSRC2:SCRATCH_EN: 0
; COMPUTE_PGM_RSRC2:USER_SGPR: 2
; COMPUTE_PGM_RSRC2:TRAP_HANDLER: 0
; COMPUTE_PGM_RSRC2:TGID_X_EN: 1
; COMPUTE_PGM_RSRC2:TGID_Y_EN: 1
; COMPUTE_PGM_RSRC2:TGID_Z_EN: 1
; COMPUTE_PGM_RSRC2:TIDIG_COMP_CNT: 1
; COMPUTE_PGM_RSRC3_GFX90A:ACCUM_OFFSET: 5
; COMPUTE_PGM_RSRC3_GFX90A:TG_SPLIT: 0
	.section	.text._ZL13mul_mat_vec_qIL9ggml_type3ELi2ELb0ELb0EEvPKvS2_PKi31ggml_cuda_mm_fusion_args_devicePfj15HIP_vector_typeIjLj3EEjjjS8_jjjS8_jjjj,"axG",@progbits,_ZL13mul_mat_vec_qIL9ggml_type3ELi2ELb0ELb0EEvPKvS2_PKi31ggml_cuda_mm_fusion_args_devicePfj15HIP_vector_typeIjLj3EEjjjS8_jjjS8_jjjj,comdat
	.globl	_ZL13mul_mat_vec_qIL9ggml_type3ELi2ELb0ELb0EEvPKvS2_PKi31ggml_cuda_mm_fusion_args_devicePfj15HIP_vector_typeIjLj3EEjjjS8_jjjS8_jjjj ; -- Begin function _ZL13mul_mat_vec_qIL9ggml_type3ELi2ELb0ELb0EEvPKvS2_PKi31ggml_cuda_mm_fusion_args_devicePfj15HIP_vector_typeIjLj3EEjjjS8_jjjS8_jjjj
	.p2align	8
	.type	_ZL13mul_mat_vec_qIL9ggml_type3ELi2ELb0ELb0EEvPKvS2_PKi31ggml_cuda_mm_fusion_args_devicePfj15HIP_vector_typeIjLj3EEjjjS8_jjjS8_jjjj,@function
_ZL13mul_mat_vec_qIL9ggml_type3ELi2ELb0ELb0EEvPKvS2_PKi31ggml_cuda_mm_fusion_args_devicePfj15HIP_vector_typeIjLj3EEjjjS8_jjjS8_jjjj: ; @_ZL13mul_mat_vec_qIL9ggml_type3ELi2ELb0ELb0EEvPKvS2_PKi31ggml_cuda_mm_fusion_args_devicePfj15HIP_vector_typeIjLj3EEjjjS8_jjjS8_jjjj
; %bb.0:
	s_load_dwordx2 s[20:21], s[0:1], 0x4
	s_load_dword s7, s[2:3], 0x40
	s_load_dwordx4 s[8:11], s[2:3], 0x50
	s_load_dword s25, s[2:3], 0x60
	s_load_dwordx4 s[12:15], s[2:3], 0x68
	;; [unrolled: 2-line block ×3, first 2 shown]
	s_waitcnt lgkmcnt(0)
	s_lshr_b32 s0, s20, 16
	v_bfe_u32 v14, v0, 10, 10
	v_and_b32_e32 v12, 0x3ff, v0
	s_mul_i32 s0, s0, s21
	v_mul_u32_u24_e32 v1, s21, v14
	v_mad_u32_u24 v1, s0, v12, v1
	v_bfe_u32 v0, v0, 20, 10
	v_add_lshl_u32 v4, v1, v0, 4
	v_mov_b32_e32 v0, 0
	v_lshlrev_b32_e32 v5, 6, v14
	v_mov_b32_e32 v1, v0
	v_mov_b32_e32 v2, v0
	;; [unrolled: 1-line block ×3, first 2 shown]
	ds_write_b128 v4, v[0:3] offset:1024
	v_add_u16_e32 v3, v5, v12
	s_lshr_b32 s7, s7, 5
	v_lshrrev_b16_e32 v1, 1, v3
	v_add_u32_e32 v13, 0x400, v4
	s_lshl_b32 s4, s4, 1
	v_cmp_gt_u32_e32 vcc, s7, v1
	v_mov_b32_e32 v4, v0
	v_mov_b32_e32 v5, v0
	s_and_saveexec_b64 s[0:1], vcc
	s_cbranch_execz .LBB29_4
; %bb.1:
	s_load_dwordx4 s[20:23], s[2:3], 0x0
	s_mul_i32 s17, s6, s17
	s_mul_hi_u32 s19, s17, 36
	s_mul_i32 s17, s17, 36
	s_mul_i32 s13, s5, s13
	s_waitcnt lgkmcnt(0)
	s_add_u32 s17, s22, s17
	s_addc_u32 s19, s23, s19
	s_mul_hi_u32 s23, s13, 36
	s_mul_i32 s13, s13, 36
	s_add_u32 s22, s17, s13
	s_mul_hi_u32 s11, s11, s5
	s_addc_u32 s23, s19, s23
	s_add_i32 s11, s5, s11
	s_lshr_b32 s11, s11, s25
	s_mul_i32 s11, s11, s12
	s_mul_hi_u32 s12, s15, s6
	s_add_i32 s12, s6, s12
	v_and_b32_e32 v2, 1, v12
	s_lshr_b32 s12, s12, s24
	v_lshlrev_b32_e32 v6, 3, v2
	v_lshrrev_b16_e32 v2, 1, v3
	s_mul_i32 s15, s12, s16
	v_mad_u64_u32 v[8:9], s[12:13], v2, 36, s[22:23]
	v_lshlrev_b32_e32 v0, 1, v12
	s_add_i32 s12, s4, 1
	v_and_b32_e32 v0, 2, v0
	v_mov_b32_e32 v7, 0
	s_mul_i32 s16, s4, s8
	s_add_i32 s11, s15, s11
	s_mul_i32 s8, s8, s12
	s_add_i32 s8, s11, s8
	s_add_i32 s11, s11, s16
	s_mov_b64 s[12:13], 0
	v_lshlrev_b32_e32 v10, 2, v0
	v_mov_b32_e32 v11, v7
	s_mov_b32 s15, 0.5
	s_mov_b64 s[16:17], 0x900
	v_mov_b32_e32 v2, v7
	v_mov_b32_e32 v0, v7
	;; [unrolled: 1-line block ×4, first 2 shown]
.LBB29_2:                               ; =>This Inner Loop Header: Depth=1
	v_add_u32_e32 v3, s11, v1
	v_lshl_add_u64 v[16:17], v[8:9], 0, v[6:7]
	global_load_dword v15, v[8:9], off
	v_add_u32_e32 v22, s8, v1
	v_add_u32_e32 v24, s9, v1
	global_load_dwordx2 v[18:19], v[16:17], off offset:4
	global_load_dwordx2 v[20:21], v[16:17], off offset:20
	v_mad_i64_i32 v[16:17], s[24:25], v3, 20, s[20:21]
	v_mad_i64_i32 v[22:23], s[24:25], v22, 20, s[20:21]
	v_mad_u64_u32 v[24:25], s[24:25], v24, 36, s[22:23]
	v_lshl_add_u64 v[26:27], v[16:17], 0, v[10:11]
	v_lshl_add_u64 v[28:29], v[22:23], 0, v[10:11]
	;; [unrolled: 1-line block ×3, first 2 shown]
	global_load_dwordx2 v[32:33], v[26:27], off offset:4
	global_load_dword v3, v[22:23], off
	global_load_dword v40, v[16:17], off
	global_load_dwordx2 v[34:35], v[28:29], off offset:4
	global_load_dwordx2 v[36:37], v[30:31], off offset:20
	;; [unrolled: 1-line block ×3, first 2 shown]
	global_load_dword v41, v[24:25], off
	v_mov_b32_e32 v24, 0
	v_mov_b32_e32 v25, 0
	;; [unrolled: 1-line block ×4, first 2 shown]
	v_add_u32_e32 v1, 64, v1
	v_cmp_le_u32_e32 vcc, s7, v1
	v_lshl_add_u64 v[8:9], v[8:9], 0, s[16:17]
	s_or_b64 s[12:13], vcc, s[12:13]
	s_waitcnt vmcnt(6)
	v_and_b32_e32 v16, 0xf0f0f0f, v32
	v_lshrrev_b32_e32 v17, 4, v32
	v_dot4c_i32_i8_e32 v24, v16, v18
	s_waitcnt vmcnt(3)
	v_and_b32_e32 v23, 0xf0f0f0f, v34
	v_lshrrev_b32_e32 v30, 4, v34
	v_and_b32_e32 v34, 0xf0f0f0f, v17
	v_and_b32_e32 v30, 0xf0f0f0f, v30
	v_dot4c_i32_i8_e32 v25, v23, v18
	s_waitcnt vmcnt(1)
	v_dot4c_i32_i8_e32 v26, v16, v38
	v_dot4c_i32_i8_e32 v27, v23, v38
	v_and_b32_e32 v28, 0xf0f0f0f, v33
	v_lshrrev_b32_e32 v22, 4, v33
	v_and_b32_e32 v31, 0xf0f0f0f, v35
	v_lshrrev_b32_e32 v32, 4, v35
	v_dot4c_i32_i8_e32 v24, v34, v20
	v_dot4c_i32_i8_e32 v25, v30, v20
	;; [unrolled: 1-line block ×4, first 2 shown]
	v_and_b32_e32 v35, 0xf0f0f0f, v22
	v_and_b32_e32 v18, 0xf0f0f0f, v32
	v_dot4c_i32_i8_e32 v24, v28, v19
	v_dot4c_i32_i8_e32 v25, v31, v19
	;; [unrolled: 1-line block ×4, first 2 shown]
	v_pk_mul_f16 v29, v40, v15
	v_pk_mul_f16 v15, v3, v15
	s_waitcnt vmcnt(0)
	v_pk_mul_f16 v33, v40, v41
	v_pk_mul_f16 v3, v3, v41
	v_dot4c_i32_i8_e32 v24, v35, v21
	v_dot4c_i32_i8_e32 v25, v18, v21
	;; [unrolled: 1-line block ×4, first 2 shown]
	v_cvt_f32_f16_e32 v40, v29
	v_cvt_f32_f16_e32 v32, v15
	;; [unrolled: 1-line block ×4, first 2 shown]
	v_cvt_f32_f16_sdwa v23, v3 dst_sel:DWORD dst_unused:UNUSED_PAD src0_sel:WORD_1
	v_cvt_f32_i32_e32 v3, v24
	v_cvt_f32_i32_e32 v20, v25
	;; [unrolled: 1-line block ×4, first 2 shown]
	v_cvt_f32_f16_sdwa v22, v33 dst_sel:DWORD dst_unused:UNUSED_PAD src0_sel:WORD_1
	v_mul_f32_e32 v3, v3, v40
	v_mul_f32_e32 v20, v20, v32
	v_pk_mul_f32 v[16:17], v[18:19], v[16:17]
	v_fma_mix_f32 v3, v29, s15, v3 op_sel:[1,0,0] op_sel_hi:[1,0,0]
	v_fma_mix_f32 v15, v15, s15, v20 op_sel:[1,0,0] op_sel_hi:[1,0,0]
	v_pk_fma_f32 v[16:17], v[22:23], 0.5, v[16:17] op_sel_hi:[1,0,1]
	v_add_f32_e32 v2, v2, v3
	v_add_f32_e32 v0, v0, v15
	v_pk_add_f32 v[4:5], v[4:5], v[16:17]
	s_andn2_b64 exec, exec, s[12:13]
	s_cbranch_execnz .LBB29_2
; %bb.3:
	s_or_b64 exec, exec, s[12:13]
	v_mov_b32_e32 v3, v0
	ds_write_b128 v13, v[2:5]
.LBB29_4:
	s_or_b64 exec, exec, s[0:1]
	v_cmp_eq_u32_e32 vcc, 0, v14
	v_cmp_ne_u32_e64 s[0:1], 0, v14
	v_lshlrev_b32_e32 v1, 2, v12
	s_and_saveexec_b64 s[8:9], s[0:1]
	s_cbranch_execz .LBB29_6
; %bb.5:
	v_lshl_or_b32 v3, v14, 10, v1
	v_add_u32_e32 v3, 0xfffffc00, v3
	ds_write2st64_b32 v3, v2, v0 offset1:1
	ds_write2st64_b32 v3, v4, v5 offset0:2 offset1:3
.LBB29_6:
	s_or_b64 exec, exec, s[8:9]
	s_waitcnt lgkmcnt(0)
	s_barrier
	s_and_saveexec_b64 s[0:1], vcc
	s_cbranch_execz .LBB29_11
; %bb.7:
	v_mbcnt_lo_u32_b32 v0, -1, 0
	v_mbcnt_hi_u32_b32 v14, -1, v0
	ds_read2st64_b32 v[2:3], v1 offset1:1
	ds_read_b64 v[4:5], v13
	v_and_b32_e32 v0, 64, v14
	v_add_u32_e32 v15, 64, v0
	v_xor_b32_e32 v0, 32, v14
	v_cmp_lt_i32_e32 vcc, v0, v15
	s_waitcnt lgkmcnt(0)
	v_pk_add_f32 v[4:5], v[2:3], v[4:5]
	v_xor_b32_e32 v2, 16, v14
	v_cndmask_b32_e32 v0, v14, v0, vcc
	v_lshlrev_b32_e32 v0, 2, v0
	ds_bpermute_b32 v6, v0, v4
	ds_bpermute_b32 v7, v0, v5
	v_cmp_lt_i32_e32 vcc, v2, v15
	v_xor_b32_e32 v3, 8, v14
	s_load_dwordx2 s[0:1], s[2:3], 0x38
	v_cndmask_b32_e32 v2, v14, v2, vcc
	v_lshlrev_b32_e32 v2, 2, v2
	s_waitcnt lgkmcnt(0)
	v_pk_add_f32 v[4:5], v[4:5], v[6:7]
	ds_bpermute_b32 v6, v2, v4
	ds_bpermute_b32 v7, v2, v5
	v_cmp_lt_i32_e32 vcc, v3, v15
	s_mul_i32 s2, s5, s14
	s_mul_i32 s6, s6, s18
	v_cndmask_b32_e32 v3, v14, v3, vcc
	v_lshlrev_b32_e32 v3, 2, v3
	s_waitcnt lgkmcnt(0)
	v_pk_add_f32 v[6:7], v[4:5], v[6:7]
	ds_bpermute_b32 v8, v3, v6
	ds_bpermute_b32 v9, v3, v7
	v_xor_b32_e32 v4, 4, v14
	v_cmp_lt_i32_e32 vcc, v4, v15
	v_xor_b32_e32 v5, 2, v14
	s_add_i32 s2, s2, s4
	v_cndmask_b32_e32 v4, v14, v4, vcc
	v_lshlrev_b32_e32 v4, 2, v4
	s_waitcnt lgkmcnt(0)
	v_pk_add_f32 v[6:7], v[6:7], v[8:9]
	ds_bpermute_b32 v8, v4, v6
	ds_bpermute_b32 v9, v4, v7
	v_cmp_lt_i32_e32 vcc, v5, v15
	s_add_i32 s2, s2, s6
	s_mov_b32 s3, 0
	v_cndmask_b32_e32 v5, v14, v5, vcc
	v_lshlrev_b32_e32 v5, 2, v5
	s_waitcnt lgkmcnt(0)
	v_pk_add_f32 v[8:9], v[6:7], v[8:9]
	ds_bpermute_b32 v10, v5, v8
	ds_bpermute_b32 v11, v5, v9
	v_xor_b32_e32 v6, 1, v14
	v_cmp_lt_i32_e32 vcc, v6, v15
	s_lshl_b64 s[2:3], s[2:3], 2
	s_add_u32 s2, s0, s2
	v_cndmask_b32_e32 v6, v14, v6, vcc
	v_lshlrev_b32_e32 v6, 2, v6
	s_waitcnt lgkmcnt(0)
	v_pk_add_f32 v[8:9], v[8:9], v[10:11]
	ds_bpermute_b32 v10, v6, v8
	ds_bpermute_b32 v11, v6, v9
	v_or_b32_e32 v7, s4, v12
	s_addc_u32 s3, s1, s3
	v_cmp_gt_u32_e32 vcc, 2, v12
	v_cmp_gt_u32_e64 s[0:1], s10, v7
	s_and_b64 s[0:1], vcc, s[0:1]
	s_waitcnt lgkmcnt(0)
	v_pk_add_f32 v[8:9], v[8:9], v[10:11]
	ds_write_b64 v13, v[8:9]
	s_and_saveexec_b64 s[4:5], s[0:1]
	s_cbranch_execz .LBB29_9
; %bb.8:
	v_add_u32_e32 v7, v13, v1
	ds_read_b32 v7, v7
	s_waitcnt lgkmcnt(0)
	global_store_dword v1, v7, s[2:3]
.LBB29_9:
	s_or_b64 exec, exec, s[4:5]
	ds_read2st64_b32 v[8:9], v1 offset0:2 offset1:3
	ds_read_b64 v[10:11], v13 offset:8
	s_waitcnt lgkmcnt(0)
	v_pk_add_f32 v[8:9], v[8:9], v[10:11]
	ds_bpermute_b32 v10, v0, v8
	ds_bpermute_b32 v11, v0, v9
	s_waitcnt lgkmcnt(0)
	v_pk_add_f32 v[0:1], v[8:9], v[10:11]
	ds_bpermute_b32 v8, v2, v0
	ds_bpermute_b32 v9, v2, v1
	;; [unrolled: 4-line block ×6, first 2 shown]
	s_waitcnt lgkmcnt(0)
	v_pk_add_f32 v[0:1], v[0:1], v[2:3]
	ds_write_b64 v13, v[0:1] offset:8
	s_and_b64 exec, exec, s[0:1]
	s_cbranch_execz .LBB29_11
; %bb.10:
	v_lshl_add_u32 v0, v12, 2, v13
	ds_read_b32 v2, v0 offset:8
	v_add_u32_e32 v0, s10, v12
	v_mov_b32_e32 v1, 0
	v_lshl_add_u64 v[0:1], v[0:1], 2, s[2:3]
	s_waitcnt lgkmcnt(0)
	global_store_dword v[0:1], v2, off
.LBB29_11:
	s_endpgm
	.section	.rodata,"a",@progbits
	.p2align	6, 0x0
	.amdhsa_kernel _ZL13mul_mat_vec_qIL9ggml_type3ELi2ELb0ELb0EEvPKvS2_PKi31ggml_cuda_mm_fusion_args_devicePfj15HIP_vector_typeIjLj3EEjjjS8_jjjS8_jjjj
		.amdhsa_group_segment_fixed_size 3072
		.amdhsa_private_segment_fixed_size 0
		.amdhsa_kernarg_size 144
		.amdhsa_user_sgpr_count 4
		.amdhsa_user_sgpr_dispatch_ptr 1
		.amdhsa_user_sgpr_queue_ptr 0
		.amdhsa_user_sgpr_kernarg_segment_ptr 1
		.amdhsa_user_sgpr_dispatch_id 0
		.amdhsa_user_sgpr_kernarg_preload_length 0
		.amdhsa_user_sgpr_kernarg_preload_offset 0
		.amdhsa_user_sgpr_private_segment_size 0
		.amdhsa_uses_dynamic_stack 0
		.amdhsa_enable_private_segment 0
		.amdhsa_system_sgpr_workgroup_id_x 1
		.amdhsa_system_sgpr_workgroup_id_y 1
		.amdhsa_system_sgpr_workgroup_id_z 1
		.amdhsa_system_sgpr_workgroup_info 0
		.amdhsa_system_vgpr_workitem_id 2
		.amdhsa_next_free_vgpr 42
		.amdhsa_next_free_sgpr 26
		.amdhsa_accum_offset 44
		.amdhsa_reserve_vcc 1
		.amdhsa_float_round_mode_32 0
		.amdhsa_float_round_mode_16_64 0
		.amdhsa_float_denorm_mode_32 3
		.amdhsa_float_denorm_mode_16_64 3
		.amdhsa_dx10_clamp 1
		.amdhsa_ieee_mode 1
		.amdhsa_fp16_overflow 0
		.amdhsa_tg_split 0
		.amdhsa_exception_fp_ieee_invalid_op 0
		.amdhsa_exception_fp_denorm_src 0
		.amdhsa_exception_fp_ieee_div_zero 0
		.amdhsa_exception_fp_ieee_overflow 0
		.amdhsa_exception_fp_ieee_underflow 0
		.amdhsa_exception_fp_ieee_inexact 0
		.amdhsa_exception_int_div_zero 0
	.end_amdhsa_kernel
	.section	.text._ZL13mul_mat_vec_qIL9ggml_type3ELi2ELb0ELb0EEvPKvS2_PKi31ggml_cuda_mm_fusion_args_devicePfj15HIP_vector_typeIjLj3EEjjjS8_jjjS8_jjjj,"axG",@progbits,_ZL13mul_mat_vec_qIL9ggml_type3ELi2ELb0ELb0EEvPKvS2_PKi31ggml_cuda_mm_fusion_args_devicePfj15HIP_vector_typeIjLj3EEjjjS8_jjjS8_jjjj,comdat
.Lfunc_end29:
	.size	_ZL13mul_mat_vec_qIL9ggml_type3ELi2ELb0ELb0EEvPKvS2_PKi31ggml_cuda_mm_fusion_args_devicePfj15HIP_vector_typeIjLj3EEjjjS8_jjjS8_jjjj, .Lfunc_end29-_ZL13mul_mat_vec_qIL9ggml_type3ELi2ELb0ELb0EEvPKvS2_PKi31ggml_cuda_mm_fusion_args_devicePfj15HIP_vector_typeIjLj3EEjjjS8_jjjS8_jjjj
                                        ; -- End function
	.section	.AMDGPU.csdata,"",@progbits
; Kernel info:
; codeLenInByte = 1628
; NumSgprs: 32
; NumVgprs: 42
; NumAgprs: 0
; TotalNumVgprs: 42
; ScratchSize: 0
; MemoryBound: 0
; FloatMode: 240
; IeeeMode: 1
; LDSByteSize: 3072 bytes/workgroup (compile time only)
; SGPRBlocks: 3
; VGPRBlocks: 5
; NumSGPRsForWavesPerEU: 32
; NumVGPRsForWavesPerEU: 42
; AccumOffset: 44
; Occupancy: 8
; WaveLimiterHint : 0
; COMPUTE_PGM_RSRC2:SCRATCH_EN: 0
; COMPUTE_PGM_RSRC2:USER_SGPR: 4
; COMPUTE_PGM_RSRC2:TRAP_HANDLER: 0
; COMPUTE_PGM_RSRC2:TGID_X_EN: 1
; COMPUTE_PGM_RSRC2:TGID_Y_EN: 1
; COMPUTE_PGM_RSRC2:TGID_Z_EN: 1
; COMPUTE_PGM_RSRC2:TIDIG_COMP_CNT: 2
; COMPUTE_PGM_RSRC3_GFX90A:ACCUM_OFFSET: 10
; COMPUTE_PGM_RSRC3_GFX90A:TG_SPLIT: 0
	.section	.text._ZL13mul_mat_vec_qIL9ggml_type3ELi3ELb0ELb0EEvPKvS2_PKi31ggml_cuda_mm_fusion_args_devicePfj15HIP_vector_typeIjLj3EEjjjS8_jjjS8_jjjj,"axG",@progbits,_ZL13mul_mat_vec_qIL9ggml_type3ELi3ELb0ELb0EEvPKvS2_PKi31ggml_cuda_mm_fusion_args_devicePfj15HIP_vector_typeIjLj3EEjjjS8_jjjS8_jjjj,comdat
	.globl	_ZL13mul_mat_vec_qIL9ggml_type3ELi3ELb0ELb0EEvPKvS2_PKi31ggml_cuda_mm_fusion_args_devicePfj15HIP_vector_typeIjLj3EEjjjS8_jjjS8_jjjj ; -- Begin function _ZL13mul_mat_vec_qIL9ggml_type3ELi3ELb0ELb0EEvPKvS2_PKi31ggml_cuda_mm_fusion_args_devicePfj15HIP_vector_typeIjLj3EEjjjS8_jjjS8_jjjj
	.p2align	8
	.type	_ZL13mul_mat_vec_qIL9ggml_type3ELi3ELb0ELb0EEvPKvS2_PKi31ggml_cuda_mm_fusion_args_devicePfj15HIP_vector_typeIjLj3EEjjjS8_jjjS8_jjjj,@function
_ZL13mul_mat_vec_qIL9ggml_type3ELi3ELb0ELb0EEvPKvS2_PKi31ggml_cuda_mm_fusion_args_devicePfj15HIP_vector_typeIjLj3EEjjjS8_jjjS8_jjjj: ; @_ZL13mul_mat_vec_qIL9ggml_type3ELi3ELb0ELb0EEvPKvS2_PKi31ggml_cuda_mm_fusion_args_devicePfj15HIP_vector_typeIjLj3EEjjjS8_jjjS8_jjjj
; %bb.0:
	v_bfe_u32 v13, v0, 10, 10
	v_and_b32_e32 v12, 0x3ff, v0
	v_mov_b32_e32 v0, 0
	v_lshlrev_b32_e32 v8, 6, v13
	v_mov_b32_e32 v1, v0
	v_mov_b32_e32 v2, v0
	v_mov_b32_e32 v3, v0
	s_load_dword s6, s[0:1], 0x40
	s_load_dwordx4 s[8:11], s[0:1], 0x50
	s_load_dword s25, s[0:1], 0x60
	s_load_dwordx4 s[12:15], s[0:1], 0x68
	;; [unrolled: 2-line block ×3, first 2 shown]
	scratch_store_dwordx2 off, v[0:1], off offset:16
	scratch_store_dwordx4 off, v[0:3], off
	s_lshl_b32 s5, s2, 1
	s_waitcnt lgkmcnt(0)
	s_lshr_b32 s2, s6, 5
	v_add_u16_e32 v1, v8, v12
	v_lshrrev_b16_e32 v14, 1, v1
	v_cmp_gt_u32_e32 vcc, s2, v14
	v_mov_b32_e32 v1, v0
	v_mov_b32_e32 v6, v0
	;; [unrolled: 1-line block ×3, first 2 shown]
	s_and_saveexec_b64 s[6:7], vcc
	s_cbranch_execz .LBB30_4
; %bb.1:
	s_load_dwordx4 s[20:23], s[0:1], 0x0
	s_mul_i32 s17, s4, s17
	s_mul_hi_u32 s19, s17, 36
	s_mul_i32 s17, s17, 36
	s_mul_i32 s13, s3, s13
	s_waitcnt lgkmcnt(0)
	s_add_u32 s17, s22, s17
	s_addc_u32 s19, s23, s19
	s_mul_hi_u32 s23, s13, 36
	s_mul_i32 s13, s13, 36
	s_add_u32 s22, s17, s13
	s_mul_hi_u32 s11, s11, s3
	s_addc_u32 s23, s19, s23
	s_add_i32 s11, s3, s11
	s_lshr_b32 s11, s11, s25
	v_and_b32_e32 v1, 1, v12
	v_xor_b32_e32 v2, v8, v12
	s_mul_i32 s17, s11, s12
	s_mul_hi_u32 s11, s15, s4
	v_lshlrev_b32_e32 v4, 3, v1
	v_and_b32_e32 v1, v8, v12
	v_lshrrev_b16_e32 v2, 1, v2
	s_add_i32 s11, s4, s11
	v_add_u16_e32 v1, v1, v2
	s_lshr_b32 s11, s11, s24
	v_mad_u64_u32 v[8:9], s[12:13], v1, 36, s[22:23]
	s_mul_i32 s15, s11, s16
	v_lshlrev_b32_e32 v0, 1, v12
	s_add_i32 s12, s5, 1
	v_and_b32_e32 v0, 2, v0
	v_mov_b32_e32 v5, 0
	s_mul_i32 s16, s5, s8
	s_add_i32 s15, s15, s17
	s_mul_i32 s8, s8, s12
	s_lshl_b32 s11, s9, 1
	s_add_i32 s8, s15, s8
	s_add_i32 s15, s15, s16
	s_mov_b64 s[12:13], 0
	v_lshlrev_b32_e32 v10, 2, v0
	v_mov_b32_e32 v11, v5
	s_mov_b64 s[16:17], 0x900
	v_mov_b32_e32 v2, v5
	v_mov_b32_e32 v3, v5
	;; [unrolled: 1-line block ×6, first 2 shown]
.LBB30_2:                               ; =>This Inner Loop Header: Depth=1
	v_add_u32_e32 v15, s15, v14
	v_lshl_add_u64 v[16:17], v[8:9], 0, v[4:5]
	global_load_dword v48, v[8:9], off
	v_add_u32_e32 v22, s8, v14
	v_add_u32_e32 v24, s9, v14
	;; [unrolled: 1-line block ×3, first 2 shown]
	global_load_dwordx2 v[18:19], v[16:17], off offset:4
	global_load_dwordx2 v[20:21], v[16:17], off offset:20
	v_mad_i64_i32 v[16:17], s[24:25], v15, 20, s[20:21]
	v_mad_i64_i32 v[22:23], s[24:25], v22, 20, s[20:21]
	v_mad_u64_u32 v[24:25], s[24:25], v24, 36, s[22:23]
	v_mad_u64_u32 v[26:27], s[24:25], v26, 36, s[22:23]
	v_lshl_add_u64 v[28:29], v[16:17], 0, v[10:11]
	v_lshl_add_u64 v[30:31], v[22:23], 0, v[10:11]
	;; [unrolled: 1-line block ×4, first 2 shown]
	global_load_dwordx2 v[36:37], v[28:29], off offset:4
	global_load_dwordx2 v[38:39], v[30:31], off offset:4
	global_load_dword v15, v[22:23], off
	global_load_dword v49, v[16:17], off
	global_load_dwordx2 v[40:41], v[34:35], off offset:4
	global_load_dwordx2 v[42:43], v[34:35], off offset:20
	;; [unrolled: 1-line block ×3, first 2 shown]
	global_load_dword v50, v[26:27], off
	global_load_dwordx2 v[46:47], v[32:33], off offset:4
	global_load_dword v51, v[24:25], off
	v_mov_b32_e32 v32, 0
	v_mov_b32_e32 v33, 0
	;; [unrolled: 1-line block ×6, first 2 shown]
	v_add_u32_e32 v14, 64, v14
	v_cmp_le_u32_e32 vcc, s2, v14
	v_lshl_add_u64 v[8:9], v[8:9], 0, s[16:17]
	s_or_b64 s[12:13], vcc, s[12:13]
	s_waitcnt vmcnt(9)
	v_and_b32_e32 v28, 0xf0f0f0f, v36
	v_lshrrev_b32_e32 v16, 4, v36
	s_waitcnt vmcnt(8)
	v_and_b32_e32 v29, 0xf0f0f0f, v38
	v_lshrrev_b32_e32 v23, 4, v38
	s_waitcnt vmcnt(6)
	v_pk_mul_f16 v22, v49, v48
	v_pk_mul_f16 v25, v15, v48
	v_and_b32_e32 v38, 0xf0f0f0f, v16
	v_dot4c_i32_i8_e32 v32, v28, v18
	v_and_b32_e32 v48, 0xf0f0f0f, v23
	v_dot4c_i32_i8_e32 v33, v29, v18
	s_waitcnt vmcnt(1)
	v_dot4c_i32_i8_e32 v34, v28, v46
	v_dot4c_i32_i8_e32 v35, v29, v46
	;; [unrolled: 1-line block ×4, first 2 shown]
	v_and_b32_e32 v36, 0xf0f0f0f, v37
	v_lshrrev_b32_e32 v17, 4, v37
	v_and_b32_e32 v37, 0xf0f0f0f, v39
	v_lshrrev_b32_e32 v24, 4, v39
	v_dot4c_i32_i8_e32 v32, v38, v20
	v_dot4c_i32_i8_e32 v33, v48, v20
	;; [unrolled: 1-line block ×6, first 2 shown]
	v_and_b32_e32 v39, 0xf0f0f0f, v17
	v_and_b32_e32 v18, 0xf0f0f0f, v24
	v_dot4c_i32_i8_e32 v32, v36, v19
	v_dot4c_i32_i8_e32 v33, v37, v19
	;; [unrolled: 1-line block ×6, first 2 shown]
	s_waitcnt vmcnt(0)
	v_pk_mul_f16 v26, v49, v51
	v_pk_mul_f16 v27, v15, v51
	;; [unrolled: 1-line block ×4, first 2 shown]
	v_dot4c_i32_i8_e32 v32, v39, v21
	v_dot4c_i32_i8_e32 v33, v18, v21
	;; [unrolled: 1-line block ×6, first 2 shown]
	v_cvt_f32_f16_e32 v17, v25
	v_cvt_f32_f16_e32 v16, v22
	v_cvt_f32_f16_sdwa v23, v25 dst_sel:DWORD dst_unused:UNUSED_PAD src0_sel:WORD_1
	v_cvt_f32_f16_e32 v25, v27
	v_cvt_f32_f16_e32 v24, v26
	;; [unrolled: 1-line block ×4, first 2 shown]
	v_cvt_f32_i32_e32 v19, v33
	v_cvt_f32_i32_e32 v18, v32
	;; [unrolled: 1-line block ×6, first 2 shown]
	v_cvt_f32_f16_sdwa v22, v22 dst_sel:DWORD dst_unused:UNUSED_PAD src0_sel:WORD_1
	v_cvt_f32_f16_sdwa v27, v27 dst_sel:DWORD dst_unused:UNUSED_PAD src0_sel:WORD_1
	;; [unrolled: 1-line block ×5, first 2 shown]
	v_pk_mul_f32 v[16:17], v[18:19], v[16:17]
	v_pk_mul_f32 v[18:19], v[20:21], v[24:25]
	;; [unrolled: 1-line block ×3, first 2 shown]
	v_pk_fma_f32 v[16:17], v[22:23], 0.5, v[16:17] op_sel_hi:[1,0,1]
	v_pk_fma_f32 v[18:19], v[26:27], 0.5, v[18:19] op_sel_hi:[1,0,1]
	v_pk_fma_f32 v[20:21], v[30:31], 0.5, v[20:21] op_sel_hi:[1,0,1]
	v_pk_add_f32 v[2:3], v[2:3], v[16:17]
	v_pk_add_f32 v[0:1], v[0:1], v[18:19]
	;; [unrolled: 1-line block ×3, first 2 shown]
	s_andn2_b64 exec, exec, s[12:13]
	s_cbranch_execnz .LBB30_2
; %bb.3:
	s_or_b64 exec, exec, s[12:13]
	v_mov_b32_e32 v4, v0
	v_mov_b32_e32 v5, v1
	scratch_store_dwordx4 off, v[2:5], off
	scratch_store_dwordx2 off, v[6:7], off offset:16
.LBB30_4:
	s_or_b64 exec, exec, s[6:7]
	v_cmp_eq_u32_e32 vcc, 0, v13
	v_cmp_ne_u32_e64 s[6:7], 0, v13
	v_lshlrev_b32_e32 v4, 2, v12
	s_and_saveexec_b64 s[8:9], s[6:7]
	s_cbranch_execz .LBB30_6
; %bb.5:
	v_mul_u32_u24_e32 v5, 0x600, v13
	s_movk_i32 s2, 0xfa00
	v_add3_u32 v5, v5, v4, s2
	ds_write2st64_b32 v5, v2, v3 offset1:1
	ds_write2st64_b32 v5, v0, v1 offset0:2 offset1:3
	ds_write2st64_b32 v5, v6, v7 offset0:4 offset1:5
.LBB30_6:
	s_or_b64 exec, exec, s[8:9]
	s_waitcnt lgkmcnt(0)
	s_barrier
	s_and_saveexec_b64 s[6:7], vcc
	s_cbranch_execz .LBB30_13
; %bb.7:
	scratch_load_dwordx2 v[2:3], off, off
	v_mbcnt_lo_u32_b32 v0, -1, 0
	ds_read2st64_b32 v[6:7], v4 offset1:1
	v_mbcnt_hi_u32_b32 v13, -1, v0
	v_and_b32_e32 v0, 64, v13
	v_xor_b32_e32 v1, 32, v13
	v_add_u32_e32 v14, 64, v0
	v_cmp_lt_i32_e32 vcc, v1, v14
	v_xor_b32_e32 v5, 16, v13
	v_xor_b32_e32 v10, 8, v13
	v_cndmask_b32_e32 v0, v13, v1, vcc
	v_lshlrev_b32_e32 v0, 2, v0
	v_cmp_lt_i32_e32 vcc, v5, v14
	v_xor_b32_e32 v11, 4, v13
	v_xor_b32_e32 v15, 1, v13
	v_cndmask_b32_e32 v1, v13, v5, vcc
	v_lshlrev_b32_e32 v1, 2, v1
	v_cmp_lt_i32_e32 vcc, v10, v14
	v_xor_b32_e32 v5, 2, v13
	s_load_dwordx2 s[0:1], s[0:1], 0x38
	s_mul_i32 s2, s3, s14
	s_mul_i32 s4, s4, s18
	s_add_i32 s2, s2, s5
	s_mov_b32 s3, 0
	s_add_i32 s2, s2, s4
	s_lshl_b64 s[2:3], s[2:3], 2
	s_waitcnt lgkmcnt(0)
	s_add_u32 s2, s0, s2
	s_addc_u32 s3, s1, s3
	s_waitcnt vmcnt(0)
	v_pk_add_f32 v[2:3], v[6:7], v[2:3]
	ds_bpermute_b32 v6, v0, v2
	ds_bpermute_b32 v7, v0, v3
	s_waitcnt lgkmcnt(0)
	v_pk_add_f32 v[6:7], v[2:3], v[6:7]
	ds_bpermute_b32 v8, v1, v6
	ds_bpermute_b32 v9, v1, v7
	v_cndmask_b32_e32 v2, v13, v10, vcc
	v_lshlrev_b32_e32 v2, 2, v2
	v_cmp_lt_i32_e32 vcc, v11, v14
	s_waitcnt lgkmcnt(0)
	v_pk_add_f32 v[6:7], v[6:7], v[8:9]
	ds_bpermute_b32 v8, v2, v6
	ds_bpermute_b32 v9, v2, v7
	v_cndmask_b32_e32 v3, v13, v11, vcc
	v_lshlrev_b32_e32 v3, 2, v3
	v_cmp_lt_i32_e32 vcc, v5, v14
	;; [unrolled: 7-line block ×3, first 2 shown]
	s_waitcnt lgkmcnt(0)
	v_pk_add_f32 v[8:9], v[6:7], v[8:9]
	ds_bpermute_b32 v10, v5, v8
	ds_bpermute_b32 v11, v5, v9
	v_cndmask_b32_e32 v6, v13, v15, vcc
	v_lshlrev_b32_e32 v6, 2, v6
	v_or_b32_e32 v7, s5, v12
	v_cmp_gt_u32_e32 vcc, 2, v12
	s_waitcnt lgkmcnt(0)
	v_pk_add_f32 v[8:9], v[8:9], v[10:11]
	ds_bpermute_b32 v10, v6, v8
	ds_bpermute_b32 v11, v6, v9
	v_cmp_gt_u32_e64 s[0:1], s10, v7
	s_and_b64 s[0:1], vcc, s[0:1]
	s_waitcnt lgkmcnt(0)
	v_pk_add_f32 v[8:9], v[8:9], v[10:11]
	scratch_store_dwordx2 off, v[8:9], off
	s_and_saveexec_b64 s[4:5], s[0:1]
	s_cbranch_execz .LBB30_9
; %bb.8:
	scratch_load_dword v7, v4, off
	s_waitcnt vmcnt(0)
	global_store_dword v4, v7, s[2:3]
.LBB30_9:
	s_or_b64 exec, exec, s[4:5]
	scratch_load_dwordx2 v[8:9], off, off offset:8
	ds_read2st64_b32 v[10:11], v4 offset0:2 offset1:3
	s_waitcnt vmcnt(0) lgkmcnt(0)
	v_pk_add_f32 v[8:9], v[10:11], v[8:9]
	ds_bpermute_b32 v10, v0, v8
	ds_bpermute_b32 v11, v0, v9
	s_waitcnt lgkmcnt(0)
	v_pk_add_f32 v[8:9], v[8:9], v[10:11]
	ds_bpermute_b32 v10, v1, v8
	ds_bpermute_b32 v11, v1, v9
	s_waitcnt lgkmcnt(0)
	;; [unrolled: 4-line block ×6, first 2 shown]
	v_pk_add_f32 v[8:9], v[8:9], v[10:11]
	scratch_store_dwordx2 off, v[8:9], off offset:8
	s_and_saveexec_b64 s[4:5], s[0:1]
	s_cbranch_execz .LBB30_11
; %bb.10:
	scratch_load_dword v7, v4, off offset:8
	v_add_u32_e32 v8, s10, v12
	v_mov_b32_e32 v9, 0
	v_lshl_add_u64 v[8:9], v[8:9], 2, s[2:3]
	s_waitcnt vmcnt(0)
	global_store_dword v[8:9], v7, off
.LBB30_11:
	s_or_b64 exec, exec, s[4:5]
	scratch_load_dwordx2 v[8:9], off, off offset:16
	ds_read2st64_b32 v[10:11], v4 offset0:4 offset1:5
	s_waitcnt vmcnt(0) lgkmcnt(0)
	v_pk_add_f32 v[8:9], v[10:11], v[8:9]
	ds_bpermute_b32 v10, v0, v8
	ds_bpermute_b32 v11, v0, v9
	s_waitcnt lgkmcnt(0)
	v_pk_add_f32 v[8:9], v[8:9], v[10:11]
	ds_bpermute_b32 v0, v1, v8
	ds_bpermute_b32 v1, v1, v9
	s_waitcnt lgkmcnt(0)
	v_pk_add_f32 v[0:1], v[8:9], v[0:1]
	ds_bpermute_b32 v8, v2, v0
	ds_bpermute_b32 v9, v2, v1
	s_waitcnt lgkmcnt(0)
	v_pk_add_f32 v[0:1], v[0:1], v[8:9]
	ds_bpermute_b32 v2, v3, v0
	ds_bpermute_b32 v3, v3, v1
	s_waitcnt lgkmcnt(0)
	v_pk_add_f32 v[0:1], v[0:1], v[2:3]
	ds_bpermute_b32 v2, v5, v0
	ds_bpermute_b32 v3, v5, v1
	s_waitcnt lgkmcnt(0)
	v_pk_add_f32 v[0:1], v[0:1], v[2:3]
	ds_bpermute_b32 v2, v6, v0
	ds_bpermute_b32 v3, v6, v1
	s_waitcnt lgkmcnt(0)
	v_pk_add_f32 v[0:1], v[0:1], v[2:3]
	scratch_store_dwordx2 off, v[0:1], off offset:16
	s_and_b64 exec, exec, s[0:1]
	s_cbranch_execz .LBB30_13
; %bb.12:
	scratch_load_dword v2, v4, off offset:16
	v_lshl_or_b32 v0, s10, 1, v12
	v_mov_b32_e32 v1, 0
	v_lshl_add_u64 v[0:1], v[0:1], 2, s[2:3]
	s_waitcnt vmcnt(0)
	global_store_dword v[0:1], v2, off
.LBB30_13:
	s_endpgm
	.section	.rodata,"a",@progbits
	.p2align	6, 0x0
	.amdhsa_kernel _ZL13mul_mat_vec_qIL9ggml_type3ELi3ELb0ELb0EEvPKvS2_PKi31ggml_cuda_mm_fusion_args_devicePfj15HIP_vector_typeIjLj3EEjjjS8_jjjS8_jjjj
		.amdhsa_group_segment_fixed_size 1536
		.amdhsa_private_segment_fixed_size 32
		.amdhsa_kernarg_size 144
		.amdhsa_user_sgpr_count 2
		.amdhsa_user_sgpr_dispatch_ptr 0
		.amdhsa_user_sgpr_queue_ptr 0
		.amdhsa_user_sgpr_kernarg_segment_ptr 1
		.amdhsa_user_sgpr_dispatch_id 0
		.amdhsa_user_sgpr_kernarg_preload_length 0
		.amdhsa_user_sgpr_kernarg_preload_offset 0
		.amdhsa_user_sgpr_private_segment_size 0
		.amdhsa_uses_dynamic_stack 0
		.amdhsa_enable_private_segment 1
		.amdhsa_system_sgpr_workgroup_id_x 1
		.amdhsa_system_sgpr_workgroup_id_y 1
		.amdhsa_system_sgpr_workgroup_id_z 1
		.amdhsa_system_sgpr_workgroup_info 0
		.amdhsa_system_vgpr_workitem_id 1
		.amdhsa_next_free_vgpr 54
		.amdhsa_next_free_sgpr 26
		.amdhsa_accum_offset 56
		.amdhsa_reserve_vcc 1
		.amdhsa_float_round_mode_32 0
		.amdhsa_float_round_mode_16_64 0
		.amdhsa_float_denorm_mode_32 3
		.amdhsa_float_denorm_mode_16_64 3
		.amdhsa_dx10_clamp 1
		.amdhsa_ieee_mode 1
		.amdhsa_fp16_overflow 0
		.amdhsa_tg_split 0
		.amdhsa_exception_fp_ieee_invalid_op 0
		.amdhsa_exception_fp_denorm_src 0
		.amdhsa_exception_fp_ieee_div_zero 0
		.amdhsa_exception_fp_ieee_overflow 0
		.amdhsa_exception_fp_ieee_underflow 0
		.amdhsa_exception_fp_ieee_inexact 0
		.amdhsa_exception_int_div_zero 0
	.end_amdhsa_kernel
	.section	.text._ZL13mul_mat_vec_qIL9ggml_type3ELi3ELb0ELb0EEvPKvS2_PKi31ggml_cuda_mm_fusion_args_devicePfj15HIP_vector_typeIjLj3EEjjjS8_jjjS8_jjjj,"axG",@progbits,_ZL13mul_mat_vec_qIL9ggml_type3ELi3ELb0ELb0EEvPKvS2_PKi31ggml_cuda_mm_fusion_args_devicePfj15HIP_vector_typeIjLj3EEjjjS8_jjjS8_jjjj,comdat
.Lfunc_end30:
	.size	_ZL13mul_mat_vec_qIL9ggml_type3ELi3ELb0ELb0EEvPKvS2_PKi31ggml_cuda_mm_fusion_args_devicePfj15HIP_vector_typeIjLj3EEjjjS8_jjjS8_jjjj, .Lfunc_end30-_ZL13mul_mat_vec_qIL9ggml_type3ELi3ELb0ELb0EEvPKvS2_PKi31ggml_cuda_mm_fusion_args_devicePfj15HIP_vector_typeIjLj3EEjjjS8_jjjS8_jjjj
                                        ; -- End function
	.section	.AMDGPU.csdata,"",@progbits
; Kernel info:
; codeLenInByte = 2048
; NumSgprs: 32
; NumVgprs: 54
; NumAgprs: 0
; TotalNumVgprs: 54
; ScratchSize: 32
; MemoryBound: 0
; FloatMode: 240
; IeeeMode: 1
; LDSByteSize: 1536 bytes/workgroup (compile time only)
; SGPRBlocks: 3
; VGPRBlocks: 6
; NumSGPRsForWavesPerEU: 32
; NumVGPRsForWavesPerEU: 54
; AccumOffset: 56
; Occupancy: 8
; WaveLimiterHint : 0
; COMPUTE_PGM_RSRC2:SCRATCH_EN: 1
; COMPUTE_PGM_RSRC2:USER_SGPR: 2
; COMPUTE_PGM_RSRC2:TRAP_HANDLER: 0
; COMPUTE_PGM_RSRC2:TGID_X_EN: 1
; COMPUTE_PGM_RSRC2:TGID_Y_EN: 1
; COMPUTE_PGM_RSRC2:TGID_Z_EN: 1
; COMPUTE_PGM_RSRC2:TIDIG_COMP_CNT: 1
; COMPUTE_PGM_RSRC3_GFX90A:ACCUM_OFFSET: 13
; COMPUTE_PGM_RSRC3_GFX90A:TG_SPLIT: 0
	.section	.text._ZL13mul_mat_vec_qIL9ggml_type3ELi4ELb0ELb0EEvPKvS2_PKi31ggml_cuda_mm_fusion_args_devicePfj15HIP_vector_typeIjLj3EEjjjS8_jjjS8_jjjj,"axG",@progbits,_ZL13mul_mat_vec_qIL9ggml_type3ELi4ELb0ELb0EEvPKvS2_PKi31ggml_cuda_mm_fusion_args_devicePfj15HIP_vector_typeIjLj3EEjjjS8_jjjS8_jjjj,comdat
	.globl	_ZL13mul_mat_vec_qIL9ggml_type3ELi4ELb0ELb0EEvPKvS2_PKi31ggml_cuda_mm_fusion_args_devicePfj15HIP_vector_typeIjLj3EEjjjS8_jjjS8_jjjj ; -- Begin function _ZL13mul_mat_vec_qIL9ggml_type3ELi4ELb0ELb0EEvPKvS2_PKi31ggml_cuda_mm_fusion_args_devicePfj15HIP_vector_typeIjLj3EEjjjS8_jjjS8_jjjj
	.p2align	8
	.type	_ZL13mul_mat_vec_qIL9ggml_type3ELi4ELb0ELb0EEvPKvS2_PKi31ggml_cuda_mm_fusion_args_devicePfj15HIP_vector_typeIjLj3EEjjjS8_jjjS8_jjjj,@function
_ZL13mul_mat_vec_qIL9ggml_type3ELi4ELb0ELb0EEvPKvS2_PKi31ggml_cuda_mm_fusion_args_devicePfj15HIP_vector_typeIjLj3EEjjjS8_jjjS8_jjjj: ; @_ZL13mul_mat_vec_qIL9ggml_type3ELi4ELb0ELb0EEvPKvS2_PKi31ggml_cuda_mm_fusion_args_devicePfj15HIP_vector_typeIjLj3EEjjjS8_jjjS8_jjjj
; %bb.0:
	s_mov_b32 s20, 0
	s_mov_b32 s21, s20
	v_bfe_u32 v9, v0, 10, 10
	v_and_b32_e32 v8, 0x3ff, v0
	s_mov_b32 s22, s20
	s_mov_b32 s23, s20
	v_mov_b64_e32 v[0:1], s[20:21]
	v_lshlrev_b32_e32 v12, 6, v9
	v_mov_b64_e32 v[2:3], s[22:23]
	s_load_dword s6, s[0:1], 0x40
	s_load_dwordx4 s[8:11], s[0:1], 0x50
	s_load_dword s25, s[0:1], 0x60
	s_load_dwordx4 s[12:15], s[0:1], 0x68
	s_load_dword s24, s[0:1], 0x78
	s_load_dwordx4 s[16:19], s[0:1], 0x80
	scratch_store_dwordx4 off, v[0:3], off offset:16
	scratch_store_dwordx4 off, v[0:3], off
	s_lshl_b32 s5, s2, 1
	s_waitcnt lgkmcnt(0)
	s_lshr_b32 s2, s6, 5
	v_add_u16_e32 v0, v12, v8
	v_lshrrev_b16_e32 v16, 1, v0
	v_mov_b32_e32 v4, 0
	v_cmp_gt_u32_e32 vcc, s2, v16
	v_mov_b32_e32 v0, 0
	v_mov_b32_e32 v5, v4
	;; [unrolled: 1-line block ×7, first 2 shown]
	s_and_saveexec_b64 s[6:7], vcc
	s_cbranch_execz .LBB31_4
; %bb.1:
	s_load_dwordx4 s[20:23], s[0:1], 0x0
	s_mul_i32 s17, s4, s17
	s_mul_hi_u32 s19, s17, 36
	s_mul_i32 s17, s17, 36
	s_mul_i32 s13, s3, s13
	s_waitcnt lgkmcnt(0)
	s_add_u32 s17, s22, s17
	s_addc_u32 s19, s23, s19
	s_mul_hi_u32 s23, s13, 36
	s_mul_i32 s13, s13, 36
	s_add_u32 s22, s17, s13
	s_mul_hi_u32 s11, s11, s3
	s_addc_u32 s23, s19, s23
	s_add_i32 s11, s3, s11
	s_lshr_b32 s11, s11, s25
	v_and_b32_e32 v1, 1, v8
	v_xor_b32_e32 v2, v12, v8
	s_mul_i32 s17, s11, s12
	s_mul_hi_u32 s11, s15, s4
	v_lshlrev_b32_e32 v10, 3, v1
	v_and_b32_e32 v1, v12, v8
	v_lshrrev_b16_e32 v2, 1, v2
	s_add_i32 s11, s4, s11
	v_add_u16_e32 v1, v1, v2
	s_lshr_b32 s11, s11, s24
	v_mad_u64_u32 v[12:13], s[12:13], v1, 36, s[22:23]
	s_mul_i32 s16, s11, s16
	v_lshlrev_b32_e32 v0, 1, v8
	s_add_i32 s13, s5, 1
	v_and_b32_e32 v0, 2, v0
	v_mov_b32_e32 v11, 0
	s_mul_i32 s19, s5, s8
	s_add_i32 s12, s16, s17
	s_mul_i32 s8, s8, s13
	s_lshl_b32 s11, s9, 1
	s_mul_i32 s15, s9, 3
	s_add_i32 s8, s12, s8
	s_add_i32 s19, s12, s19
	s_mov_b64 s[12:13], 0
	v_lshlrev_b32_e32 v14, 2, v0
	v_mov_b32_e32 v15, v11
	s_mov_b64 s[16:17], 0x900
	v_mov_b32_e32 v0, v11
	v_mov_b32_e32 v1, v11
	v_mov_b32_e32 v2, v11
	v_mov_b32_e32 v3, v11
	v_mov_b32_e32 v4, v11
	v_mov_b32_e32 v5, v11
	v_mov_b32_e32 v6, v11
	v_mov_b32_e32 v7, v11
.LBB31_2:                               ; =>This Inner Loop Header: Depth=1
	v_add_u32_e32 v17, s19, v16
	v_lshl_add_u64 v[18:19], v[12:13], 0, v[10:11]
	global_load_dword v52, v[12:13], off
	v_add_u32_e32 v24, s8, v16
	v_add_u32_e32 v26, s9, v16
	;; [unrolled: 1-line block ×4, first 2 shown]
	global_load_dwordx2 v[20:21], v[18:19], off offset:4
	global_load_dwordx2 v[22:23], v[18:19], off offset:20
	v_mad_i64_i32 v[18:19], s[24:25], v17, 20, s[20:21]
	v_mad_i64_i32 v[24:25], s[24:25], v24, 20, s[20:21]
	v_mad_u64_u32 v[26:27], s[24:25], v26, 36, s[22:23]
	v_mad_u64_u32 v[28:29], s[24:25], v28, 36, s[22:23]
	;; [unrolled: 1-line block ×3, first 2 shown]
	v_lshl_add_u64 v[32:33], v[18:19], 0, v[14:15]
	v_lshl_add_u64 v[34:35], v[24:25], 0, v[14:15]
	;; [unrolled: 1-line block ×5, first 2 shown]
	global_load_dwordx2 v[42:43], v[32:33], off offset:4
	global_load_dword v17, v[24:25], off
	global_load_dword v60, v[18:19], off
	global_load_dwordx2 v[44:45], v[34:35], off offset:4
	global_load_dwordx2 v[46:47], v[36:37], off offset:20
	global_load_dword v61, v[28:29], off
	global_load_dword v62, v[26:27], off
	;; [unrolled: 1-line block ×3, first 2 shown]
	global_load_dwordx2 v[48:49], v[36:37], off offset:4
	global_load_dwordx2 v[50:51], v[38:39], off offset:4
	;; [unrolled: 1-line block ×3, first 2 shown]
	s_nop 0
	global_load_dwordx2 v[36:37], v[38:39], off offset:20
	v_mov_b32_e32 v53, 0
	global_load_dwordx2 v[40:41], v[40:41], off offset:20
	v_mov_b32_e32 v54, 0
	v_mov_b32_e32 v55, 0
	;; [unrolled: 1-line block ×6, first 2 shown]
	v_add_u32_e32 v16, 64, v16
	v_cmp_le_u32_e32 vcc, s2, v16
	v_lshl_add_u64 v[12:13], v[12:13], 0, s[16:17]
	s_or_b64 s[12:13], vcc, s[12:13]
	s_waitcnt vmcnt(12)
	v_and_b32_e32 v64, 0xf0f0f0f, v42
	v_lshrrev_b32_e32 v65, 4, v42
	s_waitcnt vmcnt(10)
	v_pk_mul_f16 v24, v60, v52
	s_waitcnt vmcnt(9)
	v_and_b32_e32 v42, 0xf0f0f0f, v44
	v_lshrrev_b32_e32 v44, 4, v44
	v_pk_mul_f16 v25, v17, v52
	s_waitcnt vmcnt(6)
	v_pk_mul_f16 v28, v60, v62
	v_pk_mul_f16 v29, v17, v62
	;; [unrolled: 1-line block ×4, first 2 shown]
	s_waitcnt vmcnt(5)
	v_pk_mul_f16 v52, v60, v63
	v_pk_mul_f16 v17, v17, v63
	v_mov_b32_e32 v60, 0
	v_and_b32_e32 v66, 0xf0f0f0f, v43
	v_lshrrev_b32_e32 v67, 4, v43
	v_dot4c_i32_i8_e32 v53, v64, v20
	s_waitcnt vmcnt(4)
	v_dot4c_i32_i8_e32 v55, v64, v48
	s_waitcnt vmcnt(3)
	v_dot4c_i32_i8_e32 v57, v64, v50
	s_waitcnt vmcnt(2)
	v_dot4c_i32_i8_e32 v59, v64, v34
	v_dot4c_i32_i8_e32 v54, v42, v20
	;; [unrolled: 1-line block ×5, first 2 shown]
	v_cvt_f32_f16_e32 v39, v17
	v_cvt_f32_f16_sdwa v43, v17 dst_sel:DWORD dst_unused:UNUSED_PAD src0_sel:WORD_1
	v_and_b32_e32 v17, 0xf0f0f0f, v65
	v_and_b32_e32 v20, 0xf0f0f0f, v44
	;; [unrolled: 1-line block ×3, first 2 shown]
	v_lshrrev_b32_e32 v45, 4, v45
	v_dot4c_i32_i8_e32 v53, v17, v22
	v_dot4c_i32_i8_e32 v55, v17, v46
	s_waitcnt vmcnt(1)
	v_dot4c_i32_i8_e32 v57, v17, v36
	s_waitcnt vmcnt(0)
	v_dot4c_i32_i8_e32 v59, v17, v40
	v_dot4c_i32_i8_e32 v54, v20, v22
	;; [unrolled: 1-line block ×5, first 2 shown]
	v_and_b32_e32 v17, 0xf0f0f0f, v67
	v_and_b32_e32 v34, 0xf0f0f0f, v45
	v_dot4c_i32_i8_e32 v53, v66, v21
	v_dot4c_i32_i8_e32 v54, v68, v21
	;; [unrolled: 1-line block ×16, first 2 shown]
	v_cvt_f32_f16_e32 v19, v25
	v_cvt_f32_f16_e32 v18, v24
	;; [unrolled: 1-line block ×7, first 2 shown]
	v_cvt_f32_i32_e32 v21, v54
	v_cvt_f32_i32_e32 v20, v53
	;; [unrolled: 1-line block ×8, first 2 shown]
	v_cvt_f32_f16_sdwa v25, v25 dst_sel:DWORD dst_unused:UNUSED_PAD src0_sel:WORD_1
	v_cvt_f32_f16_sdwa v24, v24 dst_sel:DWORD dst_unused:UNUSED_PAD src0_sel:WORD_1
	;; [unrolled: 1-line block ×7, first 2 shown]
	v_pk_mul_f32 v[18:19], v[20:21], v[18:19]
	v_pk_mul_f32 v[20:21], v[22:23], v[26:27]
	;; [unrolled: 1-line block ×4, first 2 shown]
	v_pk_fma_f32 v[18:19], v[24:25], 0.5, v[18:19] op_sel_hi:[1,0,1]
	v_pk_fma_f32 v[20:21], v[28:29], 0.5, v[20:21] op_sel_hi:[1,0,1]
	;; [unrolled: 1-line block ×4, first 2 shown]
	v_pk_add_f32 v[0:1], v[0:1], v[18:19]
	v_pk_add_f32 v[2:3], v[2:3], v[20:21]
	;; [unrolled: 1-line block ×4, first 2 shown]
	s_andn2_b64 exec, exec, s[12:13]
	s_cbranch_execnz .LBB31_2
; %bb.3:
	s_or_b64 exec, exec, s[12:13]
	scratch_store_dwordx4 off, v[0:3], off
	scratch_store_dwordx4 off, v[4:7], off offset:16
.LBB31_4:
	s_or_b64 exec, exec, s[6:7]
	v_cmp_eq_u32_e32 vcc, 0, v9
	v_cmp_ne_u32_e64 s[6:7], 0, v9
	v_lshlrev_b32_e32 v10, 2, v8
	s_and_saveexec_b64 s[8:9], s[6:7]
	s_cbranch_execz .LBB31_6
; %bb.5:
	v_lshlrev_b32_e32 v9, 11, v9
	s_movk_i32 s2, 0xf800
	v_add3_u32 v9, v9, v10, s2
	ds_write2st64_b32 v9, v0, v1 offset1:1
	ds_write2st64_b32 v9, v2, v3 offset0:2 offset1:3
	ds_write2st64_b32 v9, v4, v5 offset0:4 offset1:5
	;; [unrolled: 1-line block ×3, first 2 shown]
.LBB31_6:
	s_or_b64 exec, exec, s[8:9]
	s_waitcnt lgkmcnt(0)
	s_barrier
	s_and_saveexec_b64 s[6:7], vcc
	s_cbranch_execz .LBB31_15
; %bb.7:
	scratch_load_dwordx2 v[2:3], off, off
	v_mbcnt_lo_u32_b32 v0, -1, 0
	ds_read2st64_b32 v[4:5], v10 offset1:1
	v_mbcnt_hi_u32_b32 v9, -1, v0
	v_and_b32_e32 v0, 64, v9
	v_xor_b32_e32 v1, 32, v9
	v_add_u32_e32 v14, 64, v0
	v_cmp_lt_i32_e32 vcc, v1, v14
	v_xor_b32_e32 v6, 16, v9
	v_xor_b32_e32 v11, 8, v9
	v_cndmask_b32_e32 v0, v9, v1, vcc
	v_lshlrev_b32_e32 v0, 2, v0
	v_cmp_lt_i32_e32 vcc, v6, v14
	v_xor_b32_e32 v12, 4, v9
	v_xor_b32_e32 v15, 2, v9
	v_cndmask_b32_e32 v1, v9, v6, vcc
	v_lshlrev_b32_e32 v1, 2, v1
	v_cmp_lt_i32_e32 vcc, v11, v14
	s_load_dwordx2 s[0:1], s[0:1], 0x38
	s_mul_i32 s2, s3, s14
	s_mul_i32 s4, s4, s18
	s_add_i32 s2, s2, s5
	s_mov_b32 s3, 0
	s_add_i32 s2, s2, s4
	s_lshl_b64 s[2:3], s[2:3], 2
	s_waitcnt lgkmcnt(0)
	s_add_u32 s2, s0, s2
	s_addc_u32 s3, s1, s3
	s_waitcnt vmcnt(0)
	v_pk_add_f32 v[2:3], v[4:5], v[2:3]
	ds_bpermute_b32 v4, v0, v2
	ds_bpermute_b32 v5, v0, v3
	s_waitcnt lgkmcnt(0)
	v_pk_add_f32 v[4:5], v[2:3], v[4:5]
	ds_bpermute_b32 v6, v1, v4
	ds_bpermute_b32 v7, v1, v5
	v_cndmask_b32_e32 v2, v9, v11, vcc
	v_lshlrev_b32_e32 v2, 2, v2
	v_cmp_lt_i32_e32 vcc, v12, v14
	v_xor_b32_e32 v11, 1, v9
	s_waitcnt lgkmcnt(0)
	v_pk_add_f32 v[4:5], v[4:5], v[6:7]
	ds_bpermute_b32 v6, v2, v4
	ds_bpermute_b32 v7, v2, v5
	v_cndmask_b32_e32 v3, v9, v12, vcc
	v_lshlrev_b32_e32 v3, 2, v3
	v_cmp_lt_i32_e32 vcc, v15, v14
	s_waitcnt lgkmcnt(0)
	v_pk_add_f32 v[6:7], v[4:5], v[6:7]
	ds_bpermute_b32 v12, v3, v6
	ds_bpermute_b32 v13, v3, v7
	v_cndmask_b32_e32 v4, v9, v15, vcc
	v_lshlrev_b32_e32 v4, 2, v4
	v_cmp_lt_i32_e32 vcc, v11, v14
	s_waitcnt lgkmcnt(0)
	v_pk_add_f32 v[6:7], v[6:7], v[12:13]
	ds_bpermute_b32 v12, v4, v6
	ds_bpermute_b32 v13, v4, v7
	v_cndmask_b32_e32 v5, v9, v11, vcc
	v_lshlrev_b32_e32 v5, 2, v5
	v_or_b32_e32 v9, s5, v8
	v_cmp_gt_u32_e32 vcc, 2, v8
	s_waitcnt lgkmcnt(0)
	v_pk_add_f32 v[6:7], v[6:7], v[12:13]
	ds_bpermute_b32 v12, v5, v6
	ds_bpermute_b32 v13, v5, v7
	v_cmp_gt_u32_e64 s[0:1], s10, v9
	s_and_b64 s[0:1], vcc, s[0:1]
	s_waitcnt lgkmcnt(0)
	v_pk_add_f32 v[6:7], v[6:7], v[12:13]
	scratch_store_dwordx2 off, v[6:7], off
	s_and_saveexec_b64 s[4:5], s[0:1]
	s_cbranch_execz .LBB31_9
; %bb.8:
	scratch_load_dword v6, v10, off
	s_waitcnt vmcnt(0)
	global_store_dword v10, v6, s[2:3]
.LBB31_9:
	s_or_b64 exec, exec, s[4:5]
	scratch_load_dwordx2 v[6:7], off, off offset:8
	ds_read2st64_b32 v[12:13], v10 offset0:2 offset1:3
	s_waitcnt vmcnt(0) lgkmcnt(0)
	v_pk_add_f32 v[6:7], v[12:13], v[6:7]
	ds_bpermute_b32 v12, v0, v6
	ds_bpermute_b32 v13, v0, v7
	s_waitcnt lgkmcnt(0)
	v_pk_add_f32 v[6:7], v[6:7], v[12:13]
	ds_bpermute_b32 v12, v1, v6
	ds_bpermute_b32 v13, v1, v7
	s_waitcnt lgkmcnt(0)
	;; [unrolled: 4-line block ×6, first 2 shown]
	v_pk_add_f32 v[6:7], v[6:7], v[12:13]
	scratch_store_dwordx2 off, v[6:7], off offset:8
	s_and_saveexec_b64 s[4:5], s[0:1]
	s_cbranch_execz .LBB31_11
; %bb.10:
	scratch_load_dword v9, v10, off offset:8
	v_add_u32_e32 v6, s10, v8
	v_mov_b32_e32 v7, 0
	v_lshl_add_u64 v[6:7], v[6:7], 2, s[2:3]
	s_waitcnt vmcnt(0)
	global_store_dword v[6:7], v9, off
.LBB31_11:
	s_or_b64 exec, exec, s[4:5]
	scratch_load_dwordx2 v[6:7], off, off offset:16
	ds_read2st64_b32 v[12:13], v10 offset0:4 offset1:5
	s_waitcnt vmcnt(0) lgkmcnt(0)
	v_pk_add_f32 v[6:7], v[12:13], v[6:7]
	ds_bpermute_b32 v12, v0, v6
	ds_bpermute_b32 v13, v0, v7
	s_waitcnt lgkmcnt(0)
	v_pk_add_f32 v[6:7], v[6:7], v[12:13]
	ds_bpermute_b32 v12, v1, v6
	ds_bpermute_b32 v13, v1, v7
	s_waitcnt lgkmcnt(0)
	;; [unrolled: 4-line block ×6, first 2 shown]
	v_pk_add_f32 v[6:7], v[6:7], v[12:13]
	scratch_store_dwordx2 off, v[6:7], off offset:16
	s_and_saveexec_b64 s[4:5], s[0:1]
	s_cbranch_execz .LBB31_13
; %bb.12:
	scratch_load_dword v9, v10, off offset:16
	v_lshl_or_b32 v6, s10, 1, v8
	v_mov_b32_e32 v7, 0
	v_lshl_add_u64 v[6:7], v[6:7], 2, s[2:3]
	s_waitcnt vmcnt(0)
	global_store_dword v[6:7], v9, off
.LBB31_13:
	s_or_b64 exec, exec, s[4:5]
	scratch_load_dwordx2 v[6:7], off, off offset:24
	ds_read2st64_b32 v[12:13], v10 offset0:6 offset1:7
	s_waitcnt vmcnt(0) lgkmcnt(0)
	v_pk_add_f32 v[6:7], v[12:13], v[6:7]
	ds_bpermute_b32 v12, v0, v6
	ds_bpermute_b32 v13, v0, v7
	s_waitcnt lgkmcnt(0)
	v_pk_add_f32 v[6:7], v[6:7], v[12:13]
	ds_bpermute_b32 v0, v1, v6
	ds_bpermute_b32 v1, v1, v7
	s_waitcnt lgkmcnt(0)
	;; [unrolled: 4-line block ×6, first 2 shown]
	v_pk_add_f32 v[0:1], v[0:1], v[2:3]
	scratch_store_dwordx2 off, v[0:1], off offset:24
	s_and_b64 exec, exec, s[0:1]
	s_cbranch_execz .LBB31_15
; %bb.14:
	scratch_load_dword v2, v10, off offset:24
	v_mad_u64_u32 v[0:1], s[0:1], s10, 3, v[8:9]
	v_mov_b32_e32 v1, 0
	v_lshl_add_u64 v[0:1], v[0:1], 2, s[2:3]
	s_waitcnt vmcnt(0)
	global_store_dword v[0:1], v2, off
.LBB31_15:
	s_endpgm
	.section	.rodata,"a",@progbits
	.p2align	6, 0x0
	.amdhsa_kernel _ZL13mul_mat_vec_qIL9ggml_type3ELi4ELb0ELb0EEvPKvS2_PKi31ggml_cuda_mm_fusion_args_devicePfj15HIP_vector_typeIjLj3EEjjjS8_jjjS8_jjjj
		.amdhsa_group_segment_fixed_size 2048
		.amdhsa_private_segment_fixed_size 48
		.amdhsa_kernarg_size 144
		.amdhsa_user_sgpr_count 2
		.amdhsa_user_sgpr_dispatch_ptr 0
		.amdhsa_user_sgpr_queue_ptr 0
		.amdhsa_user_sgpr_kernarg_segment_ptr 1
		.amdhsa_user_sgpr_dispatch_id 0
		.amdhsa_user_sgpr_kernarg_preload_length 0
		.amdhsa_user_sgpr_kernarg_preload_offset 0
		.amdhsa_user_sgpr_private_segment_size 0
		.amdhsa_uses_dynamic_stack 0
		.amdhsa_enable_private_segment 1
		.amdhsa_system_sgpr_workgroup_id_x 1
		.amdhsa_system_sgpr_workgroup_id_y 1
		.amdhsa_system_sgpr_workgroup_id_z 1
		.amdhsa_system_sgpr_workgroup_info 0
		.amdhsa_system_vgpr_workitem_id 1
		.amdhsa_next_free_vgpr 69
		.amdhsa_next_free_sgpr 26
		.amdhsa_accum_offset 72
		.amdhsa_reserve_vcc 1
		.amdhsa_float_round_mode_32 0
		.amdhsa_float_round_mode_16_64 0
		.amdhsa_float_denorm_mode_32 3
		.amdhsa_float_denorm_mode_16_64 3
		.amdhsa_dx10_clamp 1
		.amdhsa_ieee_mode 1
		.amdhsa_fp16_overflow 0
		.amdhsa_tg_split 0
		.amdhsa_exception_fp_ieee_invalid_op 0
		.amdhsa_exception_fp_denorm_src 0
		.amdhsa_exception_fp_ieee_div_zero 0
		.amdhsa_exception_fp_ieee_overflow 0
		.amdhsa_exception_fp_ieee_underflow 0
		.amdhsa_exception_fp_ieee_inexact 0
		.amdhsa_exception_int_div_zero 0
	.end_amdhsa_kernel
	.section	.text._ZL13mul_mat_vec_qIL9ggml_type3ELi4ELb0ELb0EEvPKvS2_PKi31ggml_cuda_mm_fusion_args_devicePfj15HIP_vector_typeIjLj3EEjjjS8_jjjS8_jjjj,"axG",@progbits,_ZL13mul_mat_vec_qIL9ggml_type3ELi4ELb0ELb0EEvPKvS2_PKi31ggml_cuda_mm_fusion_args_devicePfj15HIP_vector_typeIjLj3EEjjjS8_jjjS8_jjjj,comdat
.Lfunc_end31:
	.size	_ZL13mul_mat_vec_qIL9ggml_type3ELi4ELb0ELb0EEvPKvS2_PKi31ggml_cuda_mm_fusion_args_devicePfj15HIP_vector_typeIjLj3EEjjjS8_jjjS8_jjjj, .Lfunc_end31-_ZL13mul_mat_vec_qIL9ggml_type3ELi4ELb0ELb0EEvPKvS2_PKi31ggml_cuda_mm_fusion_args_devicePfj15HIP_vector_typeIjLj3EEjjjS8_jjjS8_jjjj
                                        ; -- End function
	.section	.AMDGPU.csdata,"",@progbits
; Kernel info:
; codeLenInByte = 2520
; NumSgprs: 32
; NumVgprs: 69
; NumAgprs: 0
; TotalNumVgprs: 69
; ScratchSize: 48
; MemoryBound: 0
; FloatMode: 240
; IeeeMode: 1
; LDSByteSize: 2048 bytes/workgroup (compile time only)
; SGPRBlocks: 3
; VGPRBlocks: 8
; NumSGPRsForWavesPerEU: 32
; NumVGPRsForWavesPerEU: 69
; AccumOffset: 72
; Occupancy: 7
; WaveLimiterHint : 0
; COMPUTE_PGM_RSRC2:SCRATCH_EN: 1
; COMPUTE_PGM_RSRC2:USER_SGPR: 2
; COMPUTE_PGM_RSRC2:TRAP_HANDLER: 0
; COMPUTE_PGM_RSRC2:TGID_X_EN: 1
; COMPUTE_PGM_RSRC2:TGID_Y_EN: 1
; COMPUTE_PGM_RSRC2:TGID_Z_EN: 1
; COMPUTE_PGM_RSRC2:TIDIG_COMP_CNT: 1
; COMPUTE_PGM_RSRC3_GFX90A:ACCUM_OFFSET: 17
; COMPUTE_PGM_RSRC3_GFX90A:TG_SPLIT: 0
	.section	.text._ZL13mul_mat_vec_qIL9ggml_type3ELi5ELb0ELb0EEvPKvS2_PKi31ggml_cuda_mm_fusion_args_devicePfj15HIP_vector_typeIjLj3EEjjjS8_jjjS8_jjjj,"axG",@progbits,_ZL13mul_mat_vec_qIL9ggml_type3ELi5ELb0ELb0EEvPKvS2_PKi31ggml_cuda_mm_fusion_args_devicePfj15HIP_vector_typeIjLj3EEjjjS8_jjjS8_jjjj,comdat
	.globl	_ZL13mul_mat_vec_qIL9ggml_type3ELi5ELb0ELb0EEvPKvS2_PKi31ggml_cuda_mm_fusion_args_devicePfj15HIP_vector_typeIjLj3EEjjjS8_jjjS8_jjjj ; -- Begin function _ZL13mul_mat_vec_qIL9ggml_type3ELi5ELb0ELb0EEvPKvS2_PKi31ggml_cuda_mm_fusion_args_devicePfj15HIP_vector_typeIjLj3EEjjjS8_jjjS8_jjjj
	.p2align	8
	.type	_ZL13mul_mat_vec_qIL9ggml_type3ELi5ELb0ELb0EEvPKvS2_PKi31ggml_cuda_mm_fusion_args_devicePfj15HIP_vector_typeIjLj3EEjjjS8_jjjS8_jjjj,@function
_ZL13mul_mat_vec_qIL9ggml_type3ELi5ELb0ELb0EEvPKvS2_PKi31ggml_cuda_mm_fusion_args_devicePfj15HIP_vector_typeIjLj3EEjjjS8_jjjS8_jjjj: ; @_ZL13mul_mat_vec_qIL9ggml_type3ELi5ELb0ELb0EEvPKvS2_PKi31ggml_cuda_mm_fusion_args_devicePfj15HIP_vector_typeIjLj3EEjjjS8_jjjS8_jjjj
; %bb.0:
	v_bfe_u32 v9, v0, 10, 10
	v_lshlrev_b32_e32 v1, 6, v9
	v_and_b32_e32 v8, 0x3ff, v0
	s_mov_b32 s20, 0
	s_load_dword s5, s[0:1], 0x40
	s_load_dwordx4 s[8:11], s[0:1], 0x50
	s_load_dword s25, s[0:1], 0x60
	s_load_dwordx4 s[12:15], s[0:1], 0x68
	;; [unrolled: 2-line block ×3, first 2 shown]
	s_mov_b32 s21, s20
	v_add_u16_e32 v0, v1, v8
	s_waitcnt lgkmcnt(0)
	s_lshr_b32 s5, s5, 5
	v_mov_b32_e32 v11, 0
	s_mov_b32 s22, s20
	s_mov_b32 s23, s20
	v_mov_b64_e32 v[2:3], s[20:21]
	v_lshrrev_b16_e32 v18, 1, v0
	s_lshl_b32 s2, s2, 1
	v_mov_b32_e32 v10, v11
	v_mov_b64_e32 v[4:5], s[22:23]
	v_cmp_gt_u32_e32 vcc, s5, v18
	scratch_store_dwordx2 off, v[10:11], off offset:32
	scratch_store_dwordx4 off, v[2:5], off offset:16
	scratch_store_dwordx4 off, v[2:5], off
	s_and_saveexec_b64 s[6:7], vcc
	s_cbranch_execz .LBB32_4
; %bb.1:
	s_load_dwordx4 s[20:23], s[0:1], 0x0
	s_mul_i32 s17, s4, s17
	s_mul_hi_u32 s19, s17, 36
	s_mul_i32 s17, s17, 36
	s_mul_i32 s13, s3, s13
	s_waitcnt lgkmcnt(0)
	s_add_u32 s17, s22, s17
	s_addc_u32 s19, s23, s19
	s_mul_hi_u32 s23, s13, 36
	s_mul_i32 s13, s13, 36
	s_add_u32 s22, s17, s13
	s_mul_hi_u32 s11, s11, s3
	s_addc_u32 s23, s19, s23
	s_add_i32 s11, s3, s11
	v_and_b32_e32 v2, 1, v8
	s_lshr_b32 s11, s11, s25
	v_lshlrev_b32_e32 v10, 3, v2
	v_and_b32_e32 v2, v1, v8
	v_xor_b32_e32 v1, v1, v8
	s_mul_i32 s17, s11, s12
	s_mul_hi_u32 s11, s15, s4
	v_lshrrev_b16_e32 v1, 1, v1
	s_add_i32 s11, s4, s11
	v_add_u16_e32 v1, v2, v1
	s_lshr_b32 s11, s11, s24
	v_mad_u64_u32 v[12:13], s[12:13], v1, 36, s[22:23]
	s_mul_i32 s16, s11, s16
	v_lshlrev_b32_e32 v0, 1, v8
	s_add_i32 s13, s2, 1
	v_and_b32_e32 v0, 2, v0
	s_mul_i32 s24, s2, s8
	s_add_i32 s12, s16, s17
	s_mul_i32 s8, s8, s13
	s_lshl_b32 s11, s9, 1
	s_mul_i32 s15, s9, 3
	s_lshl_b32 s19, s9, 2
	s_add_i32 s8, s12, s8
	s_add_i32 s24, s12, s24
	s_mov_b64 s[12:13], 0
	v_lshlrev_b32_e32 v16, 2, v0
	v_mov_b32_e32 v17, v11
	s_mov_b64 s[16:17], 0x480
	v_mov_b32_e32 v4, v11
	v_mov_b32_e32 v5, v11
	;; [unrolled: 1-line block ×10, first 2 shown]
.LBB32_2:                               ; =>This Inner Loop Header: Depth=1
	v_lshl_add_u64 v[20:21], v[12:13], 0, v[10:11]
	global_load_dword v54, v[12:13], off
	global_load_dwordx2 v[22:23], v[20:21], off offset:4
	global_load_dwordx2 v[24:25], v[20:21], off offset:20
	v_add_u32_e32 v19, s24, v18
	v_add_u32_e32 v26, s8, v18
	;; [unrolled: 1-line block ×5, first 2 shown]
	v_mad_i64_i32 v[20:21], s[26:27], v19, 20, s[20:21]
	v_mad_i64_i32 v[26:27], s[26:27], v26, 20, s[20:21]
	v_mad_u64_u32 v[28:29], s[26:27], v28, 36, s[22:23]
	v_add_u32_e32 v32, s15, v18
	v_mad_u64_u32 v[30:31], s[26:27], v30, 36, s[22:23]
	v_mad_u64_u32 v[34:35], s[26:27], v34, 36, s[22:23]
	v_lshl_add_u64 v[36:37], v[20:21], 0, v[16:17]
	v_lshl_add_u64 v[38:39], v[26:27], 0, v[16:17]
	;; [unrolled: 1-line block ×3, first 2 shown]
	v_mad_u64_u32 v[32:33], s[26:27], v32, 36, s[22:23]
	v_lshl_add_u64 v[42:43], v[30:31], 0, v[16:17]
	v_lshl_add_u64 v[46:47], v[34:35], 0, v[16:17]
	global_load_dwordx2 v[48:49], v[36:37], off offset:4
	global_load_dwordx2 v[50:51], v[38:39], off offset:4
	global_load_dword v19, v[26:27], off
	global_load_dword v63, v[20:21], off
	global_load_dwordx2 v[52:53], v[40:41], off offset:20
                                        ; kill: killed $vgpr36_vgpr37
                                        ; kill: killed $vgpr26_vgpr27
                                        ; kill: killed $vgpr20_vgpr21
                                        ; kill: killed $vgpr38_vgpr39
	s_nop 0
	global_load_dword v38, v[30:31], off
	global_load_dword v39, v[28:29], off
	global_load_dwordx2 v[20:21], v[40:41], off offset:4
	global_load_dwordx2 v[26:27], v[42:43], off offset:4
	;; [unrolled: 1-line block ×3, first 2 shown]
                                        ; kill: killed $vgpr30_vgpr31
                                        ; kill: killed $vgpr28_vgpr29
                                        ; kill: killed $vgpr42_vgpr43
                                        ; kill: killed $vgpr40_vgpr41
	s_nop 0
	global_load_dword v40, v[32:33], off
	global_load_dwordx2 v[28:29], v[46:47], off offset:20
	global_load_dword v41, v[34:35], off
	v_mov_b32_e32 v55, 0
	v_mov_b32_e32 v56, 0
	v_lshl_add_u64 v[44:45], v[32:33], 0, v[16:17]
	v_mov_b32_e32 v57, 0
	v_mov_b32_e32 v58, 0
	;; [unrolled: 1-line block ×6, first 2 shown]
	v_add_u32_e32 v18, 32, v18
	v_cmp_le_u32_e32 vcc, s5, v18
	v_lshl_add_u64 v[12:13], v[12:13], 0, s[16:17]
	s_or_b64 s[12:13], vcc, s[12:13]
	s_waitcnt vmcnt(12)
	v_and_b32_e32 v64, 0xf0f0f0f, v48
	v_lshrrev_b32_e32 v30, 4, v48
	s_waitcnt vmcnt(11)
	v_and_b32_e32 v65, 0xf0f0f0f, v50
	v_lshrrev_b32_e32 v31, 4, v50
	v_and_b32_e32 v66, 0xf0f0f0f, v30
	v_dot4c_i32_i8_e32 v55, v64, v22
	v_and_b32_e32 v67, 0xf0f0f0f, v31
	v_dot4c_i32_i8_e32 v56, v65, v22
	v_and_b32_e32 v48, 0xf0f0f0f, v49
	v_and_b32_e32 v50, 0xf0f0f0f, v51
	v_dot4c_i32_i8_e32 v55, v66, v24
	v_dot4c_i32_i8_e32 v56, v67, v24
	;; [unrolled: 1-line block ×4, first 2 shown]
	global_load_dwordx2 v[22:23], v[44:45], off offset:4
	global_load_dwordx2 v[30:31], v[44:45], off offset:20
	s_waitcnt vmcnt(7)
	v_dot4c_i32_i8_e32 v57, v64, v20
	v_dot4c_i32_i8_e32 v58, v65, v20
	s_waitcnt vmcnt(6)
	v_dot4c_i32_i8_e32 v59, v64, v26
	v_dot4c_i32_i8_e32 v60, v65, v26
	v_pk_mul_f16 v32, v63, v54
	v_pk_mul_f16 v33, v19, v54
	;; [unrolled: 1-line block ×4, first 2 shown]
	v_dot4c_i32_i8_e32 v57, v66, v52
	v_dot4c_i32_i8_e32 v58, v67, v52
	v_pk_mul_f16 v42, v63, v38
	v_pk_mul_f16 v38, v19, v38
	s_waitcnt vmcnt(4)
	v_pk_mul_f16 v44, v63, v40
	v_dot4c_i32_i8_e32 v59, v66, v36
	v_dot4c_i32_i8_e32 v60, v67, v36
	;; [unrolled: 1-line block ×4, first 2 shown]
	v_pk_mul_f16 v43, v19, v40
	v_dot4c_i32_i8_e32 v59, v48, v27
	v_dot4c_i32_i8_e32 v60, v50, v27
	v_cvt_f32_f16_e32 v21, v33
	v_cvt_f32_f16_e32 v20, v32
	v_cvt_f32_f16_sdwa v27, v33 dst_sel:DWORD dst_unused:UNUSED_PAD src0_sel:WORD_1
	v_cvt_f32_f16_sdwa v26, v32 dst_sel:DWORD dst_unused:UNUSED_PAD src0_sel:WORD_1
	;; [unrolled: 1-line block ×5, first 2 shown]
	v_cvt_f32_f16_e32 v40, v44
	v_mov_b32_e32 v52, 0
	v_mov_b32_e32 v54, 0
	v_lshrrev_b32_e32 v24, 4, v49
	v_lshrrev_b32_e32 v49, 4, v51
	v_and_b32_e32 v24, 0xf0f0f0f, v24
	s_waitcnt vmcnt(2)
	v_pk_mul_f16 v51, v63, v41
	v_pk_mul_f16 v19, v19, v41
	v_dot4c_i32_i8_e32 v55, v24, v25
	v_dot4c_i32_i8_e32 v57, v24, v53
	;; [unrolled: 1-line block ×3, first 2 shown]
	v_cvt_f32_f16_e32 v41, v43
	v_cvt_f32_f16_sdwa v43, v43 dst_sel:DWORD dst_unused:UNUSED_PAD src0_sel:WORD_1
	s_waitcnt vmcnt(1)
	v_dot4c_i32_i8_e32 v61, v64, v22
	v_dot4c_i32_i8_e32 v62, v65, v22
	s_waitcnt vmcnt(0)
	v_dot4c_i32_i8_e32 v61, v66, v30
	v_dot4c_i32_i8_e32 v62, v67, v30
	v_dot4c_i32_i8_e32 v61, v48, v23
	v_dot4c_i32_i8_e32 v62, v50, v23
	v_cvt_f32_f16_e32 v23, v35
	v_cvt_f32_f16_e32 v22, v34
	;; [unrolled: 1-line block ×4, first 2 shown]
	v_cvt_f32_f16_sdwa v38, v42 dst_sel:DWORD dst_unused:UNUSED_PAD src0_sel:WORD_1
	v_cvt_f32_f16_sdwa v42, v44 dst_sel:DWORD dst_unused:UNUSED_PAD src0_sel:WORD_1
	global_load_dwordx2 v[44:45], v[46:47], off offset:4
	v_dot4c_i32_i8_e32 v61, v24, v31
	v_cvt_f32_i32_e32 v30, v59
	v_cvt_f32_f16_sdwa v47, v19 dst_sel:DWORD dst_unused:UNUSED_PAD src0_sel:WORD_1
	v_cvt_f32_f16_sdwa v46, v51 dst_sel:DWORD dst_unused:UNUSED_PAD src0_sel:WORD_1
	v_cvt_f32_i32_e32 v36, v61
	s_waitcnt vmcnt(0)
	v_dot4c_i32_i8_e32 v52, v64, v44
	v_dot4c_i32_i8_e32 v54, v65, v44
	;; [unrolled: 1-line block ×5, first 2 shown]
	v_and_b32_e32 v28, 0xf0f0f0f, v49
	v_dot4c_i32_i8_e32 v54, v50, v45
	v_dot4c_i32_i8_e32 v56, v28, v25
	;; [unrolled: 1-line block ×7, first 2 shown]
	v_cvt_f32_f16_e32 v45, v19
	v_cvt_f32_f16_e32 v44, v51
	v_cvt_f32_i32_e32 v25, v56
	v_cvt_f32_i32_e32 v24, v55
	;; [unrolled: 1-line block ×8, first 2 shown]
	v_pk_mul_f32 v[20:21], v[24:25], v[20:21]
	v_pk_mul_f32 v[22:23], v[28:29], v[22:23]
	;; [unrolled: 1-line block ×5, first 2 shown]
	v_pk_fma_f32 v[20:21], v[26:27], 0.5, v[20:21] op_sel_hi:[1,0,1]
	v_pk_fma_f32 v[22:23], v[32:33], 0.5, v[22:23] op_sel_hi:[1,0,1]
	;; [unrolled: 1-line block ×5, first 2 shown]
	v_pk_add_f32 v[4:5], v[4:5], v[20:21]
	v_pk_add_f32 v[6:7], v[6:7], v[22:23]
	;; [unrolled: 1-line block ×5, first 2 shown]
	s_andn2_b64 exec, exec, s[12:13]
	s_cbranch_execnz .LBB32_2
; %bb.3:
	s_or_b64 exec, exec, s[12:13]
	scratch_store_dwordx4 off, v[4:7], off
	scratch_store_dwordx4 off, v[0:3], off offset:16
	scratch_store_dwordx2 off, v[14:15], off offset:32
.LBB32_4:
	s_or_b64 exec, exec, s[6:7]
	s_mov_b32 s5, 0
	v_cmp_eq_u32_e32 vcc, 0, v9
	s_waitcnt lgkmcnt(0)
	; wave barrier
	s_and_saveexec_b64 s[6:7], vcc
	s_cbranch_execz .LBB32_15
; %bb.5:
	scratch_load_dwordx2 v[2:3], off, off
	v_mbcnt_lo_u32_b32 v0, -1, 0
	v_mbcnt_hi_u32_b32 v9, -1, v0
	s_load_dwordx2 s[6:7], s[0:1], 0x38
	s_mul_i32 s0, s3, s14
	v_or_b32_e32 v1, s2, v8
	v_and_b32_e32 v0, 64, v9
	s_mul_i32 s4, s4, s18
	s_add_i32 s2, s0, s2
	v_cmp_gt_u32_e64 s[0:1], s10, v1
	v_xor_b32_e32 v1, 32, v9
	v_add_u32_e32 v14, 64, v0
	s_add_i32 s4, s2, s4
	v_cmp_lt_i32_e64 s[2:3], v1, v14
	v_cmp_gt_u32_e32 vcc, 2, v8
	s_nop 0
	v_cndmask_b32_e64 v0, v9, v1, s[2:3]
	v_lshlrev_b32_e32 v0, 2, v0
	v_xor_b32_e32 v1, 16, v9
	v_cmp_lt_i32_e64 s[2:3], v1, v14
	s_waitcnt vmcnt(0)
	ds_bpermute_b32 v4, v0, v2
	ds_bpermute_b32 v5, v0, v3
	v_cndmask_b32_e64 v1, v9, v1, s[2:3]
	v_lshlrev_b32_e32 v1, 2, v1
	s_waitcnt lgkmcnt(0)
	v_pk_add_f32 v[4:5], v[2:3], v[4:5]
	ds_bpermute_b32 v6, v1, v4
	ds_bpermute_b32 v7, v1, v5
	v_xor_b32_e32 v2, 8, v9
	v_cmp_lt_i32_e64 s[2:3], v2, v14
	v_xor_b32_e32 v3, 4, v9
	s_waitcnt lgkmcnt(0)
	v_pk_add_f32 v[4:5], v[4:5], v[6:7]
	v_cndmask_b32_e64 v2, v9, v2, s[2:3]
	v_lshlrev_b32_e32 v2, 2, v2
	ds_bpermute_b32 v6, v2, v4
	ds_bpermute_b32 v7, v2, v5
	v_cmp_lt_i32_e64 s[2:3], v3, v14
	s_waitcnt lgkmcnt(0)
	v_pk_add_f32 v[6:7], v[4:5], v[6:7]
	v_cndmask_b32_e64 v3, v9, v3, s[2:3]
	v_lshlrev_b32_e32 v3, 2, v3
	ds_bpermute_b32 v10, v3, v6
	ds_bpermute_b32 v11, v3, v7
	v_xor_b32_e32 v4, 2, v9
	v_cmp_lt_i32_e64 s[2:3], v4, v14
	v_xor_b32_e32 v5, 1, v9
	s_waitcnt lgkmcnt(0)
	v_pk_add_f32 v[10:11], v[6:7], v[10:11]
	v_cndmask_b32_e64 v4, v9, v4, s[2:3]
	v_lshlrev_b32_e32 v4, 2, v4
	ds_bpermute_b32 v12, v4, v10
	ds_bpermute_b32 v13, v4, v11
	v_cmp_lt_i32_e64 s[2:3], v5, v14
	s_waitcnt lgkmcnt(0)
	v_pk_add_f32 v[10:11], v[10:11], v[12:13]
	v_cndmask_b32_e64 v5, v9, v5, s[2:3]
	v_lshlrev_b32_e32 v6, 2, v5
	ds_bpermute_b32 v12, v6, v10
	ds_bpermute_b32 v13, v6, v11
	s_lshl_b64 s[2:3], s[4:5], 2
	s_add_u32 s2, s6, s2
	s_addc_u32 s3, s7, s3
	s_and_b64 s[0:1], vcc, s[0:1]
	s_waitcnt lgkmcnt(0)
	v_pk_add_f32 v[10:11], v[10:11], v[12:13]
	v_lshlrev_b32_e32 v5, 2, v8
	scratch_store_dwordx2 off, v[10:11], off
	s_and_saveexec_b64 s[4:5], s[0:1]
	s_cbranch_execz .LBB32_7
; %bb.6:
	scratch_load_dword v7, v5, off
	s_waitcnt vmcnt(0)
	global_store_dword v5, v7, s[2:3]
.LBB32_7:
	s_or_b64 exec, exec, s[4:5]
	scratch_load_dwordx2 v[10:11], off, off offset:8
	s_waitcnt vmcnt(0)
	ds_bpermute_b32 v12, v0, v10
	ds_bpermute_b32 v13, v0, v11
	s_waitcnt lgkmcnt(0)
	v_pk_add_f32 v[10:11], v[10:11], v[12:13]
	ds_bpermute_b32 v12, v1, v10
	ds_bpermute_b32 v13, v1, v11
	s_waitcnt lgkmcnt(0)
	v_pk_add_f32 v[10:11], v[10:11], v[12:13]
	;; [unrolled: 4-line block ×6, first 2 shown]
	scratch_store_dwordx2 off, v[10:11], off offset:8
	s_and_saveexec_b64 s[4:5], s[0:1]
	s_cbranch_execz .LBB32_9
; %bb.8:
	scratch_load_dword v7, v5, off offset:8
	v_add_u32_e32 v10, s10, v8
	v_mov_b32_e32 v11, 0
	v_lshl_add_u64 v[10:11], v[10:11], 2, s[2:3]
	s_waitcnt vmcnt(0)
	global_store_dword v[10:11], v7, off
.LBB32_9:
	s_or_b64 exec, exec, s[4:5]
	scratch_load_dwordx2 v[10:11], off, off offset:16
	s_waitcnt vmcnt(0)
	ds_bpermute_b32 v12, v0, v10
	ds_bpermute_b32 v13, v0, v11
	s_waitcnt lgkmcnt(0)
	v_pk_add_f32 v[10:11], v[10:11], v[12:13]
	ds_bpermute_b32 v12, v1, v10
	ds_bpermute_b32 v13, v1, v11
	s_waitcnt lgkmcnt(0)
	v_pk_add_f32 v[10:11], v[10:11], v[12:13]
	;; [unrolled: 4-line block ×6, first 2 shown]
	scratch_store_dwordx2 off, v[10:11], off offset:16
	s_and_saveexec_b64 s[4:5], s[0:1]
	s_cbranch_execz .LBB32_11
; %bb.10:
	scratch_load_dword v7, v5, off offset:16
	v_lshl_or_b32 v10, s10, 1, v8
	v_mov_b32_e32 v11, 0
	v_lshl_add_u64 v[10:11], v[10:11], 2, s[2:3]
	s_waitcnt vmcnt(0)
	global_store_dword v[10:11], v7, off
.LBB32_11:
	s_or_b64 exec, exec, s[4:5]
	scratch_load_dwordx2 v[10:11], off, off offset:24
	s_waitcnt vmcnt(0)
	ds_bpermute_b32 v12, v0, v10
	ds_bpermute_b32 v13, v0, v11
	s_waitcnt lgkmcnt(0)
	v_pk_add_f32 v[10:11], v[10:11], v[12:13]
	ds_bpermute_b32 v12, v1, v10
	ds_bpermute_b32 v13, v1, v11
	s_waitcnt lgkmcnt(0)
	v_pk_add_f32 v[10:11], v[10:11], v[12:13]
	ds_bpermute_b32 v12, v2, v10
	ds_bpermute_b32 v13, v2, v11
	s_waitcnt lgkmcnt(0)
	v_pk_add_f32 v[10:11], v[10:11], v[12:13]
	ds_bpermute_b32 v12, v3, v10
	ds_bpermute_b32 v13, v3, v11
	s_waitcnt lgkmcnt(0)
	v_pk_add_f32 v[10:11], v[10:11], v[12:13]
	ds_bpermute_b32 v12, v4, v10
	ds_bpermute_b32 v13, v4, v11
	s_waitcnt lgkmcnt(0)
	v_pk_add_f32 v[10:11], v[10:11], v[12:13]
	ds_bpermute_b32 v12, v6, v10
	ds_bpermute_b32 v13, v6, v11
	s_waitcnt lgkmcnt(0)
	v_pk_add_f32 v[10:11], v[10:11], v[12:13]
	scratch_store_dwordx2 off, v[10:11], off offset:24
	s_and_saveexec_b64 s[4:5], s[0:1]
	s_cbranch_execz .LBB32_13
; %bb.12:
	scratch_load_dword v7, v5, off offset:24
	v_mad_u64_u32 v[10:11], s[6:7], s10, 3, v[8:9]
	v_mov_b32_e32 v11, 0
	v_lshl_add_u64 v[10:11], v[10:11], 2, s[2:3]
	s_waitcnt vmcnt(0)
	global_store_dword v[10:11], v7, off
.LBB32_13:
	s_or_b64 exec, exec, s[4:5]
	scratch_load_dwordx2 v[10:11], off, off offset:32
	s_waitcnt vmcnt(0)
	ds_bpermute_b32 v12, v0, v10
	ds_bpermute_b32 v13, v0, v11
	s_waitcnt lgkmcnt(0)
	v_pk_add_f32 v[10:11], v[10:11], v[12:13]
	ds_bpermute_b32 v0, v1, v10
	ds_bpermute_b32 v1, v1, v11
	s_waitcnt lgkmcnt(0)
	v_pk_add_f32 v[0:1], v[10:11], v[0:1]
	;; [unrolled: 4-line block ×6, first 2 shown]
	scratch_store_dwordx2 off, v[0:1], off offset:32
	s_and_b64 exec, exec, s[0:1]
	s_cbranch_execz .LBB32_15
; %bb.14:
	scratch_load_dword v2, v5, off offset:32
	v_lshl_or_b32 v0, s10, 2, v8
	v_mov_b32_e32 v1, 0
	v_lshl_add_u64 v[0:1], v[0:1], 2, s[2:3]
	s_waitcnt vmcnt(0)
	global_store_dword v[0:1], v2, off
.LBB32_15:
	s_endpgm
	.section	.rodata,"a",@progbits
	.p2align	6, 0x0
	.amdhsa_kernel _ZL13mul_mat_vec_qIL9ggml_type3ELi5ELb0ELb0EEvPKvS2_PKi31ggml_cuda_mm_fusion_args_devicePfj15HIP_vector_typeIjLj3EEjjjS8_jjjS8_jjjj
		.amdhsa_group_segment_fixed_size 0
		.amdhsa_private_segment_fixed_size 48
		.amdhsa_kernarg_size 144
		.amdhsa_user_sgpr_count 2
		.amdhsa_user_sgpr_dispatch_ptr 0
		.amdhsa_user_sgpr_queue_ptr 0
		.amdhsa_user_sgpr_kernarg_segment_ptr 1
		.amdhsa_user_sgpr_dispatch_id 0
		.amdhsa_user_sgpr_kernarg_preload_length 0
		.amdhsa_user_sgpr_kernarg_preload_offset 0
		.amdhsa_user_sgpr_private_segment_size 0
		.amdhsa_uses_dynamic_stack 0
		.amdhsa_enable_private_segment 1
		.amdhsa_system_sgpr_workgroup_id_x 1
		.amdhsa_system_sgpr_workgroup_id_y 1
		.amdhsa_system_sgpr_workgroup_id_z 1
		.amdhsa_system_sgpr_workgroup_info 0
		.amdhsa_system_vgpr_workitem_id 1
		.amdhsa_next_free_vgpr 68
		.amdhsa_next_free_sgpr 28
		.amdhsa_accum_offset 68
		.amdhsa_reserve_vcc 1
		.amdhsa_float_round_mode_32 0
		.amdhsa_float_round_mode_16_64 0
		.amdhsa_float_denorm_mode_32 3
		.amdhsa_float_denorm_mode_16_64 3
		.amdhsa_dx10_clamp 1
		.amdhsa_ieee_mode 1
		.amdhsa_fp16_overflow 0
		.amdhsa_tg_split 0
		.amdhsa_exception_fp_ieee_invalid_op 0
		.amdhsa_exception_fp_denorm_src 0
		.amdhsa_exception_fp_ieee_div_zero 0
		.amdhsa_exception_fp_ieee_overflow 0
		.amdhsa_exception_fp_ieee_underflow 0
		.amdhsa_exception_fp_ieee_inexact 0
		.amdhsa_exception_int_div_zero 0
	.end_amdhsa_kernel
	.section	.text._ZL13mul_mat_vec_qIL9ggml_type3ELi5ELb0ELb0EEvPKvS2_PKi31ggml_cuda_mm_fusion_args_devicePfj15HIP_vector_typeIjLj3EEjjjS8_jjjS8_jjjj,"axG",@progbits,_ZL13mul_mat_vec_qIL9ggml_type3ELi5ELb0ELb0EEvPKvS2_PKi31ggml_cuda_mm_fusion_args_devicePfj15HIP_vector_typeIjLj3EEjjjS8_jjjS8_jjjj,comdat
.Lfunc_end32:
	.size	_ZL13mul_mat_vec_qIL9ggml_type3ELi5ELb0ELb0EEvPKvS2_PKi31ggml_cuda_mm_fusion_args_devicePfj15HIP_vector_typeIjLj3EEjjjS8_jjjS8_jjjj, .Lfunc_end32-_ZL13mul_mat_vec_qIL9ggml_type3ELi5ELb0ELb0EEvPKvS2_PKi31ggml_cuda_mm_fusion_args_devicePfj15HIP_vector_typeIjLj3EEjjjS8_jjjS8_jjjj
                                        ; -- End function
	.section	.AMDGPU.csdata,"",@progbits
; Kernel info:
; codeLenInByte = 2828
; NumSgprs: 34
; NumVgprs: 68
; NumAgprs: 0
; TotalNumVgprs: 68
; ScratchSize: 48
; MemoryBound: 0
; FloatMode: 240
; IeeeMode: 1
; LDSByteSize: 0 bytes/workgroup (compile time only)
; SGPRBlocks: 4
; VGPRBlocks: 8
; NumSGPRsForWavesPerEU: 34
; NumVGPRsForWavesPerEU: 68
; AccumOffset: 68
; Occupancy: 7
; WaveLimiterHint : 0
; COMPUTE_PGM_RSRC2:SCRATCH_EN: 1
; COMPUTE_PGM_RSRC2:USER_SGPR: 2
; COMPUTE_PGM_RSRC2:TRAP_HANDLER: 0
; COMPUTE_PGM_RSRC2:TGID_X_EN: 1
; COMPUTE_PGM_RSRC2:TGID_Y_EN: 1
; COMPUTE_PGM_RSRC2:TGID_Z_EN: 1
; COMPUTE_PGM_RSRC2:TIDIG_COMP_CNT: 1
; COMPUTE_PGM_RSRC3_GFX90A:ACCUM_OFFSET: 16
; COMPUTE_PGM_RSRC3_GFX90A:TG_SPLIT: 0
	.section	.text._ZL13mul_mat_vec_qIL9ggml_type3ELi6ELb0ELb0EEvPKvS2_PKi31ggml_cuda_mm_fusion_args_devicePfj15HIP_vector_typeIjLj3EEjjjS8_jjjS8_jjjj,"axG",@progbits,_ZL13mul_mat_vec_qIL9ggml_type3ELi6ELb0ELb0EEvPKvS2_PKi31ggml_cuda_mm_fusion_args_devicePfj15HIP_vector_typeIjLj3EEjjjS8_jjjS8_jjjj,comdat
	.globl	_ZL13mul_mat_vec_qIL9ggml_type3ELi6ELb0ELb0EEvPKvS2_PKi31ggml_cuda_mm_fusion_args_devicePfj15HIP_vector_typeIjLj3EEjjjS8_jjjS8_jjjj ; -- Begin function _ZL13mul_mat_vec_qIL9ggml_type3ELi6ELb0ELb0EEvPKvS2_PKi31ggml_cuda_mm_fusion_args_devicePfj15HIP_vector_typeIjLj3EEjjjS8_jjjS8_jjjj
	.p2align	8
	.type	_ZL13mul_mat_vec_qIL9ggml_type3ELi6ELb0ELb0EEvPKvS2_PKi31ggml_cuda_mm_fusion_args_devicePfj15HIP_vector_typeIjLj3EEjjjS8_jjjS8_jjjj,@function
_ZL13mul_mat_vec_qIL9ggml_type3ELi6ELb0ELb0EEvPKvS2_PKi31ggml_cuda_mm_fusion_args_devicePfj15HIP_vector_typeIjLj3EEjjjS8_jjjS8_jjjj: ; @_ZL13mul_mat_vec_qIL9ggml_type3ELi6ELb0ELb0EEvPKvS2_PKi31ggml_cuda_mm_fusion_args_devicePfj15HIP_vector_typeIjLj3EEjjjS8_jjjS8_jjjj
; %bb.0:
	v_bfe_u32 v13, v0, 10, 10
	v_lshlrev_b32_e32 v1, 6, v13
	v_and_b32_e32 v12, 0x3ff, v0
	s_mov_b32 s20, 0
	s_load_dword s5, s[0:1], 0x40
	s_load_dwordx4 s[8:11], s[0:1], 0x50
	s_load_dword s25, s[0:1], 0x60
	s_load_dwordx4 s[12:15], s[0:1], 0x68
	;; [unrolled: 2-line block ×3, first 2 shown]
	s_mov_b32 s21, s20
	v_add_u16_e32 v0, v1, v12
	s_waitcnt lgkmcnt(0)
	s_lshr_b32 s5, s5, 5
	s_mov_b32 s22, s20
	s_mov_b32 s23, s20
	v_mov_b64_e32 v[2:3], s[20:21]
	v_lshrrev_b16_e32 v20, 1, v0
	s_lshl_b32 s2, s2, 1
	v_mov_b64_e32 v[4:5], s[22:23]
	v_cmp_gt_u32_e32 vcc, s5, v20
	scratch_store_dwordx4 off, v[2:5], off offset:32
	scratch_store_dwordx4 off, v[2:5], off offset:16
	scratch_store_dwordx4 off, v[2:5], off
	s_and_saveexec_b64 s[6:7], vcc
	s_cbranch_execz .LBB33_4
; %bb.1:
	s_load_dwordx4 s[20:23], s[0:1], 0x0
	s_mul_i32 s17, s4, s17
	s_mul_hi_u32 s19, s17, 36
	s_mul_i32 s17, s17, 36
	s_mul_i32 s13, s3, s13
	s_waitcnt lgkmcnt(0)
	s_add_u32 s17, s22, s17
	s_addc_u32 s19, s23, s19
	s_mul_hi_u32 s23, s13, 36
	s_mul_i32 s13, s13, 36
	s_add_u32 s22, s17, s13
	s_mul_hi_u32 s11, s11, s3
	s_addc_u32 s23, s19, s23
	s_add_i32 s11, s3, s11
	v_and_b32_e32 v2, 1, v12
	s_lshr_b32 s11, s11, s25
	v_lshlrev_b32_e32 v14, 3, v2
	v_and_b32_e32 v2, v1, v12
	v_xor_b32_e32 v1, v1, v12
	s_mul_i32 s17, s11, s12
	s_mul_hi_u32 s11, s15, s4
	v_lshrrev_b16_e32 v1, 1, v1
	s_add_i32 s11, s4, s11
	v_add_u16_e32 v1, v2, v1
	s_lshr_b32 s11, s11, s24
	v_mad_u64_u32 v[16:17], s[12:13], v1, 36, s[22:23]
	s_mul_i32 s16, s11, s16
	v_lshlrev_b32_e32 v0, 1, v12
	s_add_i32 s13, s2, 1
	v_and_b32_e32 v0, 2, v0
	v_mov_b32_e32 v15, 0
	s_mul_i32 s25, s2, s8
	s_add_i32 s12, s16, s17
	s_mul_i32 s8, s8, s13
	s_lshl_b32 s11, s9, 1
	s_mul_i32 s15, s9, 3
	s_lshl_b32 s19, s9, 2
	s_mul_i32 s24, s9, 5
	s_add_i32 s8, s12, s8
	s_add_i32 s25, s12, s25
	s_mov_b64 s[12:13], 0
	v_lshlrev_b32_e32 v18, 2, v0
	v_mov_b32_e32 v19, v15
	s_mov_b64 s[16:17], 0x480
	v_mov_b32_e32 v8, v15
	v_mov_b32_e32 v9, v15
	;; [unrolled: 1-line block ×12, first 2 shown]
.LBB33_2:                               ; =>This Inner Loop Header: Depth=1
	v_lshl_add_u64 v[22:23], v[16:17], 0, v[14:15]
	global_load_dwordx2 v[24:25], v[22:23], off offset:4
	global_load_dwordx2 v[26:27], v[22:23], off offset:20
	v_add_u32_e32 v21, s25, v20
	v_add_u32_e32 v28, s8, v20
	;; [unrolled: 1-line block ×3, first 2 shown]
	v_mad_i64_i32 v[22:23], s[26:27], v21, 20, s[20:21]
	v_add_u32_e32 v32, s11, v20
	v_mad_i64_i32 v[28:29], s[26:27], v28, 20, s[20:21]
	v_mad_u64_u32 v[30:31], s[26:27], v30, 36, s[22:23]
	v_lshl_add_u64 v[38:39], v[22:23], 0, v[18:19]
	v_mad_u64_u32 v[32:33], s[26:27], v32, 36, s[22:23]
	v_lshl_add_u64 v[40:41], v[28:29], 0, v[18:19]
	v_lshl_add_u64 v[42:43], v[30:31], 0, v[18:19]
	global_load_dwordx2 v[48:49], v[38:39], off offset:4
	global_load_dwordx2 v[50:51], v[40:41], off offset:4
	global_load_dword v21, v[28:29], off
	global_load_dword v63, v[22:23], off
                                        ; kill: killed $vgpr38_vgpr39
                                        ; kill: killed $vgpr28_vgpr29
                                        ; kill: killed $vgpr22_vgpr23
                                        ; kill: killed $vgpr40_vgpr41
	s_nop 0
	global_load_dwordx2 v[22:23], v[42:43], off offset:20
	global_load_dword v38, v[32:33], off
	global_load_dword v39, v[30:31], off
	v_mov_b32_e32 v52, 0
	v_mov_b32_e32 v53, 0
	v_add_u32_e32 v36, s19, v20
	v_mad_u64_u32 v[36:37], s[26:27], v36, 36, s[22:23]
	v_add_u32_e32 v34, s15, v20
	v_lshl_add_u64 v[46:47], v[36:37], 0, v[18:19]
	v_mad_u64_u32 v[34:35], s[26:27], v34, 36, s[22:23]
	v_mov_b32_e32 v54, 0
	v_mov_b32_e32 v55, 0
	v_lshl_add_u64 v[44:45], v[32:33], 0, v[18:19]
	v_mov_b32_e32 v56, 0
	v_mov_b32_e32 v57, 0
	;; [unrolled: 1-line block ×6, first 2 shown]
	v_add_u32_e32 v62, s24, v20
	v_add_u32_e32 v20, 32, v20
	v_cmp_le_u32_e32 vcc, s5, v20
	s_or_b64 s[12:13], vcc, s[12:13]
	s_waitcnt vmcnt(6)
	v_and_b32_e32 v40, 0xf0f0f0f, v48
	v_lshrrev_b32_e32 v28, 4, v48
	s_waitcnt vmcnt(5)
	v_and_b32_e32 v48, 0xf0f0f0f, v50
	v_lshrrev_b32_e32 v29, 4, v50
	v_and_b32_e32 v64, 0xf0f0f0f, v28
	v_dot4c_i32_i8_e32 v52, v40, v24
	v_and_b32_e32 v65, 0xf0f0f0f, v29
	v_dot4c_i32_i8_e32 v53, v48, v24
	v_and_b32_e32 v41, 0xf0f0f0f, v49
	v_and_b32_e32 v50, 0xf0f0f0f, v51
	v_dot4c_i32_i8_e32 v52, v64, v26
	v_dot4c_i32_i8_e32 v53, v65, v26
	;; [unrolled: 1-line block ×4, first 2 shown]
	global_load_dwordx2 v[24:25], v[46:47], off offset:20
	global_load_dword v26, v[36:37], off
	global_load_dword v66, v[34:35], off
	global_load_dwordx2 v[30:31], v[42:43], off offset:4
	v_lshl_add_u64 v[28:29], v[34:35], 0, v[18:19]
	s_waitcnt vmcnt(4)
	v_pk_mul_f16 v43, v63, v39
	v_pk_mul_f16 v39, v21, v39
	s_waitcnt vmcnt(0)
	v_dot4c_i32_i8_e32 v54, v40, v30
	v_dot4c_i32_i8_e32 v55, v48, v30
	;; [unrolled: 1-line block ×6, first 2 shown]
	global_load_dwordx2 v[30:31], v[44:45], off offset:4
	global_load_dwordx2 v[32:33], v[44:45], off offset:20
	v_pk_mul_f16 v44, v63, v38
	v_pk_mul_f16 v45, v21, v38
	v_cvt_f32_f16_sdwa v38, v43 dst_sel:DWORD dst_unused:UNUSED_PAD src0_sel:WORD_1
	s_waitcnt vmcnt(1)
	v_dot4c_i32_i8_e32 v56, v40, v30
	v_dot4c_i32_i8_e32 v57, v48, v30
	s_waitcnt vmcnt(0)
	v_dot4c_i32_i8_e32 v56, v64, v32
	v_dot4c_i32_i8_e32 v57, v65, v32
	;; [unrolled: 1-line block ×4, first 2 shown]
	global_load_dwordx2 v[30:31], v[28:29], off offset:4
	global_load_dwordx2 v[34:35], v[28:29], off offset:20
	v_mad_u64_u32 v[28:29], s[26:27], v62, 36, s[22:23]
	v_lshrrev_b32_e32 v32, 4, v51
	v_pk_mul_f16 v51, v21, v26
	s_waitcnt vmcnt(1)
	v_dot4c_i32_i8_e32 v58, v40, v30
	v_dot4c_i32_i8_e32 v59, v48, v30
	s_waitcnt vmcnt(0)
	v_dot4c_i32_i8_e32 v58, v64, v34
	v_dot4c_i32_i8_e32 v59, v65, v34
	v_dot4c_i32_i8_e32 v58, v41, v31
	v_dot4c_i32_i8_e32 v59, v50, v31
	global_load_dwordx2 v[30:31], v[46:47], off offset:4
	v_pk_mul_f16 v46, v63, v66
	v_pk_mul_f16 v47, v21, v66
	v_mov_b32_e32 v66, 0
	s_waitcnt vmcnt(0)
	v_dot4c_i32_i8_e32 v60, v40, v30
	v_dot4c_i32_i8_e32 v61, v48, v30
	;; [unrolled: 1-line block ×6, first 2 shown]
	v_lshl_add_u64 v[30:31], v[28:29], 0, v[18:19]
	global_load_dwordx2 v[36:37], v[30:31], off offset:20
	global_load_dword v22, v[28:29], off
	v_lshrrev_b32_e32 v24, 4, v49
	global_load_dword v28, v[16:17], off
	v_pk_mul_f16 v49, v63, v26
	v_cvt_f32_f16_e32 v26, v43
	v_cvt_f32_f16_sdwa v43, v47 dst_sel:DWORD dst_unused:UNUSED_PAD src0_sel:WORD_1
	v_lshl_add_u64 v[16:17], v[16:17], 0, s[16:17]
	s_waitcnt vmcnt(1)
	v_pk_mul_f16 v62, v63, v22
	s_waitcnt vmcnt(0)
	v_pk_mul_f16 v34, v63, v28
	v_pk_mul_f16 v42, v21, v28
	global_load_dwordx2 v[28:29], v[30:31], off offset:4
	v_mov_b32_e32 v63, 0
	v_pk_mul_f16 v21, v21, v22
	v_cvt_f32_f16_sdwa v30, v34 dst_sel:DWORD dst_unused:UNUSED_PAD src0_sel:WORD_1
	v_cvt_f32_f16_e32 v22, v44
	v_cvt_f32_f16_sdwa v31, v42 dst_sel:DWORD dst_unused:UNUSED_PAD src0_sel:WORD_1
	s_waitcnt vmcnt(0)
	v_dot4c_i32_i8_e32 v63, v40, v28
	v_dot4c_i32_i8_e32 v66, v48, v28
	;; [unrolled: 1-line block ×5, first 2 shown]
	v_and_b32_e32 v36, 0xf0f0f0f, v24
	v_and_b32_e32 v48, 0xf0f0f0f, v32
	v_dot4c_i32_i8_e32 v66, v50, v29
	v_dot4c_i32_i8_e32 v52, v36, v27
	;; [unrolled: 1-line block ×13, first 2 shown]
	v_cvt_f32_f16_e32 v29, v42
	v_cvt_f32_f16_e32 v28, v34
	;; [unrolled: 1-line block ×4, first 2 shown]
	v_cvt_f32_f16_sdwa v41, v45 dst_sel:DWORD dst_unused:UNUSED_PAD src0_sel:WORD_1
	v_cvt_f32_f16_sdwa v40, v44 dst_sel:DWORD dst_unused:UNUSED_PAD src0_sel:WORD_1
	v_cvt_f32_f16_e32 v33, v47
	v_cvt_f32_f16_e32 v32, v46
	;; [unrolled: 1-line block ×4, first 2 shown]
	v_cvt_f32_f16_sdwa v45, v51 dst_sel:DWORD dst_unused:UNUSED_PAD src0_sel:WORD_1
	v_cvt_f32_f16_sdwa v44, v49 dst_sel:DWORD dst_unused:UNUSED_PAD src0_sel:WORD_1
	v_cvt_f32_f16_e32 v25, v21
	v_cvt_f32_f16_e32 v24, v62
	v_cvt_f32_i32_e32 v37, v53
	v_cvt_f32_i32_e32 v36, v52
	;; [unrolled: 1-line block ×12, first 2 shown]
	v_cvt_f32_f16_sdwa v39, v39 dst_sel:DWORD dst_unused:UNUSED_PAD src0_sel:WORD_1
	v_cvt_f32_f16_sdwa v42, v46 dst_sel:DWORD dst_unused:UNUSED_PAD src0_sel:WORD_1
	;; [unrolled: 1-line block ×4, first 2 shown]
	v_pk_mul_f32 v[28:29], v[36:37], v[28:29]
	v_pk_mul_f32 v[26:27], v[48:49], v[26:27]
	;; [unrolled: 1-line block ×6, first 2 shown]
	v_pk_fma_f32 v[28:29], v[30:31], 0.5, v[28:29] op_sel_hi:[1,0,1]
	v_pk_fma_f32 v[26:27], v[38:39], 0.5, v[26:27] op_sel_hi:[1,0,1]
	;; [unrolled: 1-line block ×6, first 2 shown]
	v_pk_add_f32 v[8:9], v[8:9], v[28:29]
	v_pk_add_f32 v[10:11], v[10:11], v[26:27]
	;; [unrolled: 1-line block ×6, first 2 shown]
	s_andn2_b64 exec, exec, s[12:13]
	s_cbranch_execnz .LBB33_2
; %bb.3:
	s_or_b64 exec, exec, s[12:13]
	scratch_store_dwordx4 off, v[8:11], off
	scratch_store_dwordx4 off, v[4:7], off offset:16
	scratch_store_dwordx4 off, v[0:3], off offset:32
.LBB33_4:
	s_or_b64 exec, exec, s[6:7]
	s_mov_b32 s5, 0
	v_cmp_eq_u32_e32 vcc, 0, v13
	s_waitcnt lgkmcnt(0)
	; wave barrier
	s_and_saveexec_b64 s[6:7], vcc
	s_cbranch_execz .LBB33_17
; %bb.5:
	scratch_load_dwordx2 v[2:3], off, off
	v_mbcnt_lo_u32_b32 v0, -1, 0
	v_mbcnt_hi_u32_b32 v13, -1, v0
	s_load_dwordx2 s[6:7], s[0:1], 0x38
	s_mul_i32 s0, s3, s14
	v_or_b32_e32 v1, s2, v12
	v_and_b32_e32 v0, 64, v13
	s_mul_i32 s4, s4, s18
	s_add_i32 s2, s0, s2
	v_cmp_gt_u32_e64 s[0:1], s10, v1
	v_xor_b32_e32 v1, 32, v13
	v_add_u32_e32 v14, 64, v0
	s_add_i32 s4, s2, s4
	v_cmp_lt_i32_e64 s[2:3], v1, v14
	v_cmp_gt_u32_e32 vcc, 2, v12
	s_nop 0
	v_cndmask_b32_e64 v0, v13, v1, s[2:3]
	v_lshlrev_b32_e32 v0, 2, v0
	v_xor_b32_e32 v1, 16, v13
	v_cmp_lt_i32_e64 s[2:3], v1, v14
	s_waitcnt vmcnt(0)
	ds_bpermute_b32 v4, v0, v2
	ds_bpermute_b32 v5, v0, v3
	v_cndmask_b32_e64 v1, v13, v1, s[2:3]
	v_lshlrev_b32_e32 v1, 2, v1
	s_waitcnt lgkmcnt(0)
	v_pk_add_f32 v[4:5], v[2:3], v[4:5]
	ds_bpermute_b32 v6, v1, v4
	ds_bpermute_b32 v7, v1, v5
	v_xor_b32_e32 v2, 8, v13
	v_cmp_lt_i32_e64 s[2:3], v2, v14
	v_xor_b32_e32 v3, 4, v13
	s_waitcnt lgkmcnt(0)
	v_pk_add_f32 v[4:5], v[4:5], v[6:7]
	v_cndmask_b32_e64 v2, v13, v2, s[2:3]
	v_lshlrev_b32_e32 v2, 2, v2
	ds_bpermute_b32 v6, v2, v4
	ds_bpermute_b32 v7, v2, v5
	v_cmp_lt_i32_e64 s[2:3], v3, v14
	s_waitcnt lgkmcnt(0)
	v_pk_add_f32 v[6:7], v[4:5], v[6:7]
	v_cndmask_b32_e64 v3, v13, v3, s[2:3]
	v_lshlrev_b32_e32 v3, 2, v3
	ds_bpermute_b32 v8, v3, v6
	ds_bpermute_b32 v9, v3, v7
	v_xor_b32_e32 v4, 2, v13
	v_cmp_lt_i32_e64 s[2:3], v4, v14
	v_xor_b32_e32 v5, 1, v13
	s_waitcnt lgkmcnt(0)
	v_pk_add_f32 v[8:9], v[6:7], v[8:9]
	v_cndmask_b32_e64 v4, v13, v4, s[2:3]
	v_lshlrev_b32_e32 v4, 2, v4
	ds_bpermute_b32 v10, v4, v8
	ds_bpermute_b32 v11, v4, v9
	v_cmp_lt_i32_e64 s[2:3], v5, v14
	s_waitcnt lgkmcnt(0)
	v_pk_add_f32 v[8:9], v[8:9], v[10:11]
	v_cndmask_b32_e64 v5, v13, v5, s[2:3]
	v_lshlrev_b32_e32 v6, 2, v5
	ds_bpermute_b32 v10, v6, v8
	ds_bpermute_b32 v11, v6, v9
	s_lshl_b64 s[2:3], s[4:5], 2
	s_add_u32 s2, s6, s2
	s_addc_u32 s3, s7, s3
	s_and_b64 s[0:1], vcc, s[0:1]
	s_waitcnt lgkmcnt(0)
	v_pk_add_f32 v[8:9], v[8:9], v[10:11]
	v_lshlrev_b32_e32 v5, 2, v12
	scratch_store_dwordx2 off, v[8:9], off
	s_and_saveexec_b64 s[4:5], s[0:1]
	s_cbranch_execz .LBB33_7
; %bb.6:
	scratch_load_dword v7, v5, off
	s_waitcnt vmcnt(0)
	global_store_dword v5, v7, s[2:3]
.LBB33_7:
	s_or_b64 exec, exec, s[4:5]
	scratch_load_dwordx2 v[8:9], off, off offset:8
	s_waitcnt vmcnt(0)
	ds_bpermute_b32 v10, v0, v8
	ds_bpermute_b32 v11, v0, v9
	s_waitcnt lgkmcnt(0)
	v_pk_add_f32 v[8:9], v[8:9], v[10:11]
	ds_bpermute_b32 v10, v1, v8
	ds_bpermute_b32 v11, v1, v9
	s_waitcnt lgkmcnt(0)
	v_pk_add_f32 v[8:9], v[8:9], v[10:11]
	;; [unrolled: 4-line block ×6, first 2 shown]
	scratch_store_dwordx2 off, v[8:9], off offset:8
	s_and_saveexec_b64 s[4:5], s[0:1]
	s_cbranch_execz .LBB33_9
; %bb.8:
	scratch_load_dword v7, v5, off offset:8
	v_add_u32_e32 v8, s10, v12
	v_mov_b32_e32 v9, 0
	v_lshl_add_u64 v[8:9], v[8:9], 2, s[2:3]
	s_waitcnt vmcnt(0)
	global_store_dword v[8:9], v7, off
.LBB33_9:
	s_or_b64 exec, exec, s[4:5]
	scratch_load_dwordx2 v[8:9], off, off offset:16
	s_waitcnt vmcnt(0)
	ds_bpermute_b32 v10, v0, v8
	ds_bpermute_b32 v11, v0, v9
	s_waitcnt lgkmcnt(0)
	v_pk_add_f32 v[8:9], v[8:9], v[10:11]
	ds_bpermute_b32 v10, v1, v8
	ds_bpermute_b32 v11, v1, v9
	s_waitcnt lgkmcnt(0)
	v_pk_add_f32 v[8:9], v[8:9], v[10:11]
	;; [unrolled: 4-line block ×6, first 2 shown]
	scratch_store_dwordx2 off, v[8:9], off offset:16
	s_and_saveexec_b64 s[4:5], s[0:1]
	s_cbranch_execz .LBB33_11
; %bb.10:
	scratch_load_dword v7, v5, off offset:16
	v_lshl_or_b32 v8, s10, 1, v12
	v_mov_b32_e32 v9, 0
	v_lshl_add_u64 v[8:9], v[8:9], 2, s[2:3]
	s_waitcnt vmcnt(0)
	global_store_dword v[8:9], v7, off
.LBB33_11:
	s_or_b64 exec, exec, s[4:5]
	scratch_load_dwordx2 v[8:9], off, off offset:24
	s_waitcnt vmcnt(0)
	ds_bpermute_b32 v10, v0, v8
	ds_bpermute_b32 v11, v0, v9
	s_waitcnt lgkmcnt(0)
	v_pk_add_f32 v[8:9], v[8:9], v[10:11]
	ds_bpermute_b32 v10, v1, v8
	ds_bpermute_b32 v11, v1, v9
	s_waitcnt lgkmcnt(0)
	v_pk_add_f32 v[8:9], v[8:9], v[10:11]
	;; [unrolled: 4-line block ×6, first 2 shown]
	scratch_store_dwordx2 off, v[8:9], off offset:24
	s_and_saveexec_b64 s[4:5], s[0:1]
	s_cbranch_execz .LBB33_13
; %bb.12:
	scratch_load_dword v7, v5, off offset:24
	v_mad_u64_u32 v[8:9], s[6:7], s10, 3, v[12:13]
	v_mov_b32_e32 v9, 0
	v_lshl_add_u64 v[8:9], v[8:9], 2, s[2:3]
	s_waitcnt vmcnt(0)
	global_store_dword v[8:9], v7, off
.LBB33_13:
	s_or_b64 exec, exec, s[4:5]
	scratch_load_dwordx2 v[8:9], off, off offset:32
	s_waitcnt vmcnt(0)
	ds_bpermute_b32 v10, v0, v8
	ds_bpermute_b32 v11, v0, v9
	s_waitcnt lgkmcnt(0)
	v_pk_add_f32 v[8:9], v[8:9], v[10:11]
	ds_bpermute_b32 v10, v1, v8
	ds_bpermute_b32 v11, v1, v9
	s_waitcnt lgkmcnt(0)
	v_pk_add_f32 v[8:9], v[8:9], v[10:11]
	;; [unrolled: 4-line block ×6, first 2 shown]
	scratch_store_dwordx2 off, v[8:9], off offset:32
	s_and_saveexec_b64 s[4:5], s[0:1]
	s_cbranch_execz .LBB33_15
; %bb.14:
	scratch_load_dword v7, v5, off offset:32
	v_lshl_or_b32 v8, s10, 2, v12
	v_mov_b32_e32 v9, 0
	v_lshl_add_u64 v[8:9], v[8:9], 2, s[2:3]
	s_waitcnt vmcnt(0)
	global_store_dword v[8:9], v7, off
.LBB33_15:
	s_or_b64 exec, exec, s[4:5]
	scratch_load_dwordx2 v[8:9], off, off offset:40
	s_waitcnt vmcnt(0)
	ds_bpermute_b32 v10, v0, v8
	ds_bpermute_b32 v11, v0, v9
	s_waitcnt lgkmcnt(0)
	v_pk_add_f32 v[8:9], v[8:9], v[10:11]
	ds_bpermute_b32 v0, v1, v8
	ds_bpermute_b32 v1, v1, v9
	s_waitcnt lgkmcnt(0)
	v_pk_add_f32 v[0:1], v[8:9], v[0:1]
	;; [unrolled: 4-line block ×6, first 2 shown]
	scratch_store_dwordx2 off, v[0:1], off offset:40
	s_and_b64 exec, exec, s[0:1]
	s_cbranch_execz .LBB33_17
; %bb.16:
	scratch_load_dword v2, v5, off offset:40
	v_mad_u64_u32 v[0:1], s[0:1], s10, 5, v[12:13]
	v_mov_b32_e32 v1, 0
	v_lshl_add_u64 v[0:1], v[0:1], 2, s[2:3]
	s_waitcnt vmcnt(0)
	global_store_dword v[0:1], v2, off
.LBB33_17:
	s_endpgm
	.section	.rodata,"a",@progbits
	.p2align	6, 0x0
	.amdhsa_kernel _ZL13mul_mat_vec_qIL9ggml_type3ELi6ELb0ELb0EEvPKvS2_PKi31ggml_cuda_mm_fusion_args_devicePfj15HIP_vector_typeIjLj3EEjjjS8_jjjS8_jjjj
		.amdhsa_group_segment_fixed_size 0
		.amdhsa_private_segment_fixed_size 64
		.amdhsa_kernarg_size 144
		.amdhsa_user_sgpr_count 2
		.amdhsa_user_sgpr_dispatch_ptr 0
		.amdhsa_user_sgpr_queue_ptr 0
		.amdhsa_user_sgpr_kernarg_segment_ptr 1
		.amdhsa_user_sgpr_dispatch_id 0
		.amdhsa_user_sgpr_kernarg_preload_length 0
		.amdhsa_user_sgpr_kernarg_preload_offset 0
		.amdhsa_user_sgpr_private_segment_size 0
		.amdhsa_uses_dynamic_stack 0
		.amdhsa_enable_private_segment 1
		.amdhsa_system_sgpr_workgroup_id_x 1
		.amdhsa_system_sgpr_workgroup_id_y 1
		.amdhsa_system_sgpr_workgroup_id_z 1
		.amdhsa_system_sgpr_workgroup_info 0
		.amdhsa_system_vgpr_workitem_id 1
		.amdhsa_next_free_vgpr 67
		.amdhsa_next_free_sgpr 28
		.amdhsa_accum_offset 68
		.amdhsa_reserve_vcc 1
		.amdhsa_float_round_mode_32 0
		.amdhsa_float_round_mode_16_64 0
		.amdhsa_float_denorm_mode_32 3
		.amdhsa_float_denorm_mode_16_64 3
		.amdhsa_dx10_clamp 1
		.amdhsa_ieee_mode 1
		.amdhsa_fp16_overflow 0
		.amdhsa_tg_split 0
		.amdhsa_exception_fp_ieee_invalid_op 0
		.amdhsa_exception_fp_denorm_src 0
		.amdhsa_exception_fp_ieee_div_zero 0
		.amdhsa_exception_fp_ieee_overflow 0
		.amdhsa_exception_fp_ieee_underflow 0
		.amdhsa_exception_fp_ieee_inexact 0
		.amdhsa_exception_int_div_zero 0
	.end_amdhsa_kernel
	.section	.text._ZL13mul_mat_vec_qIL9ggml_type3ELi6ELb0ELb0EEvPKvS2_PKi31ggml_cuda_mm_fusion_args_devicePfj15HIP_vector_typeIjLj3EEjjjS8_jjjS8_jjjj,"axG",@progbits,_ZL13mul_mat_vec_qIL9ggml_type3ELi6ELb0ELb0EEvPKvS2_PKi31ggml_cuda_mm_fusion_args_devicePfj15HIP_vector_typeIjLj3EEjjjS8_jjjS8_jjjj,comdat
.Lfunc_end33:
	.size	_ZL13mul_mat_vec_qIL9ggml_type3ELi6ELb0ELb0EEvPKvS2_PKi31ggml_cuda_mm_fusion_args_devicePfj15HIP_vector_typeIjLj3EEjjjS8_jjjS8_jjjj, .Lfunc_end33-_ZL13mul_mat_vec_qIL9ggml_type3ELi6ELb0ELb0EEvPKvS2_PKi31ggml_cuda_mm_fusion_args_devicePfj15HIP_vector_typeIjLj3EEjjjS8_jjjS8_jjjj
                                        ; -- End function
	.section	.AMDGPU.csdata,"",@progbits
; Kernel info:
; codeLenInByte = 3240
; NumSgprs: 34
; NumVgprs: 67
; NumAgprs: 0
; TotalNumVgprs: 67
; ScratchSize: 64
; MemoryBound: 0
; FloatMode: 240
; IeeeMode: 1
; LDSByteSize: 0 bytes/workgroup (compile time only)
; SGPRBlocks: 4
; VGPRBlocks: 8
; NumSGPRsForWavesPerEU: 34
; NumVGPRsForWavesPerEU: 67
; AccumOffset: 68
; Occupancy: 7
; WaveLimiterHint : 0
; COMPUTE_PGM_RSRC2:SCRATCH_EN: 1
; COMPUTE_PGM_RSRC2:USER_SGPR: 2
; COMPUTE_PGM_RSRC2:TRAP_HANDLER: 0
; COMPUTE_PGM_RSRC2:TGID_X_EN: 1
; COMPUTE_PGM_RSRC2:TGID_Y_EN: 1
; COMPUTE_PGM_RSRC2:TGID_Z_EN: 1
; COMPUTE_PGM_RSRC2:TIDIG_COMP_CNT: 1
; COMPUTE_PGM_RSRC3_GFX90A:ACCUM_OFFSET: 16
; COMPUTE_PGM_RSRC3_GFX90A:TG_SPLIT: 0
	.section	.text._ZL13mul_mat_vec_qIL9ggml_type3ELi7ELb0ELb0EEvPKvS2_PKi31ggml_cuda_mm_fusion_args_devicePfj15HIP_vector_typeIjLj3EEjjjS8_jjjS8_jjjj,"axG",@progbits,_ZL13mul_mat_vec_qIL9ggml_type3ELi7ELb0ELb0EEvPKvS2_PKi31ggml_cuda_mm_fusion_args_devicePfj15HIP_vector_typeIjLj3EEjjjS8_jjjS8_jjjj,comdat
	.globl	_ZL13mul_mat_vec_qIL9ggml_type3ELi7ELb0ELb0EEvPKvS2_PKi31ggml_cuda_mm_fusion_args_devicePfj15HIP_vector_typeIjLj3EEjjjS8_jjjS8_jjjj ; -- Begin function _ZL13mul_mat_vec_qIL9ggml_type3ELi7ELb0ELb0EEvPKvS2_PKi31ggml_cuda_mm_fusion_args_devicePfj15HIP_vector_typeIjLj3EEjjjS8_jjjS8_jjjj
	.p2align	8
	.type	_ZL13mul_mat_vec_qIL9ggml_type3ELi7ELb0ELb0EEvPKvS2_PKi31ggml_cuda_mm_fusion_args_devicePfj15HIP_vector_typeIjLj3EEjjjS8_jjjS8_jjjj,@function
_ZL13mul_mat_vec_qIL9ggml_type3ELi7ELb0ELb0EEvPKvS2_PKi31ggml_cuda_mm_fusion_args_devicePfj15HIP_vector_typeIjLj3EEjjjS8_jjjS8_jjjj: ; @_ZL13mul_mat_vec_qIL9ggml_type3ELi7ELb0ELb0EEvPKvS2_PKi31ggml_cuda_mm_fusion_args_devicePfj15HIP_vector_typeIjLj3EEjjjS8_jjjS8_jjjj
; %bb.0:
	v_bfe_u32 v13, v0, 10, 10
	v_lshlrev_b32_e32 v1, 6, v13
	v_and_b32_e32 v12, 0x3ff, v0
	s_mov_b32 s20, 0
	s_load_dword s5, s[0:1], 0x40
	s_load_dwordx4 s[8:11], s[0:1], 0x50
	s_load_dword s25, s[0:1], 0x60
	s_load_dwordx4 s[12:15], s[0:1], 0x68
	;; [unrolled: 2-line block ×3, first 2 shown]
	s_mov_b32 s21, s20
	v_add_u16_e32 v0, v1, v12
	s_waitcnt lgkmcnt(0)
	s_lshr_b32 s5, s5, 5
	v_mov_b32_e32 v15, 0
	s_mov_b32 s22, s20
	s_mov_b32 s23, s20
	v_mov_b64_e32 v[2:3], s[20:21]
	v_lshrrev_b16_e32 v22, 1, v0
	s_lshl_b32 s2, s2, 1
	v_mov_b32_e32 v14, v15
	v_mov_b64_e32 v[4:5], s[22:23]
	v_cmp_gt_u32_e32 vcc, s5, v22
	scratch_store_dwordx2 off, v[14:15], off offset:48
	scratch_store_dwordx4 off, v[2:5], off offset:32
	scratch_store_dwordx4 off, v[2:5], off offset:16
	scratch_store_dwordx4 off, v[2:5], off
	s_and_saveexec_b64 s[6:7], vcc
	s_cbranch_execz .LBB34_4
; %bb.1:
	s_load_dwordx4 s[20:23], s[0:1], 0x0
	s_mul_i32 s17, s4, s17
	s_mul_hi_u32 s19, s17, 36
	s_mul_i32 s17, s17, 36
	s_mul_i32 s13, s3, s13
	s_waitcnt lgkmcnt(0)
	s_add_u32 s17, s22, s17
	s_addc_u32 s19, s23, s19
	s_mul_hi_u32 s23, s13, 36
	s_mul_i32 s13, s13, 36
	s_add_u32 s22, s17, s13
	s_mul_hi_u32 s11, s11, s3
	s_addc_u32 s23, s19, s23
	s_add_i32 s11, s3, s11
	v_and_b32_e32 v2, 1, v12
	s_lshr_b32 s11, s11, s25
	v_lshlrev_b32_e32 v14, 3, v2
	v_and_b32_e32 v2, v1, v12
	v_xor_b32_e32 v1, v1, v12
	s_mul_i32 s17, s11, s12
	s_mul_hi_u32 s11, s15, s4
	v_lshrrev_b16_e32 v1, 1, v1
	s_add_i32 s11, s4, s11
	v_add_u16_e32 v1, v2, v1
	s_lshr_b32 s11, s11, s24
	v_mad_u64_u32 v[16:17], s[12:13], v1, 36, s[22:23]
	s_mul_i32 s16, s11, s16
	v_lshlrev_b32_e32 v0, 1, v12
	s_add_i32 s13, s2, 1
	v_and_b32_e32 v0, 2, v0
	s_mul_i32 s26, s2, s8
	s_add_i32 s12, s16, s17
	s_mul_i32 s8, s8, s13
	s_lshl_b32 s11, s9, 1
	s_mul_i32 s15, s9, 3
	s_lshl_b32 s19, s9, 2
	s_mul_i32 s24, s9, 5
	s_mul_i32 s25, s9, 6
	s_add_i32 s8, s12, s8
	s_add_i32 s26, s12, s26
	s_mov_b64 s[12:13], 0
	v_lshlrev_b32_e32 v20, 2, v0
	v_mov_b32_e32 v21, v15
	s_mov_b64 s[16:17], 0x480
	v_mov_b32_e32 v8, v15
	v_mov_b32_e32 v9, v15
	;; [unrolled: 1-line block ×14, first 2 shown]
.LBB34_2:                               ; =>This Inner Loop Header: Depth=1
	v_lshl_add_u64 v[24:25], v[16:17], 0, v[14:15]
	global_load_dwordx2 v[26:27], v[24:25], off offset:4
	global_load_dwordx2 v[28:29], v[24:25], off offset:20
	v_add_u32_e32 v23, s26, v22
	v_add_u32_e32 v30, s8, v22
	;; [unrolled: 1-line block ×3, first 2 shown]
	v_mad_i64_i32 v[24:25], s[28:29], v23, 20, s[20:21]
	v_add_u32_e32 v34, s11, v22
	v_mad_i64_i32 v[30:31], s[28:29], v30, 20, s[20:21]
	v_mad_u64_u32 v[32:33], s[28:29], v32, 36, s[22:23]
	v_lshl_add_u64 v[40:41], v[24:25], 0, v[20:21]
	v_mad_u64_u32 v[34:35], s[28:29], v34, 36, s[22:23]
	v_lshl_add_u64 v[42:43], v[30:31], 0, v[20:21]
	v_lshl_add_u64 v[44:45], v[32:33], 0, v[20:21]
	global_load_dwordx2 v[50:51], v[40:41], off offset:4
	global_load_dwordx2 v[52:53], v[42:43], off offset:4
	global_load_dword v23, v[30:31], off
	global_load_dword v63, v[24:25], off
                                        ; kill: killed $vgpr30_vgpr31
                                        ; kill: killed $vgpr24_vgpr25
                                        ; kill: killed $vgpr42_vgpr43
                                        ; kill: killed $vgpr40_vgpr41
	s_nop 0
	global_load_dwordx2 v[24:25], v[44:45], off offset:20
	global_load_dword v64, v[34:35], off
	global_load_dword v65, v[32:33], off
	v_mov_b32_e32 v54, 0
	v_mov_b32_e32 v55, 0
	v_add_u32_e32 v38, s19, v22
	v_mad_u64_u32 v[38:39], s[28:29], v38, 36, s[22:23]
	v_add_u32_e32 v36, s15, v22
	v_lshl_add_u64 v[48:49], v[38:39], 0, v[20:21]
	v_mad_u64_u32 v[36:37], s[28:29], v36, 36, s[22:23]
	v_mov_b32_e32 v56, 0
	v_mov_b32_e32 v57, 0
	v_lshl_add_u64 v[46:47], v[34:35], 0, v[20:21]
	v_mov_b32_e32 v58, 0
	v_mov_b32_e32 v59, 0
	;; [unrolled: 1-line block ×9, first 2 shown]
	s_waitcnt vmcnt(6)
	v_and_b32_e32 v66, 0xf0f0f0f, v50
	v_lshrrev_b32_e32 v30, 4, v50
	s_waitcnt vmcnt(5)
	v_and_b32_e32 v67, 0xf0f0f0f, v52
	v_lshrrev_b32_e32 v31, 4, v52
	v_and_b32_e32 v68, 0xf0f0f0f, v30
	v_dot4c_i32_i8_e32 v54, v66, v26
	v_and_b32_e32 v69, 0xf0f0f0f, v31
	v_dot4c_i32_i8_e32 v55, v67, v26
	v_and_b32_e32 v50, 0xf0f0f0f, v51
	v_and_b32_e32 v52, 0xf0f0f0f, v53
	v_dot4c_i32_i8_e32 v54, v68, v28
	v_dot4c_i32_i8_e32 v55, v69, v28
	;; [unrolled: 1-line block ×4, first 2 shown]
	global_load_dwordx2 v[26:27], v[48:49], off offset:20
	global_load_dword v28, v[38:39], off
	global_load_dword v70, v[36:37], off
	global_load_dwordx2 v[32:33], v[44:45], off offset:4
	v_lshl_add_u64 v[30:31], v[36:37], 0, v[20:21]
	s_waitcnt vmcnt(2)
	v_pk_mul_f16 v44, v63, v28
	v_pk_mul_f16 v45, v23, v28
	s_waitcnt vmcnt(0)
	v_dot4c_i32_i8_e32 v56, v66, v32
	v_dot4c_i32_i8_e32 v57, v67, v32
	;; [unrolled: 1-line block ×6, first 2 shown]
	global_load_dwordx2 v[32:33], v[46:47], off offset:4
	global_load_dwordx2 v[34:35], v[46:47], off offset:20
	v_add_u32_e32 v24, s24, v22
	s_waitcnt vmcnt(1)
	v_dot4c_i32_i8_e32 v58, v66, v32
	v_dot4c_i32_i8_e32 v59, v67, v32
	s_waitcnt vmcnt(0)
	v_dot4c_i32_i8_e32 v58, v68, v34
	v_dot4c_i32_i8_e32 v59, v69, v34
	;; [unrolled: 1-line block ×4, first 2 shown]
	global_load_dwordx2 v[32:33], v[30:31], off offset:4
	global_load_dwordx2 v[36:37], v[30:31], off offset:20
	v_pk_mul_f16 v34, v63, v64
	global_load_dwordx2 v[30:31], v[48:49], off offset:4
	s_waitcnt vmcnt(2)
	v_dot4c_i32_i8_e32 v60, v66, v32
	v_dot4c_i32_i8_e32 v61, v67, v32
	s_waitcnt vmcnt(1)
	v_dot4c_i32_i8_e32 v60, v68, v36
	s_waitcnt vmcnt(0)
	v_dot4c_i32_i8_e32 v62, v66, v30
	v_dot4c_i32_i8_e32 v71, v67, v30
	;; [unrolled: 1-line block ×7, first 2 shown]
	v_add_u32_e32 v26, s25, v22
	v_mad_u64_u32 v[30:31], s[28:29], v24, 36, s[22:23]
	v_dot4c_i32_i8_e32 v60, v50, v33
	v_dot4c_i32_i8_e32 v61, v52, v33
	v_mad_u64_u32 v[32:33], s[28:29], v26, 36, s[22:23]
	v_lshl_add_u64 v[38:39], v[30:31], 0, v[20:21]
	global_load_dword v24, v[32:33], off
	global_load_dwordx2 v[40:41], v[38:39], off offset:20
	global_load_dword v26, v[30:31], off
	global_load_dwordx2 v[42:43], v[38:39], off offset:4
	v_lshl_add_u64 v[30:31], v[32:33], 0, v[20:21]
	global_load_dwordx2 v[32:33], v[30:31], off offset:4
	global_load_dwordx2 v[38:39], v[30:31], off offset:20
	v_lshrrev_b32_e32 v30, 4, v51
	v_lshrrev_b32_e32 v31, 4, v53
	v_pk_mul_f16 v36, v23, v64
	v_add_u32_e32 v22, 32, v22
	v_cmp_le_u32_e32 vcc, s5, v22
	s_or_b64 s[12:13], vcc, s[12:13]
	s_waitcnt vmcnt(3)
	v_pk_mul_f16 v46, v63, v26
	s_waitcnt vmcnt(2)
	v_dot4c_i32_i8_e32 v72, v66, v42
	s_waitcnt vmcnt(1)
	v_dot4c_i32_i8_e32 v74, v66, v32
	v_mov_b32_e32 v66, 0
	v_dot4c_i32_i8_e32 v66, v67, v32
	global_load_dword v32, v[16:17], off
	v_dot4c_i32_i8_e32 v73, v67, v42
	v_dot4c_i32_i8_e32 v72, v68, v40
	;; [unrolled: 1-line block ×3, first 2 shown]
	s_waitcnt vmcnt(1)
	v_dot4c_i32_i8_e32 v74, v68, v38
	v_dot4c_i32_i8_e32 v66, v69, v38
	v_and_b32_e32 v38, 0xf0f0f0f, v30
	v_and_b32_e32 v42, 0xf0f0f0f, v31
	v_dot4c_i32_i8_e32 v72, v50, v43
	v_dot4c_i32_i8_e32 v73, v52, v43
	;; [unrolled: 1-line block ×6, first 2 shown]
	v_pk_mul_f16 v31, v23, v65
	v_dot4c_i32_i8_e32 v56, v38, v25
	v_dot4c_i32_i8_e32 v57, v42, v25
	v_pk_mul_f16 v43, v23, v70
	v_dot4c_i32_i8_e32 v58, v38, v35
	v_dot4c_i32_i8_e32 v59, v42, v35
	v_pk_mul_f16 v47, v23, v26
	v_pk_mul_f16 v50, v63, v24
	v_dot4c_i32_i8_e32 v60, v38, v37
	v_dot4c_i32_i8_e32 v61, v42, v37
	;; [unrolled: 1-line block ×4, first 2 shown]
	v_cvt_f32_f16_e32 v27, v31
	v_dot4c_i32_i8_e32 v72, v38, v41
	v_dot4c_i32_i8_e32 v73, v42, v41
	v_cvt_f32_f16_e32 v37, v43
	v_cvt_f32_f16_sdwa v41, v43 dst_sel:DWORD dst_unused:UNUSED_PAD src0_sel:WORD_1
	v_dot4c_i32_i8_e32 v74, v38, v39
	v_dot4c_i32_i8_e32 v66, v42, v39
	v_cvt_f32_f16_e32 v39, v45
	v_cvt_f32_f16_e32 v38, v44
	v_cvt_f32_f16_sdwa v43, v45 dst_sel:DWORD dst_unused:UNUSED_PAD src0_sel:WORD_1
	v_cvt_f32_f16_sdwa v42, v44 dst_sel:DWORD dst_unused:UNUSED_PAD src0_sel:WORD_1
	v_cvt_f32_i32_e32 v45, v55
	v_cvt_f32_i32_e32 v44, v54
	;; [unrolled: 1-line block ×4, first 2 shown]
	v_pk_mul_f16 v40, v63, v70
	v_cvt_f32_f16_e32 v33, v36
	v_cvt_f32_f16_sdwa v35, v36 dst_sel:DWORD dst_unused:UNUSED_PAD src0_sel:WORD_1
	v_cvt_f32_f16_e32 v36, v40
	v_cvt_f32_i32_e32 v53, v59
	v_cvt_f32_i32_e32 v52, v58
	;; [unrolled: 1-line block ×10, first 2 shown]
	v_cvt_f32_f16_sdwa v31, v31 dst_sel:DWORD dst_unused:UNUSED_PAD src0_sel:WORD_1
	v_cvt_f32_f16_sdwa v40, v40 dst_sel:DWORD dst_unused:UNUSED_PAD src0_sel:WORD_1
	v_pk_mul_f32 v[36:37], v[54:55], v[36:37]
	v_pk_mul_f32 v[38:39], v[56:57], v[38:39]
	v_lshl_add_u64 v[16:17], v[16:17], 0, s[16:17]
	s_waitcnt vmcnt(0)
	v_pk_mul_f16 v30, v63, v32
	v_pk_mul_f16 v29, v23, v32
	;; [unrolled: 1-line block ×4, first 2 shown]
	v_cvt_f32_f16_e32 v25, v29
	v_cvt_f32_f16_e32 v24, v30
	;; [unrolled: 1-line block ×3, first 2 shown]
	v_cvt_f32_f16_sdwa v28, v30 dst_sel:DWORD dst_unused:UNUSED_PAD src0_sel:WORD_1
	v_cvt_f32_f16_sdwa v30, v32 dst_sel:DWORD dst_unused:UNUSED_PAD src0_sel:WORD_1
	v_cvt_f32_f16_e32 v32, v34
	v_pk_mul_f32 v[24:25], v[44:45], v[24:25]
	v_cvt_f32_f16_e32 v45, v47
	v_cvt_f32_f16_e32 v44, v46
	v_pk_mul_f32 v[26:27], v[48:49], v[26:27]
	v_cvt_f32_f16_e32 v49, v23
	v_cvt_f32_f16_e32 v48, v50
	v_cvt_f32_f16_sdwa v29, v29 dst_sel:DWORD dst_unused:UNUSED_PAD src0_sel:WORD_1
	v_cvt_f32_f16_sdwa v34, v34 dst_sel:DWORD dst_unused:UNUSED_PAD src0_sel:WORD_1
	;; [unrolled: 1-line block ×6, first 2 shown]
	v_pk_mul_f32 v[32:33], v[52:53], v[32:33]
	v_pk_mul_f32 v[44:45], v[58:59], v[44:45]
	;; [unrolled: 1-line block ×3, first 2 shown]
	v_pk_fma_f32 v[24:25], v[28:29], 0.5, v[24:25] op_sel_hi:[1,0,1]
	v_pk_fma_f32 v[26:27], v[30:31], 0.5, v[26:27] op_sel_hi:[1,0,1]
	;; [unrolled: 1-line block ×7, first 2 shown]
	v_pk_add_f32 v[8:9], v[8:9], v[24:25]
	v_pk_add_f32 v[10:11], v[10:11], v[26:27]
	;; [unrolled: 1-line block ×7, first 2 shown]
	s_andn2_b64 exec, exec, s[12:13]
	s_cbranch_execnz .LBB34_2
; %bb.3:
	s_or_b64 exec, exec, s[12:13]
	scratch_store_dwordx4 off, v[8:11], off
	scratch_store_dwordx4 off, v[4:7], off offset:16
	scratch_store_dwordx4 off, v[0:3], off offset:32
	scratch_store_dwordx2 off, v[18:19], off offset:48
.LBB34_4:
	s_or_b64 exec, exec, s[6:7]
	s_mov_b32 s5, 0
	v_cmp_eq_u32_e32 vcc, 0, v13
	s_waitcnt lgkmcnt(0)
	; wave barrier
	s_and_saveexec_b64 s[6:7], vcc
	s_cbranch_execz .LBB34_19
; %bb.5:
	scratch_load_dwordx2 v[2:3], off, off
	v_mbcnt_lo_u32_b32 v0, -1, 0
	v_mbcnt_hi_u32_b32 v13, -1, v0
	s_load_dwordx2 s[6:7], s[0:1], 0x38
	s_mul_i32 s0, s3, s14
	v_or_b32_e32 v1, s2, v12
	v_and_b32_e32 v0, 64, v13
	s_mul_i32 s4, s4, s18
	s_add_i32 s2, s0, s2
	v_cmp_gt_u32_e64 s[0:1], s10, v1
	v_xor_b32_e32 v1, 32, v13
	v_add_u32_e32 v14, 64, v0
	s_add_i32 s4, s2, s4
	v_cmp_lt_i32_e64 s[2:3], v1, v14
	v_cmp_gt_u32_e32 vcc, 2, v12
	s_nop 0
	v_cndmask_b32_e64 v0, v13, v1, s[2:3]
	v_lshlrev_b32_e32 v0, 2, v0
	v_xor_b32_e32 v1, 16, v13
	v_cmp_lt_i32_e64 s[2:3], v1, v14
	s_waitcnt vmcnt(0)
	ds_bpermute_b32 v4, v0, v2
	ds_bpermute_b32 v5, v0, v3
	v_cndmask_b32_e64 v1, v13, v1, s[2:3]
	v_lshlrev_b32_e32 v1, 2, v1
	s_waitcnt lgkmcnt(0)
	v_pk_add_f32 v[4:5], v[2:3], v[4:5]
	ds_bpermute_b32 v6, v1, v4
	ds_bpermute_b32 v7, v1, v5
	v_xor_b32_e32 v2, 8, v13
	v_cmp_lt_i32_e64 s[2:3], v2, v14
	v_xor_b32_e32 v3, 4, v13
	s_waitcnt lgkmcnt(0)
	v_pk_add_f32 v[4:5], v[4:5], v[6:7]
	v_cndmask_b32_e64 v2, v13, v2, s[2:3]
	v_lshlrev_b32_e32 v2, 2, v2
	ds_bpermute_b32 v6, v2, v4
	ds_bpermute_b32 v7, v2, v5
	v_cmp_lt_i32_e64 s[2:3], v3, v14
	s_waitcnt lgkmcnt(0)
	v_pk_add_f32 v[6:7], v[4:5], v[6:7]
	v_cndmask_b32_e64 v3, v13, v3, s[2:3]
	v_lshlrev_b32_e32 v3, 2, v3
	ds_bpermute_b32 v8, v3, v6
	ds_bpermute_b32 v9, v3, v7
	v_xor_b32_e32 v4, 2, v13
	v_cmp_lt_i32_e64 s[2:3], v4, v14
	v_xor_b32_e32 v5, 1, v13
	s_waitcnt lgkmcnt(0)
	v_pk_add_f32 v[8:9], v[6:7], v[8:9]
	v_cndmask_b32_e64 v4, v13, v4, s[2:3]
	v_lshlrev_b32_e32 v4, 2, v4
	ds_bpermute_b32 v10, v4, v8
	ds_bpermute_b32 v11, v4, v9
	v_cmp_lt_i32_e64 s[2:3], v5, v14
	s_waitcnt lgkmcnt(0)
	v_pk_add_f32 v[8:9], v[8:9], v[10:11]
	v_cndmask_b32_e64 v5, v13, v5, s[2:3]
	v_lshlrev_b32_e32 v6, 2, v5
	ds_bpermute_b32 v10, v6, v8
	ds_bpermute_b32 v11, v6, v9
	s_lshl_b64 s[2:3], s[4:5], 2
	s_add_u32 s2, s6, s2
	s_addc_u32 s3, s7, s3
	s_and_b64 s[0:1], vcc, s[0:1]
	s_waitcnt lgkmcnt(0)
	v_pk_add_f32 v[8:9], v[8:9], v[10:11]
	v_lshlrev_b32_e32 v5, 2, v12
	scratch_store_dwordx2 off, v[8:9], off
	s_and_saveexec_b64 s[4:5], s[0:1]
	s_cbranch_execz .LBB34_7
; %bb.6:
	scratch_load_dword v7, v5, off
	s_waitcnt vmcnt(0)
	global_store_dword v5, v7, s[2:3]
.LBB34_7:
	s_or_b64 exec, exec, s[4:5]
	scratch_load_dwordx2 v[8:9], off, off offset:8
	s_waitcnt vmcnt(0)
	ds_bpermute_b32 v10, v0, v8
	ds_bpermute_b32 v11, v0, v9
	s_waitcnt lgkmcnt(0)
	v_pk_add_f32 v[8:9], v[8:9], v[10:11]
	ds_bpermute_b32 v10, v1, v8
	ds_bpermute_b32 v11, v1, v9
	s_waitcnt lgkmcnt(0)
	v_pk_add_f32 v[8:9], v[8:9], v[10:11]
	;; [unrolled: 4-line block ×6, first 2 shown]
	scratch_store_dwordx2 off, v[8:9], off offset:8
	s_and_saveexec_b64 s[4:5], s[0:1]
	s_cbranch_execz .LBB34_9
; %bb.8:
	scratch_load_dword v7, v5, off offset:8
	v_add_u32_e32 v8, s10, v12
	v_mov_b32_e32 v9, 0
	v_lshl_add_u64 v[8:9], v[8:9], 2, s[2:3]
	s_waitcnt vmcnt(0)
	global_store_dword v[8:9], v7, off
.LBB34_9:
	s_or_b64 exec, exec, s[4:5]
	scratch_load_dwordx2 v[8:9], off, off offset:16
	s_waitcnt vmcnt(0)
	ds_bpermute_b32 v10, v0, v8
	ds_bpermute_b32 v11, v0, v9
	s_waitcnt lgkmcnt(0)
	v_pk_add_f32 v[8:9], v[8:9], v[10:11]
	ds_bpermute_b32 v10, v1, v8
	ds_bpermute_b32 v11, v1, v9
	s_waitcnt lgkmcnt(0)
	v_pk_add_f32 v[8:9], v[8:9], v[10:11]
	;; [unrolled: 4-line block ×6, first 2 shown]
	scratch_store_dwordx2 off, v[8:9], off offset:16
	s_and_saveexec_b64 s[4:5], s[0:1]
	s_cbranch_execz .LBB34_11
; %bb.10:
	scratch_load_dword v7, v5, off offset:16
	v_lshl_or_b32 v8, s10, 1, v12
	v_mov_b32_e32 v9, 0
	v_lshl_add_u64 v[8:9], v[8:9], 2, s[2:3]
	s_waitcnt vmcnt(0)
	global_store_dword v[8:9], v7, off
.LBB34_11:
	s_or_b64 exec, exec, s[4:5]
	scratch_load_dwordx2 v[8:9], off, off offset:24
	s_waitcnt vmcnt(0)
	ds_bpermute_b32 v10, v0, v8
	ds_bpermute_b32 v11, v0, v9
	s_waitcnt lgkmcnt(0)
	v_pk_add_f32 v[8:9], v[8:9], v[10:11]
	ds_bpermute_b32 v10, v1, v8
	ds_bpermute_b32 v11, v1, v9
	s_waitcnt lgkmcnt(0)
	v_pk_add_f32 v[8:9], v[8:9], v[10:11]
	;; [unrolled: 4-line block ×6, first 2 shown]
	scratch_store_dwordx2 off, v[8:9], off offset:24
	s_and_saveexec_b64 s[4:5], s[0:1]
	s_cbranch_execz .LBB34_13
; %bb.12:
	scratch_load_dword v7, v5, off offset:24
	v_mad_u64_u32 v[8:9], s[6:7], s10, 3, v[12:13]
	v_mov_b32_e32 v9, 0
	v_lshl_add_u64 v[8:9], v[8:9], 2, s[2:3]
	s_waitcnt vmcnt(0)
	global_store_dword v[8:9], v7, off
.LBB34_13:
	s_or_b64 exec, exec, s[4:5]
	scratch_load_dwordx2 v[8:9], off, off offset:32
	s_waitcnt vmcnt(0)
	ds_bpermute_b32 v10, v0, v8
	ds_bpermute_b32 v11, v0, v9
	s_waitcnt lgkmcnt(0)
	v_pk_add_f32 v[8:9], v[8:9], v[10:11]
	ds_bpermute_b32 v10, v1, v8
	ds_bpermute_b32 v11, v1, v9
	s_waitcnt lgkmcnt(0)
	v_pk_add_f32 v[8:9], v[8:9], v[10:11]
	;; [unrolled: 4-line block ×6, first 2 shown]
	scratch_store_dwordx2 off, v[8:9], off offset:32
	s_and_saveexec_b64 s[4:5], s[0:1]
	s_cbranch_execz .LBB34_15
; %bb.14:
	scratch_load_dword v7, v5, off offset:32
	v_lshl_or_b32 v8, s10, 2, v12
	v_mov_b32_e32 v9, 0
	v_lshl_add_u64 v[8:9], v[8:9], 2, s[2:3]
	s_waitcnt vmcnt(0)
	global_store_dword v[8:9], v7, off
.LBB34_15:
	s_or_b64 exec, exec, s[4:5]
	scratch_load_dwordx2 v[8:9], off, off offset:40
	s_waitcnt vmcnt(0)
	ds_bpermute_b32 v10, v0, v8
	ds_bpermute_b32 v11, v0, v9
	s_waitcnt lgkmcnt(0)
	v_pk_add_f32 v[8:9], v[8:9], v[10:11]
	ds_bpermute_b32 v10, v1, v8
	ds_bpermute_b32 v11, v1, v9
	s_waitcnt lgkmcnt(0)
	v_pk_add_f32 v[8:9], v[8:9], v[10:11]
	;; [unrolled: 4-line block ×6, first 2 shown]
	scratch_store_dwordx2 off, v[8:9], off offset:40
	s_and_saveexec_b64 s[4:5], s[0:1]
	s_cbranch_execz .LBB34_17
; %bb.16:
	scratch_load_dword v7, v5, off offset:40
	v_mad_u64_u32 v[8:9], s[6:7], s10, 5, v[12:13]
	v_mov_b32_e32 v9, 0
	v_lshl_add_u64 v[8:9], v[8:9], 2, s[2:3]
	s_waitcnt vmcnt(0)
	global_store_dword v[8:9], v7, off
.LBB34_17:
	s_or_b64 exec, exec, s[4:5]
	scratch_load_dwordx2 v[8:9], off, off offset:48
	s_waitcnt vmcnt(0)
	ds_bpermute_b32 v10, v0, v8
	ds_bpermute_b32 v11, v0, v9
	s_waitcnt lgkmcnt(0)
	v_pk_add_f32 v[8:9], v[8:9], v[10:11]
	ds_bpermute_b32 v0, v1, v8
	ds_bpermute_b32 v1, v1, v9
	s_waitcnt lgkmcnt(0)
	v_pk_add_f32 v[0:1], v[8:9], v[0:1]
	;; [unrolled: 4-line block ×6, first 2 shown]
	scratch_store_dwordx2 off, v[0:1], off offset:48
	s_and_b64 exec, exec, s[0:1]
	s_cbranch_execz .LBB34_19
; %bb.18:
	scratch_load_dword v2, v5, off offset:48
	s_mul_i32 s0, s10, 6
	v_or_b32_e32 v0, s0, v12
	v_mov_b32_e32 v1, 0
	v_lshl_add_u64 v[0:1], v[0:1], 2, s[2:3]
	s_waitcnt vmcnt(0)
	global_store_dword v[0:1], v2, off
.LBB34_19:
	s_endpgm
	.section	.rodata,"a",@progbits
	.p2align	6, 0x0
	.amdhsa_kernel _ZL13mul_mat_vec_qIL9ggml_type3ELi7ELb0ELb0EEvPKvS2_PKi31ggml_cuda_mm_fusion_args_devicePfj15HIP_vector_typeIjLj3EEjjjS8_jjjS8_jjjj
		.amdhsa_group_segment_fixed_size 0
		.amdhsa_private_segment_fixed_size 64
		.amdhsa_kernarg_size 144
		.amdhsa_user_sgpr_count 2
		.amdhsa_user_sgpr_dispatch_ptr 0
		.amdhsa_user_sgpr_queue_ptr 0
		.amdhsa_user_sgpr_kernarg_segment_ptr 1
		.amdhsa_user_sgpr_dispatch_id 0
		.amdhsa_user_sgpr_kernarg_preload_length 0
		.amdhsa_user_sgpr_kernarg_preload_offset 0
		.amdhsa_user_sgpr_private_segment_size 0
		.amdhsa_uses_dynamic_stack 0
		.amdhsa_enable_private_segment 1
		.amdhsa_system_sgpr_workgroup_id_x 1
		.amdhsa_system_sgpr_workgroup_id_y 1
		.amdhsa_system_sgpr_workgroup_id_z 1
		.amdhsa_system_sgpr_workgroup_info 0
		.amdhsa_system_vgpr_workitem_id 1
		.amdhsa_next_free_vgpr 75
		.amdhsa_next_free_sgpr 30
		.amdhsa_accum_offset 76
		.amdhsa_reserve_vcc 1
		.amdhsa_float_round_mode_32 0
		.amdhsa_float_round_mode_16_64 0
		.amdhsa_float_denorm_mode_32 3
		.amdhsa_float_denorm_mode_16_64 3
		.amdhsa_dx10_clamp 1
		.amdhsa_ieee_mode 1
		.amdhsa_fp16_overflow 0
		.amdhsa_tg_split 0
		.amdhsa_exception_fp_ieee_invalid_op 0
		.amdhsa_exception_fp_denorm_src 0
		.amdhsa_exception_fp_ieee_div_zero 0
		.amdhsa_exception_fp_ieee_overflow 0
		.amdhsa_exception_fp_ieee_underflow 0
		.amdhsa_exception_fp_ieee_inexact 0
		.amdhsa_exception_int_div_zero 0
	.end_amdhsa_kernel
	.section	.text._ZL13mul_mat_vec_qIL9ggml_type3ELi7ELb0ELb0EEvPKvS2_PKi31ggml_cuda_mm_fusion_args_devicePfj15HIP_vector_typeIjLj3EEjjjS8_jjjS8_jjjj,"axG",@progbits,_ZL13mul_mat_vec_qIL9ggml_type3ELi7ELb0ELb0EEvPKvS2_PKi31ggml_cuda_mm_fusion_args_devicePfj15HIP_vector_typeIjLj3EEjjjS8_jjjS8_jjjj,comdat
.Lfunc_end34:
	.size	_ZL13mul_mat_vec_qIL9ggml_type3ELi7ELb0ELb0EEvPKvS2_PKi31ggml_cuda_mm_fusion_args_devicePfj15HIP_vector_typeIjLj3EEjjjS8_jjjS8_jjjj, .Lfunc_end34-_ZL13mul_mat_vec_qIL9ggml_type3ELi7ELb0ELb0EEvPKvS2_PKi31ggml_cuda_mm_fusion_args_devicePfj15HIP_vector_typeIjLj3EEjjjS8_jjjS8_jjjj
                                        ; -- End function
	.section	.AMDGPU.csdata,"",@progbits
; Kernel info:
; codeLenInByte = 3676
; NumSgprs: 36
; NumVgprs: 75
; NumAgprs: 0
; TotalNumVgprs: 75
; ScratchSize: 64
; MemoryBound: 0
; FloatMode: 240
; IeeeMode: 1
; LDSByteSize: 0 bytes/workgroup (compile time only)
; SGPRBlocks: 4
; VGPRBlocks: 9
; NumSGPRsForWavesPerEU: 36
; NumVGPRsForWavesPerEU: 75
; AccumOffset: 76
; Occupancy: 6
; WaveLimiterHint : 0
; COMPUTE_PGM_RSRC2:SCRATCH_EN: 1
; COMPUTE_PGM_RSRC2:USER_SGPR: 2
; COMPUTE_PGM_RSRC2:TRAP_HANDLER: 0
; COMPUTE_PGM_RSRC2:TGID_X_EN: 1
; COMPUTE_PGM_RSRC2:TGID_Y_EN: 1
; COMPUTE_PGM_RSRC2:TGID_Z_EN: 1
; COMPUTE_PGM_RSRC2:TIDIG_COMP_CNT: 1
; COMPUTE_PGM_RSRC3_GFX90A:ACCUM_OFFSET: 18
; COMPUTE_PGM_RSRC3_GFX90A:TG_SPLIT: 0
	.section	.text._ZL13mul_mat_vec_qIL9ggml_type3ELi8ELb0ELb0EEvPKvS2_PKi31ggml_cuda_mm_fusion_args_devicePfj15HIP_vector_typeIjLj3EEjjjS8_jjjS8_jjjj,"axG",@progbits,_ZL13mul_mat_vec_qIL9ggml_type3ELi8ELb0ELb0EEvPKvS2_PKi31ggml_cuda_mm_fusion_args_devicePfj15HIP_vector_typeIjLj3EEjjjS8_jjjS8_jjjj,comdat
	.globl	_ZL13mul_mat_vec_qIL9ggml_type3ELi8ELb0ELb0EEvPKvS2_PKi31ggml_cuda_mm_fusion_args_devicePfj15HIP_vector_typeIjLj3EEjjjS8_jjjS8_jjjj ; -- Begin function _ZL13mul_mat_vec_qIL9ggml_type3ELi8ELb0ELb0EEvPKvS2_PKi31ggml_cuda_mm_fusion_args_devicePfj15HIP_vector_typeIjLj3EEjjjS8_jjjS8_jjjj
	.p2align	8
	.type	_ZL13mul_mat_vec_qIL9ggml_type3ELi8ELb0ELb0EEvPKvS2_PKi31ggml_cuda_mm_fusion_args_devicePfj15HIP_vector_typeIjLj3EEjjjS8_jjjS8_jjjj,@function
_ZL13mul_mat_vec_qIL9ggml_type3ELi8ELb0ELb0EEvPKvS2_PKi31ggml_cuda_mm_fusion_args_devicePfj15HIP_vector_typeIjLj3EEjjjS8_jjjS8_jjjj: ; @_ZL13mul_mat_vec_qIL9ggml_type3ELi8ELb0ELb0EEvPKvS2_PKi31ggml_cuda_mm_fusion_args_devicePfj15HIP_vector_typeIjLj3EEjjjS8_jjjS8_jjjj
; %bb.0:
	v_bfe_u32 v17, v0, 10, 10
	v_lshlrev_b32_e32 v1, 6, v17
	v_and_b32_e32 v16, 0x3ff, v0
	s_mov_b32 s20, 0
	s_load_dword s5, s[0:1], 0x40
	s_load_dwordx4 s[8:11], s[0:1], 0x50
	s_load_dword s25, s[0:1], 0x60
	s_load_dwordx4 s[12:15], s[0:1], 0x68
	;; [unrolled: 2-line block ×3, first 2 shown]
	s_mov_b32 s21, s20
	v_add_u16_e32 v0, v1, v16
	s_waitcnt lgkmcnt(0)
	s_lshr_b32 s5, s5, 5
	s_mov_b32 s22, s20
	s_mov_b32 s23, s20
	v_mov_b64_e32 v[2:3], s[20:21]
	v_lshrrev_b16_e32 v24, 1, v0
	s_lshl_b32 s2, s2, 1
	v_mov_b64_e32 v[4:5], s[22:23]
	v_cmp_gt_u32_e32 vcc, s5, v24
	scratch_store_dwordx4 off, v[2:5], off offset:48
	scratch_store_dwordx4 off, v[2:5], off offset:32
	;; [unrolled: 1-line block ×3, first 2 shown]
	scratch_store_dwordx4 off, v[2:5], off
	s_and_saveexec_b64 s[6:7], vcc
	s_cbranch_execz .LBB35_4
; %bb.1:
	s_load_dwordx4 s[20:23], s[0:1], 0x0
	s_mul_i32 s17, s4, s17
	s_mul_hi_u32 s19, s17, 36
	s_mul_i32 s17, s17, 36
	s_mul_i32 s13, s3, s13
	s_waitcnt lgkmcnt(0)
	s_add_u32 s17, s22, s17
	s_addc_u32 s19, s23, s19
	s_mul_hi_u32 s23, s13, 36
	s_mul_i32 s13, s13, 36
	s_add_u32 s22, s17, s13
	s_mul_hi_u32 s11, s11, s3
	s_addc_u32 s23, s19, s23
	s_add_i32 s11, s3, s11
	v_and_b32_e32 v2, 1, v16
	s_lshr_b32 s11, s11, s25
	v_lshlrev_b32_e32 v18, 3, v2
	v_and_b32_e32 v2, v1, v16
	v_xor_b32_e32 v1, v1, v16
	s_mul_i32 s17, s11, s12
	s_mul_hi_u32 s11, s15, s4
	v_lshrrev_b16_e32 v1, 1, v1
	s_add_i32 s11, s4, s11
	v_add_u16_e32 v1, v2, v1
	s_lshr_b32 s11, s11, s24
	v_mad_u64_u32 v[20:21], s[12:13], v1, 36, s[22:23]
	s_mul_i32 s16, s11, s16
	v_lshlrev_b32_e32 v0, 1, v16
	s_add_i32 s13, s2, 1
	v_and_b32_e32 v0, 2, v0
	v_mov_b32_e32 v19, 0
	s_mul_i32 s27, s2, s8
	s_add_i32 s12, s16, s17
	s_mul_i32 s8, s8, s13
	s_lshl_b32 s11, s9, 1
	s_mul_i32 s15, s9, 3
	s_lshl_b32 s19, s9, 2
	s_mul_i32 s24, s9, 5
	s_mul_i32 s25, s9, 6
	;; [unrolled: 1-line block ×3, first 2 shown]
	s_add_i32 s8, s12, s8
	s_add_i32 s27, s12, s27
	s_mov_b64 s[12:13], 0
	v_lshlrev_b32_e32 v22, 2, v0
	v_mov_b32_e32 v23, v19
	s_mov_b64 s[16:17], 0x480
	v_mov_b32_e32 v12, v19
	v_mov_b32_e32 v13, v19
	;; [unrolled: 1-line block ×16, first 2 shown]
.LBB35_2:                               ; =>This Inner Loop Header: Depth=1
	v_add_u32_e32 v25, s27, v24
	v_mad_i64_i32 v[28:29], s[28:29], v25, 20, s[20:21]
	v_lshl_add_u64 v[26:27], v[20:21], 0, v[18:19]
	v_lshl_add_u64 v[30:31], v[28:29], 0, v[22:23]
	global_load_dwordx2 v[34:35], v[26:27], off offset:4
	global_load_dwordx2 v[36:37], v[26:27], off offset:20
	global_load_dword v42, v[20:21], off
	global_load_dwordx2 v[32:33], v[30:31], off offset:4
	s_nop 0
	global_load_dword v26, v[28:29], off
	v_mov_b32_e32 v43, 0
	v_mov_b32_e32 v45, 0
	v_lshl_add_u64 v[20:21], v[20:21], 0, s[16:17]
	s_waitcnt vmcnt(1)
	v_lshrrev_b32_e32 v25, 4, v32
	v_and_b32_e32 v28, 0xf0f0f0f, v25
	v_lshrrev_b32_e32 v25, 4, v33
	v_and_b32_e32 v30, 0xf0f0f0f, v25
	v_add_u32_e32 v25, s8, v24
	v_and_b32_e32 v27, 0xf0f0f0f, v32
	v_and_b32_e32 v29, 0xf0f0f0f, v33
	v_mad_i64_i32 v[32:33], s[28:29], v25, 20, s[20:21]
	v_lshl_add_u64 v[38:39], v[32:33], 0, v[22:23]
	global_load_dwordx2 v[40:41], v[38:39], off offset:4
	global_load_dword v25, v[32:33], off
	v_dot4c_i32_i8_e32 v43, v27, v34
	v_dot4c_i32_i8_e32 v43, v28, v36
	;; [unrolled: 1-line block ×4, first 2 shown]
	s_waitcnt vmcnt(2)
	v_pk_mul_f16 v44, v26, v42
	s_waitcnt vmcnt(1)
	v_and_b32_e32 v32, 0xf0f0f0f, v40
	v_lshrrev_b32_e32 v31, 4, v40
	v_mov_b32_e32 v40, 0
	v_and_b32_e32 v31, 0xf0f0f0f, v31
	v_dot4c_i32_i8_e32 v40, v32, v34
	v_dot4c_i32_i8_e32 v40, v31, v36
	v_and_b32_e32 v33, 0xf0f0f0f, v41
	v_lshrrev_b32_e32 v34, 4, v41
	v_and_b32_e32 v34, 0xf0f0f0f, v34
	v_dot4c_i32_i8_e32 v40, v33, v35
	v_dot4c_i32_i8_e32 v40, v34, v37
	s_waitcnt vmcnt(0)
	v_pk_mul_f16 v35, v25, v42
	v_cvt_f32_f16_e32 v36, v44
	v_cvt_f32_f16_e32 v37, v35
	v_cvt_f32_i32_e32 v41, v40
	v_cvt_f32_i32_e32 v40, v43
	v_cvt_f32_f16_sdwa v39, v35 dst_sel:DWORD dst_unused:UNUSED_PAD src0_sel:WORD_1
	v_cvt_f32_f16_sdwa v38, v44 dst_sel:DWORD dst_unused:UNUSED_PAD src0_sel:WORD_1
	v_add_u32_e32 v35, s9, v24
	v_pk_mul_f32 v[36:37], v[40:41], v[36:37]
	v_mov_b32_e32 v44, 0
	v_pk_fma_f32 v[36:37], v[38:39], 0.5, v[36:37] op_sel_hi:[1,0,1]
	s_nop 0
	v_pk_add_f32 v[12:13], v[12:13], v[36:37]
	v_mad_u64_u32 v[36:37], s[28:29], v35, 36, s[22:23]
	v_lshl_add_u64 v[38:39], v[36:37], 0, v[22:23]
	global_load_dwordx2 v[40:41], v[38:39], off offset:4
	global_load_dwordx2 v[42:43], v[38:39], off offset:20
	global_load_dword v35, v[36:37], off
	s_waitcnt vmcnt(2)
	v_dot4c_i32_i8_e32 v44, v27, v40
	v_dot4c_i32_i8_e32 v45, v32, v40
	s_waitcnt vmcnt(1)
	v_dot4c_i32_i8_e32 v44, v28, v42
	v_dot4c_i32_i8_e32 v45, v31, v42
	v_dot4c_i32_i8_e32 v44, v29, v41
	v_dot4c_i32_i8_e32 v45, v33, v41
	v_dot4c_i32_i8_e32 v44, v30, v43
	s_waitcnt vmcnt(0)
	v_pk_mul_f16 v38, v26, v35
	v_dot4c_i32_i8_e32 v45, v34, v43
	v_pk_mul_f16 v35, v25, v35
	v_cvt_f32_f16_e32 v36, v38
	v_cvt_f32_f16_e32 v37, v35
	v_cvt_f32_i32_e32 v41, v45
	v_cvt_f32_i32_e32 v40, v44
	v_cvt_f32_f16_sdwa v39, v35 dst_sel:DWORD dst_unused:UNUSED_PAD src0_sel:WORD_1
	v_cvt_f32_f16_sdwa v38, v38 dst_sel:DWORD dst_unused:UNUSED_PAD src0_sel:WORD_1
	v_add_u32_e32 v35, s11, v24
	v_pk_mul_f32 v[36:37], v[40:41], v[36:37]
	v_mov_b32_e32 v44, 0
	v_pk_fma_f32 v[36:37], v[38:39], 0.5, v[36:37] op_sel_hi:[1,0,1]
	v_mov_b32_e32 v45, 0
	v_pk_add_f32 v[14:15], v[14:15], v[36:37]
	v_mad_u64_u32 v[36:37], s[28:29], v35, 36, s[22:23]
	v_lshl_add_u64 v[38:39], v[36:37], 0, v[22:23]
	global_load_dwordx2 v[40:41], v[38:39], off offset:4
	global_load_dwordx2 v[42:43], v[38:39], off offset:20
	global_load_dword v35, v[36:37], off
	s_waitcnt vmcnt(2)
	v_dot4c_i32_i8_e32 v44, v27, v40
	v_dot4c_i32_i8_e32 v45, v32, v40
	s_waitcnt vmcnt(1)
	v_dot4c_i32_i8_e32 v44, v28, v42
	v_dot4c_i32_i8_e32 v45, v31, v42
	v_dot4c_i32_i8_e32 v44, v29, v41
	v_dot4c_i32_i8_e32 v45, v33, v41
	v_dot4c_i32_i8_e32 v44, v30, v43
	s_waitcnt vmcnt(0)
	v_pk_mul_f16 v38, v26, v35
	v_dot4c_i32_i8_e32 v45, v34, v43
	v_pk_mul_f16 v35, v25, v35
	v_cvt_f32_f16_e32 v36, v38
	v_cvt_f32_f16_e32 v37, v35
	v_cvt_f32_i32_e32 v41, v45
	v_cvt_f32_i32_e32 v40, v44
	v_cvt_f32_f16_sdwa v39, v35 dst_sel:DWORD dst_unused:UNUSED_PAD src0_sel:WORD_1
	v_cvt_f32_f16_sdwa v38, v38 dst_sel:DWORD dst_unused:UNUSED_PAD src0_sel:WORD_1
	v_add_u32_e32 v35, s15, v24
	v_pk_mul_f32 v[36:37], v[40:41], v[36:37]
	v_mov_b32_e32 v44, 0
	v_pk_fma_f32 v[36:37], v[38:39], 0.5, v[36:37] op_sel_hi:[1,0,1]
	v_mov_b32_e32 v45, 0
	;; [unrolled: 30-line block ×5, first 2 shown]
	v_pk_add_f32 v[6:7], v[6:7], v[36:37]
	v_mad_u64_u32 v[36:37], s[28:29], v35, 36, s[22:23]
	v_lshl_add_u64 v[38:39], v[36:37], 0, v[22:23]
	global_load_dwordx2 v[40:41], v[38:39], off offset:4
	global_load_dwordx2 v[42:43], v[38:39], off offset:20
	global_load_dword v35, v[36:37], off
	s_waitcnt vmcnt(2)
	v_dot4c_i32_i8_e32 v44, v27, v40
	v_dot4c_i32_i8_e32 v45, v32, v40
	s_waitcnt vmcnt(1)
	v_dot4c_i32_i8_e32 v44, v28, v42
	v_dot4c_i32_i8_e32 v45, v31, v42
	;; [unrolled: 1-line block ×5, first 2 shown]
	s_waitcnt vmcnt(0)
	v_pk_mul_f16 v38, v26, v35
	v_dot4c_i32_i8_e32 v45, v34, v43
	v_pk_mul_f16 v35, v25, v35
	v_cvt_f32_f16_e32 v36, v38
	v_cvt_f32_f16_e32 v37, v35
	v_cvt_f32_i32_e32 v41, v45
	v_cvt_f32_i32_e32 v40, v44
	v_cvt_f32_f16_sdwa v39, v35 dst_sel:DWORD dst_unused:UNUSED_PAD src0_sel:WORD_1
	v_cvt_f32_f16_sdwa v38, v38 dst_sel:DWORD dst_unused:UNUSED_PAD src0_sel:WORD_1
	v_add_u32_e32 v35, s26, v24
	v_pk_mul_f32 v[36:37], v[40:41], v[36:37]
	v_add_u32_e32 v24, 32, v24
	v_pk_fma_f32 v[36:37], v[38:39], 0.5, v[36:37] op_sel_hi:[1,0,1]
	v_cmp_le_u32_e32 vcc, s5, v24
	v_pk_add_f32 v[0:1], v[0:1], v[36:37]
	v_mad_u64_u32 v[36:37], s[28:29], v35, 36, s[22:23]
	v_lshl_add_u64 v[38:39], v[36:37], 0, v[22:23]
	global_load_dwordx2 v[40:41], v[38:39], off offset:4
	global_load_dwordx2 v[42:43], v[38:39], off offset:20
	global_load_dword v35, v[36:37], off
	v_mov_b32_e32 v36, 0
	s_or_b64 s[12:13], vcc, s[12:13]
	s_waitcnt vmcnt(2)
	v_dot4c_i32_i8_e32 v36, v27, v40
	s_waitcnt vmcnt(1)
	v_dot4c_i32_i8_e32 v36, v28, v42
	v_dot4c_i32_i8_e32 v36, v29, v41
	;; [unrolled: 1-line block ×3, first 2 shown]
	v_mov_b32_e32 v30, 0
	v_dot4c_i32_i8_e32 v30, v32, v40
	v_dot4c_i32_i8_e32 v30, v31, v42
	;; [unrolled: 1-line block ×3, first 2 shown]
	s_waitcnt vmcnt(0)
	v_pk_mul_f16 v28, v26, v35
	v_dot4c_i32_i8_e32 v30, v34, v43
	v_pk_mul_f16 v25, v25, v35
	v_cvt_f32_f16_e32 v26, v28
	v_cvt_f32_f16_e32 v27, v25
	v_cvt_f32_i32_e32 v31, v30
	v_cvt_f32_i32_e32 v30, v36
	v_cvt_f32_f16_sdwa v29, v25 dst_sel:DWORD dst_unused:UNUSED_PAD src0_sel:WORD_1
	v_cvt_f32_f16_sdwa v28, v28 dst_sel:DWORD dst_unused:UNUSED_PAD src0_sel:WORD_1
	v_pk_mul_f32 v[26:27], v[30:31], v[26:27]
	s_nop 0
	v_pk_fma_f32 v[26:27], v[28:29], 0.5, v[26:27] op_sel_hi:[1,0,1]
	s_nop 0
	v_pk_add_f32 v[2:3], v[2:3], v[26:27]
	s_andn2_b64 exec, exec, s[12:13]
	s_cbranch_execnz .LBB35_2
; %bb.3:
	s_or_b64 exec, exec, s[12:13]
	scratch_store_dwordx4 off, v[12:15], off
	scratch_store_dwordx4 off, v[8:11], off offset:16
	scratch_store_dwordx4 off, v[4:7], off offset:32
	;; [unrolled: 1-line block ×3, first 2 shown]
.LBB35_4:
	s_or_b64 exec, exec, s[6:7]
	s_mov_b32 s5, 0
	v_cmp_eq_u32_e32 vcc, 0, v17
	s_waitcnt lgkmcnt(0)
	; wave barrier
	s_and_saveexec_b64 s[6:7], vcc
	s_cbranch_execz .LBB35_21
; %bb.5:
	scratch_load_dwordx2 v[2:3], off, off
	v_mbcnt_lo_u32_b32 v0, -1, 0
	v_mbcnt_hi_u32_b32 v12, -1, v0
	s_load_dwordx2 s[6:7], s[0:1], 0x38
	s_mul_i32 s0, s3, s14
	v_or_b32_e32 v1, s2, v16
	v_and_b32_e32 v0, 64, v12
	s_mul_i32 s4, s4, s18
	s_add_i32 s2, s0, s2
	v_cmp_gt_u32_e64 s[0:1], s10, v1
	v_xor_b32_e32 v1, 32, v12
	v_add_u32_e32 v13, 64, v0
	s_add_i32 s4, s2, s4
	v_cmp_lt_i32_e64 s[2:3], v1, v13
	v_cmp_gt_u32_e32 vcc, 2, v16
	s_nop 0
	v_cndmask_b32_e64 v0, v12, v1, s[2:3]
	v_lshlrev_b32_e32 v0, 2, v0
	v_xor_b32_e32 v1, 16, v12
	v_cmp_lt_i32_e64 s[2:3], v1, v13
	s_waitcnt vmcnt(0)
	ds_bpermute_b32 v4, v0, v2
	ds_bpermute_b32 v5, v0, v3
	v_cndmask_b32_e64 v1, v12, v1, s[2:3]
	v_lshlrev_b32_e32 v1, 2, v1
	s_waitcnt lgkmcnt(0)
	v_pk_add_f32 v[4:5], v[2:3], v[4:5]
	ds_bpermute_b32 v6, v1, v4
	ds_bpermute_b32 v7, v1, v5
	v_xor_b32_e32 v2, 8, v12
	v_cmp_lt_i32_e64 s[2:3], v2, v13
	v_xor_b32_e32 v3, 4, v12
	s_waitcnt lgkmcnt(0)
	v_pk_add_f32 v[4:5], v[4:5], v[6:7]
	v_cndmask_b32_e64 v2, v12, v2, s[2:3]
	v_lshlrev_b32_e32 v2, 2, v2
	ds_bpermute_b32 v6, v2, v4
	ds_bpermute_b32 v7, v2, v5
	v_cmp_lt_i32_e64 s[2:3], v3, v13
	s_waitcnt lgkmcnt(0)
	v_pk_add_f32 v[6:7], v[4:5], v[6:7]
	v_cndmask_b32_e64 v3, v12, v3, s[2:3]
	v_lshlrev_b32_e32 v3, 2, v3
	ds_bpermute_b32 v8, v3, v6
	ds_bpermute_b32 v9, v3, v7
	v_xor_b32_e32 v4, 2, v12
	v_cmp_lt_i32_e64 s[2:3], v4, v13
	v_xor_b32_e32 v5, 1, v12
	s_waitcnt lgkmcnt(0)
	v_pk_add_f32 v[8:9], v[6:7], v[8:9]
	v_cndmask_b32_e64 v4, v12, v4, s[2:3]
	v_lshlrev_b32_e32 v4, 2, v4
	ds_bpermute_b32 v10, v4, v8
	ds_bpermute_b32 v11, v4, v9
	v_cmp_lt_i32_e64 s[2:3], v5, v13
	s_waitcnt lgkmcnt(0)
	v_pk_add_f32 v[8:9], v[8:9], v[10:11]
	v_cndmask_b32_e64 v5, v12, v5, s[2:3]
	v_lshlrev_b32_e32 v6, 2, v5
	ds_bpermute_b32 v10, v6, v8
	ds_bpermute_b32 v11, v6, v9
	s_lshl_b64 s[2:3], s[4:5], 2
	s_add_u32 s2, s6, s2
	s_addc_u32 s3, s7, s3
	s_and_b64 s[0:1], vcc, s[0:1]
	s_waitcnt lgkmcnt(0)
	v_pk_add_f32 v[8:9], v[8:9], v[10:11]
	v_lshlrev_b32_e32 v5, 2, v16
	scratch_store_dwordx2 off, v[8:9], off
	s_and_saveexec_b64 s[4:5], s[0:1]
	s_cbranch_execz .LBB35_7
; %bb.6:
	scratch_load_dword v7, v5, off
	s_waitcnt vmcnt(0)
	global_store_dword v5, v7, s[2:3]
.LBB35_7:
	s_or_b64 exec, exec, s[4:5]
	scratch_load_dwordx2 v[8:9], off, off offset:8
	s_waitcnt vmcnt(0)
	ds_bpermute_b32 v10, v0, v8
	ds_bpermute_b32 v11, v0, v9
	s_waitcnt lgkmcnt(0)
	v_pk_add_f32 v[8:9], v[8:9], v[10:11]
	ds_bpermute_b32 v10, v1, v8
	ds_bpermute_b32 v11, v1, v9
	s_waitcnt lgkmcnt(0)
	v_pk_add_f32 v[8:9], v[8:9], v[10:11]
	;; [unrolled: 4-line block ×6, first 2 shown]
	scratch_store_dwordx2 off, v[8:9], off offset:8
	s_and_saveexec_b64 s[4:5], s[0:1]
	s_cbranch_execz .LBB35_9
; %bb.8:
	scratch_load_dword v7, v5, off offset:8
	v_add_u32_e32 v8, s10, v16
	v_mov_b32_e32 v9, 0
	v_lshl_add_u64 v[8:9], v[8:9], 2, s[2:3]
	s_waitcnt vmcnt(0)
	global_store_dword v[8:9], v7, off
.LBB35_9:
	s_or_b64 exec, exec, s[4:5]
	scratch_load_dwordx2 v[8:9], off, off offset:16
	s_waitcnt vmcnt(0)
	ds_bpermute_b32 v10, v0, v8
	ds_bpermute_b32 v11, v0, v9
	s_waitcnt lgkmcnt(0)
	v_pk_add_f32 v[8:9], v[8:9], v[10:11]
	ds_bpermute_b32 v10, v1, v8
	ds_bpermute_b32 v11, v1, v9
	s_waitcnt lgkmcnt(0)
	v_pk_add_f32 v[8:9], v[8:9], v[10:11]
	;; [unrolled: 4-line block ×6, first 2 shown]
	scratch_store_dwordx2 off, v[8:9], off offset:16
	s_and_saveexec_b64 s[4:5], s[0:1]
	s_cbranch_execz .LBB35_11
; %bb.10:
	scratch_load_dword v7, v5, off offset:16
	v_lshl_or_b32 v8, s10, 1, v16
	v_mov_b32_e32 v9, 0
	v_lshl_add_u64 v[8:9], v[8:9], 2, s[2:3]
	s_waitcnt vmcnt(0)
	global_store_dword v[8:9], v7, off
.LBB35_11:
	s_or_b64 exec, exec, s[4:5]
	scratch_load_dwordx2 v[8:9], off, off offset:24
	s_waitcnt vmcnt(0)
	ds_bpermute_b32 v10, v0, v8
	ds_bpermute_b32 v11, v0, v9
	s_waitcnt lgkmcnt(0)
	v_pk_add_f32 v[8:9], v[8:9], v[10:11]
	ds_bpermute_b32 v10, v1, v8
	ds_bpermute_b32 v11, v1, v9
	s_waitcnt lgkmcnt(0)
	v_pk_add_f32 v[8:9], v[8:9], v[10:11]
	;; [unrolled: 4-line block ×6, first 2 shown]
	scratch_store_dwordx2 off, v[8:9], off offset:24
	s_and_saveexec_b64 s[4:5], s[0:1]
	s_cbranch_execz .LBB35_13
; %bb.12:
	scratch_load_dword v7, v5, off offset:24
	v_mad_u64_u32 v[8:9], s[6:7], s10, 3, v[16:17]
	v_mov_b32_e32 v9, 0
	v_lshl_add_u64 v[8:9], v[8:9], 2, s[2:3]
	s_waitcnt vmcnt(0)
	global_store_dword v[8:9], v7, off
.LBB35_13:
	s_or_b64 exec, exec, s[4:5]
	scratch_load_dwordx2 v[8:9], off, off offset:32
	s_waitcnt vmcnt(0)
	ds_bpermute_b32 v10, v0, v8
	ds_bpermute_b32 v11, v0, v9
	s_waitcnt lgkmcnt(0)
	v_pk_add_f32 v[8:9], v[8:9], v[10:11]
	ds_bpermute_b32 v10, v1, v8
	ds_bpermute_b32 v11, v1, v9
	s_waitcnt lgkmcnt(0)
	v_pk_add_f32 v[8:9], v[8:9], v[10:11]
	;; [unrolled: 4-line block ×6, first 2 shown]
	scratch_store_dwordx2 off, v[8:9], off offset:32
	s_and_saveexec_b64 s[4:5], s[0:1]
	s_cbranch_execz .LBB35_15
; %bb.14:
	scratch_load_dword v7, v5, off offset:32
	v_lshl_or_b32 v8, s10, 2, v16
	v_mov_b32_e32 v9, 0
	v_lshl_add_u64 v[8:9], v[8:9], 2, s[2:3]
	s_waitcnt vmcnt(0)
	global_store_dword v[8:9], v7, off
.LBB35_15:
	s_or_b64 exec, exec, s[4:5]
	scratch_load_dwordx2 v[8:9], off, off offset:40
	s_waitcnt vmcnt(0)
	ds_bpermute_b32 v10, v0, v8
	ds_bpermute_b32 v11, v0, v9
	s_waitcnt lgkmcnt(0)
	v_pk_add_f32 v[8:9], v[8:9], v[10:11]
	ds_bpermute_b32 v10, v1, v8
	ds_bpermute_b32 v11, v1, v9
	s_waitcnt lgkmcnt(0)
	v_pk_add_f32 v[8:9], v[8:9], v[10:11]
	;; [unrolled: 4-line block ×6, first 2 shown]
	scratch_store_dwordx2 off, v[8:9], off offset:40
	s_and_saveexec_b64 s[4:5], s[0:1]
	s_cbranch_execz .LBB35_17
; %bb.16:
	scratch_load_dword v7, v5, off offset:40
	v_mad_u64_u32 v[8:9], s[6:7], s10, 5, v[16:17]
	v_mov_b32_e32 v9, 0
	v_lshl_add_u64 v[8:9], v[8:9], 2, s[2:3]
	s_waitcnt vmcnt(0)
	global_store_dword v[8:9], v7, off
.LBB35_17:
	s_or_b64 exec, exec, s[4:5]
	scratch_load_dwordx2 v[8:9], off, off offset:48
	s_waitcnt vmcnt(0)
	ds_bpermute_b32 v10, v0, v8
	ds_bpermute_b32 v11, v0, v9
	s_waitcnt lgkmcnt(0)
	v_pk_add_f32 v[8:9], v[8:9], v[10:11]
	ds_bpermute_b32 v10, v1, v8
	ds_bpermute_b32 v11, v1, v9
	s_waitcnt lgkmcnt(0)
	v_pk_add_f32 v[8:9], v[8:9], v[10:11]
	;; [unrolled: 4-line block ×6, first 2 shown]
	scratch_store_dwordx2 off, v[8:9], off offset:48
	s_and_saveexec_b64 s[4:5], s[0:1]
	s_cbranch_execz .LBB35_19
; %bb.18:
	scratch_load_dword v7, v5, off offset:48
	s_mul_i32 s6, s10, 6
	v_or_b32_e32 v8, s6, v16
	v_mov_b32_e32 v9, 0
	v_lshl_add_u64 v[8:9], v[8:9], 2, s[2:3]
	s_waitcnt vmcnt(0)
	global_store_dword v[8:9], v7, off
.LBB35_19:
	s_or_b64 exec, exec, s[4:5]
	scratch_load_dwordx2 v[8:9], off, off offset:56
	s_waitcnt vmcnt(0)
	ds_bpermute_b32 v10, v0, v8
	ds_bpermute_b32 v11, v0, v9
	s_waitcnt lgkmcnt(0)
	v_pk_add_f32 v[8:9], v[8:9], v[10:11]
	ds_bpermute_b32 v0, v1, v8
	ds_bpermute_b32 v1, v1, v9
	s_waitcnt lgkmcnt(0)
	v_pk_add_f32 v[0:1], v[8:9], v[0:1]
	;; [unrolled: 4-line block ×6, first 2 shown]
	scratch_store_dwordx2 off, v[0:1], off offset:56
	s_and_b64 exec, exec, s[0:1]
	s_cbranch_execz .LBB35_21
; %bb.20:
	scratch_load_dword v2, v5, off offset:56
	v_mad_u64_u32 v[0:1], s[0:1], s10, 7, v[16:17]
	v_mov_b32_e32 v1, 0
	v_lshl_add_u64 v[0:1], v[0:1], 2, s[2:3]
	s_waitcnt vmcnt(0)
	global_store_dword v[0:1], v2, off
.LBB35_21:
	s_endpgm
	.section	.rodata,"a",@progbits
	.p2align	6, 0x0
	.amdhsa_kernel _ZL13mul_mat_vec_qIL9ggml_type3ELi8ELb0ELb0EEvPKvS2_PKi31ggml_cuda_mm_fusion_args_devicePfj15HIP_vector_typeIjLj3EEjjjS8_jjjS8_jjjj
		.amdhsa_group_segment_fixed_size 0
		.amdhsa_private_segment_fixed_size 80
		.amdhsa_kernarg_size 144
		.amdhsa_user_sgpr_count 2
		.amdhsa_user_sgpr_dispatch_ptr 0
		.amdhsa_user_sgpr_queue_ptr 0
		.amdhsa_user_sgpr_kernarg_segment_ptr 1
		.amdhsa_user_sgpr_dispatch_id 0
		.amdhsa_user_sgpr_kernarg_preload_length 0
		.amdhsa_user_sgpr_kernarg_preload_offset 0
		.amdhsa_user_sgpr_private_segment_size 0
		.amdhsa_uses_dynamic_stack 0
		.amdhsa_enable_private_segment 1
		.amdhsa_system_sgpr_workgroup_id_x 1
		.amdhsa_system_sgpr_workgroup_id_y 1
		.amdhsa_system_sgpr_workgroup_id_z 1
		.amdhsa_system_sgpr_workgroup_info 0
		.amdhsa_system_vgpr_workitem_id 1
		.amdhsa_next_free_vgpr 46
		.amdhsa_next_free_sgpr 30
		.amdhsa_accum_offset 48
		.amdhsa_reserve_vcc 1
		.amdhsa_float_round_mode_32 0
		.amdhsa_float_round_mode_16_64 0
		.amdhsa_float_denorm_mode_32 3
		.amdhsa_float_denorm_mode_16_64 3
		.amdhsa_dx10_clamp 1
		.amdhsa_ieee_mode 1
		.amdhsa_fp16_overflow 0
		.amdhsa_tg_split 0
		.amdhsa_exception_fp_ieee_invalid_op 0
		.amdhsa_exception_fp_denorm_src 0
		.amdhsa_exception_fp_ieee_div_zero 0
		.amdhsa_exception_fp_ieee_overflow 0
		.amdhsa_exception_fp_ieee_underflow 0
		.amdhsa_exception_fp_ieee_inexact 0
		.amdhsa_exception_int_div_zero 0
	.end_amdhsa_kernel
	.section	.text._ZL13mul_mat_vec_qIL9ggml_type3ELi8ELb0ELb0EEvPKvS2_PKi31ggml_cuda_mm_fusion_args_devicePfj15HIP_vector_typeIjLj3EEjjjS8_jjjS8_jjjj,"axG",@progbits,_ZL13mul_mat_vec_qIL9ggml_type3ELi8ELb0ELb0EEvPKvS2_PKi31ggml_cuda_mm_fusion_args_devicePfj15HIP_vector_typeIjLj3EEjjjS8_jjjS8_jjjj,comdat
.Lfunc_end35:
	.size	_ZL13mul_mat_vec_qIL9ggml_type3ELi8ELb0ELb0EEvPKvS2_PKi31ggml_cuda_mm_fusion_args_devicePfj15HIP_vector_typeIjLj3EEjjjS8_jjjS8_jjjj, .Lfunc_end35-_ZL13mul_mat_vec_qIL9ggml_type3ELi8ELb0ELb0EEvPKvS2_PKi31ggml_cuda_mm_fusion_args_devicePfj15HIP_vector_typeIjLj3EEjjjS8_jjjS8_jjjj
                                        ; -- End function
	.section	.AMDGPU.csdata,"",@progbits
; Kernel info:
; codeLenInByte = 4136
; NumSgprs: 36
; NumVgprs: 46
; NumAgprs: 0
; TotalNumVgprs: 46
; ScratchSize: 80
; MemoryBound: 0
; FloatMode: 240
; IeeeMode: 1
; LDSByteSize: 0 bytes/workgroup (compile time only)
; SGPRBlocks: 4
; VGPRBlocks: 5
; NumSGPRsForWavesPerEU: 36
; NumVGPRsForWavesPerEU: 46
; AccumOffset: 48
; Occupancy: 8
; WaveLimiterHint : 0
; COMPUTE_PGM_RSRC2:SCRATCH_EN: 1
; COMPUTE_PGM_RSRC2:USER_SGPR: 2
; COMPUTE_PGM_RSRC2:TRAP_HANDLER: 0
; COMPUTE_PGM_RSRC2:TGID_X_EN: 1
; COMPUTE_PGM_RSRC2:TGID_Y_EN: 1
; COMPUTE_PGM_RSRC2:TGID_Z_EN: 1
; COMPUTE_PGM_RSRC2:TIDIG_COMP_CNT: 1
; COMPUTE_PGM_RSRC3_GFX90A:ACCUM_OFFSET: 11
; COMPUTE_PGM_RSRC3_GFX90A:TG_SPLIT: 0
	.section	.text._ZL17mul_mat_vec_q_moeIL9ggml_type6ELi2EEvPKvS2_PKiPfj15HIP_vector_typeIjLj3EEjjjjjjjjj,"axG",@progbits,_ZL17mul_mat_vec_q_moeIL9ggml_type6ELi2EEvPKvS2_PKiPfj15HIP_vector_typeIjLj3EEjjjjjjjjj,comdat
	.globl	_ZL17mul_mat_vec_q_moeIL9ggml_type6ELi2EEvPKvS2_PKiPfj15HIP_vector_typeIjLj3EEjjjjjjjjj ; -- Begin function _ZL17mul_mat_vec_q_moeIL9ggml_type6ELi2EEvPKvS2_PKiPfj15HIP_vector_typeIjLj3EEjjjjjjjjj
	.p2align	8
	.type	_ZL17mul_mat_vec_q_moeIL9ggml_type6ELi2EEvPKvS2_PKiPfj15HIP_vector_typeIjLj3EEjjjjjjjjj,@function
_ZL17mul_mat_vec_q_moeIL9ggml_type6ELi2EEvPKvS2_PKiPfj15HIP_vector_typeIjLj3EEjjjjjjjjj: ; @_ZL17mul_mat_vec_q_moeIL9ggml_type6ELi2EEvPKvS2_PKiPfj15HIP_vector_typeIjLj3EEjjjjjjjjj
; %bb.0:
	s_load_dwordx8 s[4:11], s[0:1], 0x30
	v_bfe_u32 v10, v0, 10, 10
	s_waitcnt lgkmcnt(0)
	v_cmp_gt_u32_e32 vcc, s11, v10
	s_and_saveexec_b64 s[12:13], vcc
	s_cbranch_execz .LBB36_7
; %bb.1:
	s_load_dword s11, s[0:1], 0x20
	s_load_dword s20, s[0:1], 0x50
	s_load_dwordx8 s[12:19], s[0:1], 0x0
	v_and_b32_e32 v11, 0x3ff, v0
	v_lshrrev_b32_e32 v12, 1, v11
	s_waitcnt lgkmcnt(0)
	s_lshr_b32 s11, s11, 5
	s_lshl_b32 s2, s2, 1
	v_cmp_gt_u32_e32 vcc, s11, v12
	v_mov_b32_e32 v3, 0
	v_mov_b32_e32 v2, 0
	s_and_saveexec_b64 s[24:25], vcc
	s_cbranch_execz .LBB36_5
; %bb.2:
	v_mul_lo_u32 v0, v10, s20
	v_mov_b32_e32 v2, s16
	v_mov_b32_e32 v3, s17
	v_add_u32_e32 v0, s3, v0
	v_mov_b32_e32 v1, 0
	v_lshl_add_u64 v[2:3], v[0:1], 2, v[2:3]
	global_load_dword v3, v[2:3], off
	s_load_dwordx4 s[20:23], s[0:1], 0x24
	v_mul_lo_u32 v0, v10, s6
	v_lshlrev_b32_e32 v2, 1, v11
	v_lshrrev_b32_e32 v14, 1, v11
	v_and_b32_e32 v13, 2, v2
	s_waitcnt lgkmcnt(0)
	s_mul_hi_u32 s20, s20, s3
	s_add_i32 s20, s3, s20
	s_lshr_b32 s20, s20, s21
	s_mul_i32 s20, s20, s22
	s_sub_i32 s20, s3, s20
	s_mul_i32 s9, s20, s9
	s_mul_hi_u32 s20, s9, 36
	s_mul_i32 s9, s9, 36
	s_add_u32 s14, s14, s9
	v_mad_u64_u32 v[8:9], s[26:27], v0, 36, 0
	s_addc_u32 s15, s15, s20
	s_add_i32 s9, s2, 1
	s_mul_i32 s23, s2, s5
	v_and_b32_e32 v6, 1, v11
	v_lshlrev_b32_e32 v4, 1, v13
	v_lshlrev_b32_e32 v13, 2, v13
	v_mad_u64_u32 v[8:9], s[26:27], v14, 36, v[8:9]
	s_mul_i32 s5, s5, s9
	s_mov_b64 s[0:1], 0
	s_mov_b32 s6, 0x1000706
	v_mov_b32_e32 v5, 0x41000000
	s_mov_b64 s[16:17], 0x480
	v_mov_b32_e32 v7, v1
	v_mov_b32_e32 v2, v1
	v_lshlrev_b32_e32 v0, 3, v6
	v_or_b32_e32 v14, 4, v13
	v_lshlrev_b32_e32 v6, 1, v4
	v_lshl_add_u64 v[8:9], s[14:15], 0, v[8:9]
	s_waitcnt vmcnt(0)
	v_mul_lo_u32 v3, v3, s8
	v_add_u32_e32 v15, s5, v3
	v_add_u32_e32 v16, s23, v3
	v_mov_b32_e32 v3, v1
.LBB36_3:                               ; =>This Inner Loop Header: Depth=1
	v_lshl_add_u64 v[18:19], v[8:9], 0, v[0:1]
	v_add_u32_e32 v4, v16, v12
	global_load_dword v17, v[8:9], off
	global_load_dwordx2 v[20:21], v[18:19], off offset:4
	global_load_dwordx2 v[22:23], v[18:19], off offset:20
	v_mad_i64_i32 v[18:19], s[8:9], v4, 22, s[12:13]
	global_load_dword v30, v[18:19], off
	global_load_ushort v4, v[18:19], off offset:4
	v_add_u32_e32 v24, v15, v12
	v_mad_i64_i32 v[24:25], s[8:9], v24, 22, s[12:13]
	v_lshl_add_u64 v[26:27], v[18:19], 0, v[6:7]
	v_lshl_add_u64 v[18:19], v[24:25], 0, v[6:7]
	global_load_dword v31, v[26:27], off offset:6
	global_load_dword v32, v[26:27], off offset:10
	global_load_dword v33, v[24:25], off
	global_load_ushort v34, v[24:25], off offset:4
	global_load_dword v35, v[18:19], off offset:6
	global_load_dword v36, v[18:19], off offset:10
	v_mov_b32_e32 v28, 0
	v_mov_b32_e32 v29, 0
	v_add_u32_e32 v12, 32, v12
	v_cmp_le_u32_e32 vcc, s11, v12
	v_lshl_add_u64 v[8:9], v[8:9], 0, s[16:17]
	s_or_b64 s[0:1], vcc, s[0:1]
	s_waitcnt vmcnt(10)
	v_cvt_f32_f16_sdwa v19, v17 dst_sel:DWORD dst_unused:UNUSED_PAD src0_sel:WORD_1
	v_cvt_f32_f16_e32 v18, v17
	s_waitcnt vmcnt(6)
	v_perm_b32 v4, v30, v4, s6
	v_ashrrev_i32_e32 v24, v13, v4
	v_ashrrev_i32_e32 v4, v14, v4
	s_waitcnt vmcnt(5)
	v_and_b32_e32 v25, 0xf0f0f0f, v31
	v_lshrrev_b32_e32 v26, 4, v31
	s_waitcnt vmcnt(4)
	v_and_b32_e32 v27, 0xf0f0f0f, v32
	v_lshrrev_b32_e32 v31, 4, v32
	s_waitcnt vmcnt(2)
	v_perm_b32 v32, v33, v34, s6
	v_lshlrev_b32_e32 v38, 4, v24
	v_lshlrev_b32_e32 v39, 11, v24
	v_lshrrev_b32_e32 v42, 12, v24
	v_lshrrev_b32_e32 v43, 5, v24
	v_lshlrev_b32_e32 v44, 2, v24
	v_lshlrev_b32_e32 v45, 4, v4
	v_lshlrev_b32_e32 v46, 11, v4
	v_lshlrev_b32_e32 v47, 18, v4
	v_lshrrev_b32_e32 v49, 12, v4
	v_lshrrev_b32_e32 v50, 5, v4
	v_lshlrev_b32_e32 v51, 2, v4
	v_ashrrev_i32_e32 v52, v13, v32
	v_lshlrev_b32_e32 v40, 18, v24
	v_lshlrev_b32_e32 v41, 25, v24
	;; [unrolled: 1-line block ×4, first 2 shown]
	v_and_b32_e32 v38, 16, v38
	v_and_b32_e32 v39, 0x1000, v39
	;; [unrolled: 1-line block ×11, first 2 shown]
	v_lshlrev_b32_e32 v53, 4, v52
	v_lshlrev_b32_e32 v54, 11, v52
	s_waitcnt vmcnt(1)
	v_and_b32_e32 v34, 0xf0f0f0f, v35
	v_and_b32_e32 v26, 0xf0f0f0f, v26
	v_lshlrev_b32_e32 v4, 9, v4
	v_ashrrev_i32_e32 v32, v14, v32
	v_and_b32_e32 v40, 0x100000, v40
	v_and_b32_e32 v41, 0x10000000, v41
	;; [unrolled: 1-line block ×4, first 2 shown]
	v_lshlrev_b32_e32 v55, 18, v52
	v_lshlrev_b32_e32 v56, 25, v52
	v_lshrrev_b32_e32 v57, 12, v52
	v_lshrrev_b32_e32 v58, 5, v52
	v_lshlrev_b32_e32 v59, 2, v52
	v_or3_b32 v25, v38, v25, v39
	v_or3_b32 v42, v43, v42, v44
	;; [unrolled: 1-line block ×4, first 2 shown]
	v_and_b32_e32 v50, 16, v53
	v_and_b32_e32 v51, 0x1000, v54
	v_lshrrev_b32_e32 v35, 4, v35
	v_and_b32_e32 v31, 0xf0f0f0f, v31
	v_and_b32_e32 v4, 0x10000000, v4
	v_lshlrev_b32_e32 v52, 9, v52
	v_lshlrev_b32_e32 v60, 4, v32
	;; [unrolled: 1-line block ×4, first 2 shown]
	v_and_b32_e32 v53, 0x100000, v55
	v_and_b32_e32 v54, 0x10000000, v56
	;; [unrolled: 1-line block ×5, first 2 shown]
	v_or3_b32 v25, v25, v40, v41
	v_or3_b32 v24, v42, v24, v26
	;; [unrolled: 1-line block ×4, first 2 shown]
	v_and_b32_e32 v35, 0xf0f0f0f, v35
	v_lshlrev_b32_e32 v43, 25, v32
	v_lshrrev_b32_e32 v44, 12, v32
	v_lshrrev_b32_e32 v46, 5, v32
	v_lshlrev_b32_e32 v47, 2, v32
	v_and_b32_e32 v52, 0x10000000, v52
	v_and_b32_e32 v58, 16, v60
	;; [unrolled: 1-line block ×4, first 2 shown]
	v_or3_b32 v4, v49, v4, v31
	v_or3_b32 v31, v56, v55, v57
	v_dot4c_i32_i8_e32 v28, v25, v20
	v_or3_b32 v25, v27, v53, v54
	s_waitcnt vmcnt(0)
	v_and_b32_e32 v37, 0xf0f0f0f, v36
	v_lshrrev_b32_e32 v36, 4, v36
	v_lshlrev_b32_e32 v32, 9, v32
	v_and_b32_e32 v43, 0x10000000, v43
	v_and_b32_e32 v44, 16, v44
	;; [unrolled: 1-line block ×4, first 2 shown]
	v_or3_b32 v34, v38, v58, v39
	v_or3_b32 v27, v31, v52, v35
	v_dot4c_i32_i8_e32 v29, v25, v20
	v_and_b32_e32 v36, 0xf0f0f0f, v36
	v_and_b32_e32 v32, 0x10000000, v32
	v_or3_b32 v38, v46, v44, v47
	v_or3_b32 v31, v34, v43, v37
	v_dot4c_i32_i8_e32 v29, v27, v22
	v_or3_b32 v32, v38, v32, v36
	v_dot4c_i32_i8_e32 v28, v24, v22
	v_dot4c_i32_i8_e32 v29, v31, v21
	;; [unrolled: 1-line block ×5, first 2 shown]
	s_nop 1
	v_cvt_f32_i32_e32 v4, v29
	v_cvt_f32_i32_e32 v20, v28
	v_pk_mul_f32 v[18:19], v[4:5], v[18:19]
	s_nop 0
	v_fma_mix_f32 v4, v17, v20, -v19 op_sel_hi:[1,0,0]
	v_sub_f32_e32 v17, v18, v19
	v_fma_mix_f32 v2, v4, v30, v2 op_sel_hi:[0,1,0]
	v_fma_mix_f32 v3, v17, v33, v3 op_sel_hi:[0,1,0]
	s_andn2_b64 exec, exec, s[0:1]
	s_cbranch_execnz .LBB36_3
; %bb.4:
	s_or_b64 exec, exec, s[0:1]
.LBB36_5:
	s_or_b64 exec, exec, s[24:25]
	v_mbcnt_lo_u32_b32 v0, -1, 0
	v_mbcnt_hi_u32_b32 v4, -1, v0
	v_and_b32_e32 v0, 64, v4
	v_add_u32_e32 v5, 64, v0
	v_xor_b32_e32 v0, 32, v4
	v_cmp_lt_i32_e32 vcc, v0, v5
	v_xor_b32_e32 v6, 16, v4
	s_nop 0
	v_cndmask_b32_e32 v0, v4, v0, vcc
	v_lshlrev_b32_e32 v1, 2, v0
	ds_bpermute_b32 v0, v1, v2
	ds_bpermute_b32 v1, v1, v3
	v_cmp_lt_i32_e32 vcc, v6, v5
	s_waitcnt lgkmcnt(0)
	v_pk_add_f32 v[0:1], v[2:3], v[0:1]
	v_cndmask_b32_e32 v6, v4, v6, vcc
	v_lshlrev_b32_e32 v6, 2, v6
	ds_bpermute_b32 v2, v6, v0
	ds_bpermute_b32 v3, v6, v1
	v_xor_b32_e32 v6, 8, v4
	v_cmp_lt_i32_e32 vcc, v6, v5
	s_waitcnt lgkmcnt(0)
	v_pk_add_f32 v[0:1], v[0:1], v[2:3]
	v_cndmask_b32_e32 v6, v4, v6, vcc
	v_lshlrev_b32_e32 v6, 2, v6
	ds_bpermute_b32 v2, v6, v0
	ds_bpermute_b32 v3, v6, v1
	v_xor_b32_e32 v6, 4, v4
	;; [unrolled: 8-line block ×4, first 2 shown]
	v_cmp_lt_i32_e32 vcc, v6, v5
	s_waitcnt lgkmcnt(0)
	v_pk_add_f32 v[0:1], v[0:1], v[2:3]
	v_cndmask_b32_e32 v4, v4, v6, vcc
	v_lshlrev_b32_e32 v4, 2, v4
	ds_bpermute_b32 v2, v4, v0
	ds_bpermute_b32 v3, v4, v1
	v_add_u32_e32 v4, s2, v11
	v_cmp_gt_u32_e32 vcc, 2, v11
	v_cmp_gt_u32_e64 s[0:1], s4, v4
	s_and_b64 s[0:1], vcc, s[0:1]
	s_and_b64 exec, exec, s[0:1]
	s_cbranch_execz .LBB36_7
; %bb.6:
	v_cmp_eq_u32_e32 vcc, 1, v11
	s_mul_i32 s3, s3, s10
	v_mov_b32_e32 v4, s18
	s_waitcnt lgkmcnt(0)
	v_cndmask_b32_e32 v2, v2, v3, vcc
	v_cndmask_b32_e32 v0, v0, v1, vcc
	v_add_f32_e32 v2, v0, v2
	v_mul_lo_u32 v0, v10, s7
	v_or_b32_e32 v1, s2, v11
	v_mov_b32_e32 v5, s19
	v_add3_u32 v0, v1, v0, s3
	v_mov_b32_e32 v1, 0
	v_lshl_add_u64 v[0:1], v[0:1], 2, v[4:5]
	global_store_dword v[0:1], v2, off
.LBB36_7:
	s_endpgm
	.section	.rodata,"a",@progbits
	.p2align	6, 0x0
	.amdhsa_kernel _ZL17mul_mat_vec_q_moeIL9ggml_type6ELi2EEvPKvS2_PKiPfj15HIP_vector_typeIjLj3EEjjjjjjjjj
		.amdhsa_group_segment_fixed_size 0
		.amdhsa_private_segment_fixed_size 0
		.amdhsa_kernarg_size 84
		.amdhsa_user_sgpr_count 2
		.amdhsa_user_sgpr_dispatch_ptr 0
		.amdhsa_user_sgpr_queue_ptr 0
		.amdhsa_user_sgpr_kernarg_segment_ptr 1
		.amdhsa_user_sgpr_dispatch_id 0
		.amdhsa_user_sgpr_kernarg_preload_length 0
		.amdhsa_user_sgpr_kernarg_preload_offset 0
		.amdhsa_user_sgpr_private_segment_size 0
		.amdhsa_uses_dynamic_stack 0
		.amdhsa_enable_private_segment 0
		.amdhsa_system_sgpr_workgroup_id_x 1
		.amdhsa_system_sgpr_workgroup_id_y 1
		.amdhsa_system_sgpr_workgroup_id_z 0
		.amdhsa_system_sgpr_workgroup_info 0
		.amdhsa_system_vgpr_workitem_id 1
		.amdhsa_next_free_vgpr 61
		.amdhsa_next_free_sgpr 28
		.amdhsa_accum_offset 64
		.amdhsa_reserve_vcc 1
		.amdhsa_float_round_mode_32 0
		.amdhsa_float_round_mode_16_64 0
		.amdhsa_float_denorm_mode_32 3
		.amdhsa_float_denorm_mode_16_64 3
		.amdhsa_dx10_clamp 1
		.amdhsa_ieee_mode 1
		.amdhsa_fp16_overflow 0
		.amdhsa_tg_split 0
		.amdhsa_exception_fp_ieee_invalid_op 0
		.amdhsa_exception_fp_denorm_src 0
		.amdhsa_exception_fp_ieee_div_zero 0
		.amdhsa_exception_fp_ieee_overflow 0
		.amdhsa_exception_fp_ieee_underflow 0
		.amdhsa_exception_fp_ieee_inexact 0
		.amdhsa_exception_int_div_zero 0
	.end_amdhsa_kernel
	.section	.text._ZL17mul_mat_vec_q_moeIL9ggml_type6ELi2EEvPKvS2_PKiPfj15HIP_vector_typeIjLj3EEjjjjjjjjj,"axG",@progbits,_ZL17mul_mat_vec_q_moeIL9ggml_type6ELi2EEvPKvS2_PKiPfj15HIP_vector_typeIjLj3EEjjjjjjjjj,comdat
.Lfunc_end36:
	.size	_ZL17mul_mat_vec_q_moeIL9ggml_type6ELi2EEvPKvS2_PKiPfj15HIP_vector_typeIjLj3EEjjjjjjjjj, .Lfunc_end36-_ZL17mul_mat_vec_q_moeIL9ggml_type6ELi2EEvPKvS2_PKiPfj15HIP_vector_typeIjLj3EEjjjjjjjjj
                                        ; -- End function
	.section	.AMDGPU.csdata,"",@progbits
; Kernel info:
; codeLenInByte = 1612
; NumSgprs: 34
; NumVgprs: 61
; NumAgprs: 0
; TotalNumVgprs: 61
; ScratchSize: 0
; MemoryBound: 0
; FloatMode: 240
; IeeeMode: 1
; LDSByteSize: 0 bytes/workgroup (compile time only)
; SGPRBlocks: 4
; VGPRBlocks: 7
; NumSGPRsForWavesPerEU: 34
; NumVGPRsForWavesPerEU: 61
; AccumOffset: 64
; Occupancy: 8
; WaveLimiterHint : 1
; COMPUTE_PGM_RSRC2:SCRATCH_EN: 0
; COMPUTE_PGM_RSRC2:USER_SGPR: 2
; COMPUTE_PGM_RSRC2:TRAP_HANDLER: 0
; COMPUTE_PGM_RSRC2:TGID_X_EN: 1
; COMPUTE_PGM_RSRC2:TGID_Y_EN: 1
; COMPUTE_PGM_RSRC2:TGID_Z_EN: 0
; COMPUTE_PGM_RSRC2:TIDIG_COMP_CNT: 1
; COMPUTE_PGM_RSRC3_GFX90A:ACCUM_OFFSET: 15
; COMPUTE_PGM_RSRC3_GFX90A:TG_SPLIT: 0
	.section	.text._ZL13mul_mat_vec_qIL9ggml_type6ELi1ELb1ELb1EEvPKvS2_PKi31ggml_cuda_mm_fusion_args_devicePfj15HIP_vector_typeIjLj3EEjjjS8_jjjS8_jjjj,"axG",@progbits,_ZL13mul_mat_vec_qIL9ggml_type6ELi1ELb1ELb1EEvPKvS2_PKi31ggml_cuda_mm_fusion_args_devicePfj15HIP_vector_typeIjLj3EEjjjS8_jjjS8_jjjj,comdat
	.globl	_ZL13mul_mat_vec_qIL9ggml_type6ELi1ELb1ELb1EEvPKvS2_PKi31ggml_cuda_mm_fusion_args_devicePfj15HIP_vector_typeIjLj3EEjjjS8_jjjS8_jjjj ; -- Begin function _ZL13mul_mat_vec_qIL9ggml_type6ELi1ELb1ELb1EEvPKvS2_PKi31ggml_cuda_mm_fusion_args_devicePfj15HIP_vector_typeIjLj3EEjjjS8_jjjS8_jjjj
	.p2align	8
	.type	_ZL13mul_mat_vec_qIL9ggml_type6ELi1ELb1ELb1EEvPKvS2_PKi31ggml_cuda_mm_fusion_args_devicePfj15HIP_vector_typeIjLj3EEjjjS8_jjjS8_jjjj,@function
_ZL13mul_mat_vec_qIL9ggml_type6ELi1ELb1ELb1EEvPKvS2_PKi31ggml_cuda_mm_fusion_args_devicePfj15HIP_vector_typeIjLj3EEjjjS8_jjjS8_jjjj: ; @_ZL13mul_mat_vec_qIL9ggml_type6ELi1ELb1ELb1EEvPKvS2_PKi31ggml_cuda_mm_fusion_args_devicePfj15HIP_vector_typeIjLj3EEjjjS8_jjjS8_jjjj
; %bb.0:
	s_load_dwordx8 s[16:23], s[2:3], 0x0
	s_load_dwordx4 s[36:39], s[2:3], 0x20
	s_load_dwordx4 s[40:43], s[2:3], 0x40
	;; [unrolled: 1-line block ×3, first 2 shown]
	s_mov_b32 s14, s5
	s_waitcnt lgkmcnt(0)
	s_cmp_lg_u64 s[20:21], 0
	s_cselect_b64 s[8:9], -1, 0
	s_cmp_eq_u64 s[20:21], 0
	s_mov_b64 s[10:11], 0
	s_cbranch_scc1 .LBB37_5
; %bb.1:
	s_mov_b32 s15, 0
	s_lshl_b64 s[12:13], s[14:15], 2
	s_add_u32 s12, s20, s12
	s_addc_u32 s13, s21, s13
	s_load_dword s44, s[12:13], 0x0
	s_load_dword s33, s[2:3], 0x50
	s_load_dword s45, s[2:3], 0x78
	s_andn2_b64 vcc, exec, s[10:11]
	s_cbranch_vccnz .LBB37_3
.LBB37_2:
	s_load_dwordx2 s[10:11], s[2:3], 0x5c
	s_waitcnt lgkmcnt(0)
	s_mul_hi_u32 s5, s10, s14
	s_add_i32 s5, s14, s5
	s_lshr_b32 s44, s5, s11
.LBB37_3:
	s_andn2_b64 vcc, exec, s[8:9]
	s_cbranch_vccnz .LBB37_6
; %bb.4:
	s_mul_hi_u32 s5, s41, s14
	s_add_i32 s5, s14, s5
	s_lshr_b32 s5, s5, s42
	s_mul_i32 s5, s5, s43
	s_sub_i32 s41, s14, s5
	s_waitcnt lgkmcnt(0)
	s_mov_b32 s15, s44
	s_branch .LBB37_7
.LBB37_5:
                                        ; implicit-def: $sgpr44
	s_load_dword s33, s[2:3], 0x50
	s_load_dword s45, s[2:3], 0x78
	s_branch .LBB37_2
.LBB37_6:
	s_mov_b32 s15, s14
	s_mov_b32 s41, s14
.LBB37_7:
	s_load_dword s7, s[2:3], 0x58
	s_load_dwordx4 s[28:31], s[2:3], 0x80
	s_lshl_b32 s20, s4, 1
	s_cmp_eq_u64 s[22:23], 0
	v_and_b32_e32 v18, 0x3ff, v0
	v_bfe_u32 v23, v0, 10, 10
	s_cselect_b64 s[8:9], -1, 0
	s_and_b64 vcc, exec, s[8:9]
	v_mov_b32_e32 v19, 0
	v_cmp_gt_u32_e64 s[4:5], 2, v18
	v_cmp_eq_u32_e64 s[10:11], 0, v23
	v_or_b32_e32 v1, s20, v18
	v_mov_b32_e32 v20, 0
	s_cbranch_vccnz .LBB37_11
; %bb.8:
	s_waitcnt lgkmcnt(0)
	v_cmp_gt_u32_e32 vcc, s7, v1
	s_and_b64 s[4:5], s[4:5], vcc
	s_mov_b32 s13, 0
	s_and_b64 s[10:11], s[4:5], s[10:11]
	v_mov_b32_e32 v20, 0
	s_and_saveexec_b64 s[4:5], s[10:11]
	s_cbranch_execz .LBB37_10
; %bb.9:
	s_mul_i32 s12, s6, s30
	s_lshl_b64 s[10:11], s[12:13], 2
	s_add_u32 s21, s22, s10
	s_mul_i32 s12, s15, s26
	s_addc_u32 s22, s23, s11
	s_lshl_b64 s[10:11], s[12:13], 2
	s_add_u32 s12, s21, s10
	s_addc_u32 s13, s22, s11
	s_ashr_i32 s21, s20, 31
	s_lshl_b64 s[10:11], s[20:21], 2
	s_add_u32 s10, s12, s10
	s_addc_u32 s11, s13, s11
	v_lshlrev_b32_e32 v2, 2, v18
	global_load_dword v20, v2, s[10:11]
.LBB37_10:
	s_or_b64 exec, exec, s[4:5]
.LBB37_11:
	s_cmp_lg_u64 s[36:37], 0
	s_cselect_b64 s[22:23], -1, 0
	s_cmp_eq_u64 s[36:37], 0
	s_cselect_b64 s[34:35], -1, 0
	s_cmp_lg_u64 s[38:39], 0
	s_cselect_b64 s[4:5], -1, 0
	s_and_b64 s[10:11], s[4:5], s[22:23]
	s_andn2_b64 vcc, exec, s[10:11]
	s_cbranch_vccnz .LBB37_15
; %bb.12:
	v_cmp_gt_u32_e32 vcc, 2, v18
	s_waitcnt lgkmcnt(0)
	v_cmp_gt_u32_e64 s[12:13], s7, v1
	v_cmp_eq_u32_e64 s[10:11], 0, v23
	s_and_b64 s[12:13], vcc, s[12:13]
	s_mov_b32 s43, 0
	s_and_b64 s[12:13], s[12:13], s[10:11]
	v_mov_b32_e32 v19, 0
	s_and_saveexec_b64 s[10:11], s[12:13]
	s_cbranch_execz .LBB37_14
; %bb.13:
	s_mul_i32 s42, s6, s30
	s_lshl_b64 s[12:13], s[42:43], 2
	s_add_u32 s21, s38, s12
	s_mul_i32 s42, s15, s26
	s_addc_u32 s31, s39, s13
	s_lshl_b64 s[12:13], s[42:43], 2
	s_add_u32 s15, s21, s12
	s_addc_u32 s31, s31, s13
	s_ashr_i32 s21, s20, 31
	s_lshl_b64 s[12:13], s[20:21], 2
	s_add_u32 s12, s15, s12
	s_addc_u32 s13, s31, s13
	v_lshlrev_b32_e32 v1, 2, v18
	global_load_dword v19, v1, s[12:13]
.LBB37_14:
	s_or_b64 exec, exec, s[10:11]
.LBB37_15:
	s_load_dwordx2 s[0:1], s[0:1], 0x4
	v_bfe_u32 v1, v0, 20, 10
	v_lshlrev_b32_e32 v0, 6, v23
	s_lshr_b32 s15, s40, 5
	v_mov_b32_e32 v25, 0
	s_waitcnt lgkmcnt(0)
	s_lshr_b32 s0, s0, 16
	v_mul_u32_u24_e32 v2, s1, v23
	s_mul_i32 s0, s0, s1
	v_mad_u32_u24 v2, s0, v18, v2
	v_add_lshl_u32 v1, v2, v1, 3
	v_add_u32_e32 v22, 0x800, v1
	v_add_u32_e32 v21, 0x400, v1
	v_add_u16_e32 v1, v0, v18
	v_lshrrev_b16_e32 v24, 1, v1
	v_cmp_gt_u32_e32 vcc, s15, v24
	v_mov_b32_e32 v30, 0
	v_mov_b32_e32 v27, 0
	;; [unrolled: 1-line block ×3, first 2 shown]
	ds_write2_b32 v22, v25, v25 offset1:1
	ds_write2_b32 v21, v25, v25 offset1:1
	s_and_saveexec_b64 s[10:11], vcc
	s_cbranch_execz .LBB37_26
; %bb.16:
	s_mul_hi_u32 s12, s27, s6
	s_mul_i32 s0, s6, s29
	s_add_i32 s12, s6, s12
	s_mul_i32 s1, s41, s25
	s_lshr_b32 s12, s12, s45
	s_mul_hi_u32 s25, s0, 36
	s_mul_i32 s0, s0, 36
	s_add_u32 s0, s18, s0
	s_mul_hi_u32 s21, s1, 36
	s_mul_i32 s1, s1, 36
	s_addc_u32 s18, s19, s25
	v_add_u32_e32 v4, v0, v18
	s_add_u32 s0, s0, s1
	v_lshrrev_b32_e32 v4, 1, v4
	s_addc_u32 s1, s18, s21
	v_lshlrev_b32_e32 v0, 1, v18
	v_mad_u64_u32 v[4:5], s[0:1], v4, 36, s[0:1]
	s_mul_i32 s13, s44, s24
	s_mul_i32 s12, s12, s28
	v_and_b32_e32 v2, 2, v0
	s_add_i32 s0, s20, 1
	v_lshlrev_b32_e32 v0, 1, v2
	v_mov_b32_e32 v1, 0
	v_lshlrev_b32_e32 v28, 2, v2
	s_mul_i32 s24, s20, s33
	v_and_b32_e32 v2, 1, v18
	s_add_i32 s27, s12, s13
	s_mul_i32 s33, s33, s0
	v_cndmask_b32_e64 v6, 0, 1, s[34:35]
	v_or_b32_e32 v29, 4, v28
	v_lshlrev_b32_e32 v2, 3, v2
	v_mov_b32_e32 v3, v1
	s_add_i32 s21, s27, s33
	s_add_i32 s27, s27, s24
	s_mov_b64 s[12:13], 0
	s_mov_b32 s28, 0x1000706
	v_lshlrev_b32_e32 v0, 1, v0
	v_mov_b32_e32 v7, 0x41000000
	s_mov_b64 s[18:19], 0x900
	v_cmp_ne_u32_e64 s[0:1], 1, v6
	v_mov_b32_e32 v26, v1
	v_mov_b32_e32 v25, v1
	;; [unrolled: 1-line block ×4, first 2 shown]
	s_branch .LBB37_18
.LBB37_17:                              ;   in Loop: Header=BB37_18 Depth=1
	s_waitcnt vmcnt(1)
	v_perm_b32 v13, v6, v13, s28
	v_ashrrev_i32_e32 v32, v28, v13
	v_lshlrev_b32_e32 v34, 4, v32
	v_lshlrev_b32_e32 v35, 11, v32
	s_waitcnt vmcnt(0)
	v_and_b32_e32 v33, 0xf0f0f0f, v16
	v_and_b32_e32 v34, 16, v34
	;; [unrolled: 1-line block ×3, first 2 shown]
	v_or3_b32 v33, v34, v33, v35
	v_lshlrev_b32_e32 v34, 18, v32
	v_lshlrev_b32_e32 v35, 25, v32
	v_and_b32_e32 v34, 0x100000, v34
	v_and_b32_e32 v35, 0x10000000, v35
	v_or3_b32 v33, v33, v34, v35
	v_mov_b32_e32 v34, v1
	v_dot4c_i32_i8_e32 v34, v33, v10
	v_lshrrev_b32_e32 v10, 4, v16
	v_lshrrev_b32_e32 v16, 12, v32
	;; [unrolled: 1-line block ×3, first 2 shown]
	v_lshlrev_b32_e32 v35, 2, v32
	v_and_b32_e32 v16, 16, v16
	v_and_b32_e32 v33, 0x1000, v33
	;; [unrolled: 1-line block ×3, first 2 shown]
	v_lshlrev_b32_e32 v32, 9, v32
	v_and_b32_e32 v10, 0xf0f0f0f, v10
	v_and_b32_e32 v32, 0x10000000, v32
	v_or3_b32 v16, v33, v16, v35
	v_ashrrev_i32_e32 v13, v29, v13
	v_or3_b32 v10, v16, v32, v10
	v_dot4c_i32_i8_e32 v34, v10, v8
	v_lshlrev_b32_e32 v10, 4, v13
	v_lshlrev_b32_e32 v16, 11, v13
	;; [unrolled: 1-line block ×3, first 2 shown]
	v_and_b32_e32 v10, 16, v10
	v_and_b32_e32 v16, 0x1000, v16
	v_and_b32_e32 v32, 0x100000, v32
	v_lshlrev_b32_e32 v33, 25, v13
	v_and_b32_e32 v8, 0xf0f0f0f, v17
	v_and_b32_e32 v33, 0x10000000, v33
	v_or3_b32 v10, v16, v10, v32
	v_or3_b32 v8, v10, v33, v8
	v_dot4c_i32_i8_e32 v34, v8, v11
	v_lshrrev_b32_e32 v10, 12, v13
	v_lshrrev_b32_e32 v11, 5, v13
	v_lshlrev_b32_e32 v16, 2, v13
	v_lshrrev_b32_e32 v8, 4, v17
	v_and_b32_e32 v10, 16, v10
	v_and_b32_e32 v11, 0x1000, v11
	;; [unrolled: 1-line block ×3, first 2 shown]
	v_lshlrev_b32_e32 v13, 9, v13
	v_and_b32_e32 v8, 0xf0f0f0f, v8
	v_and_b32_e32 v13, 0x10000000, v13
	v_or3_b32 v10, v11, v10, v16
	v_or3_b32 v8, v10, v13, v8
	v_dot4c_i32_i8_e32 v34, v8, v9
	v_add_u32_e32 v24, 64, v24
	v_cmp_le_u32_e32 vcc, s15, v24
	s_or_b64 s[12:13], vcc, s[12:13]
	v_cvt_f32_i32_e32 v8, v34
	v_lshl_add_u64 v[4:5], v[4:5], 0, s[18:19]
	v_fma_f32 v8, v12, v8, -v15
	v_fma_mix_f32 v25, v8, v6, v25 op_sel_hi:[0,1,0]
	v_sub_f32_e32 v6, v14, v15
	v_fma_mix_f32 v30, v6, v31, v30 op_sel_hi:[0,1,0]
	s_andn2_b64 exec, exec, s[12:13]
	s_cbranch_execz .LBB37_25
.LBB37_18:                              ; =>This Inner Loop Header: Depth=1
	v_lshl_add_u64 v[12:13], v[4:5], 0, v[2:3]
	global_load_dwordx2 v[10:11], v[12:13], off offset:4
	global_load_dwordx2 v[8:9], v[12:13], off offset:20
	global_load_dword v17, v[4:5], off
	v_add_u32_e32 v16, s27, v24
	v_mad_i64_i32 v[12:13], s[24:25], v16, 22, s[16:17]
	v_lshl_add_u64 v[32:33], v[12:13], 0, v[0:1]
	global_load_dword v31, v[12:13], off
	global_load_ushort v15, v[12:13], off offset:4
	global_load_dword v14, v[32:33], off offset:6
	global_load_dword v6, v[32:33], off offset:10
	s_and_b64 vcc, exec, s[0:1]
	s_waitcnt vmcnt(4)
	v_cvt_f32_f16_sdwa v13, v17 dst_sel:DWORD dst_unused:UNUSED_PAD src0_sel:WORD_1
	v_cvt_f32_f16_e32 v12, v17
	s_cbranch_vccnz .LBB37_20
; %bb.19:                               ;   in Loop: Header=BB37_18 Depth=1
	s_mov_b64 s[24:25], 0
	s_branch .LBB37_21
.LBB37_20:                              ;   in Loop: Header=BB37_18 Depth=1
	s_mov_b64 s[24:25], -1
.LBB37_21:                              ;   in Loop: Header=BB37_18 Depth=1
	s_waitcnt vmcnt(2)
	v_perm_b32 v15, v31, v15, s28
	v_ashrrev_i32_e32 v17, v28, v15
	v_lshlrev_b32_e32 v33, 4, v17
	v_lshlrev_b32_e32 v34, 11, v17
	s_waitcnt vmcnt(1)
	v_and_b32_e32 v32, 0xf0f0f0f, v14
	v_and_b32_e32 v33, 16, v33
	;; [unrolled: 1-line block ×3, first 2 shown]
	v_or3_b32 v32, v33, v32, v34
	v_lshlrev_b32_e32 v33, 18, v17
	v_lshlrev_b32_e32 v34, 25, v17
	v_and_b32_e32 v33, 0x100000, v33
	v_and_b32_e32 v34, 0x10000000, v34
	v_or3_b32 v32, v32, v33, v34
	v_mov_b32_e32 v33, v1
	v_dot4c_i32_i8_e32 v33, v32, v10
	v_lshrrev_b32_e32 v32, 12, v17
	v_lshrrev_b32_e32 v34, 5, v17
	v_lshlrev_b32_e32 v35, 2, v17
	v_lshrrev_b32_e32 v14, 4, v14
	v_and_b32_e32 v32, 16, v32
	v_and_b32_e32 v34, 0x1000, v34
	;; [unrolled: 1-line block ×3, first 2 shown]
	v_lshlrev_b32_e32 v17, 9, v17
	v_ashrrev_i32_e32 v15, v29, v15
	v_and_b32_e32 v14, 0xf0f0f0f, v14
	v_and_b32_e32 v17, 0x10000000, v17
	v_or3_b32 v32, v34, v32, v35
	v_or3_b32 v14, v32, v17, v14
	v_lshlrev_b32_e32 v17, 4, v15
	v_lshlrev_b32_e32 v32, 11, v15
	;; [unrolled: 1-line block ×3, first 2 shown]
	v_and_b32_e32 v17, 16, v17
	v_and_b32_e32 v32, 0x1000, v32
	;; [unrolled: 1-line block ×3, first 2 shown]
	v_lshlrev_b32_e32 v35, 25, v15
	v_dot4c_i32_i8_e32 v33, v14, v8
	s_waitcnt vmcnt(0)
	v_and_b32_e32 v14, 0xf0f0f0f, v6
	v_and_b32_e32 v35, 0x10000000, v35
	v_or3_b32 v17, v32, v17, v34
	v_or3_b32 v14, v17, v35, v14
	v_dot4c_i32_i8_e32 v33, v14, v11
	v_lshrrev_b32_e32 v14, 12, v15
	v_lshrrev_b32_e32 v17, 5, v15
	v_lshlrev_b32_e32 v32, 2, v15
	v_lshrrev_b32_e32 v6, 4, v6
	v_and_b32_e32 v14, 16, v14
	v_and_b32_e32 v17, 0x1000, v17
	;; [unrolled: 1-line block ×3, first 2 shown]
	v_lshlrev_b32_e32 v15, 9, v15
	v_and_b32_e32 v6, 0xf0f0f0f, v6
	v_and_b32_e32 v15, 0x10000000, v15
	v_or3_b32 v14, v17, v14, v32
	v_or3_b32 v6, v14, v15, v6
	v_dot4c_i32_i8_e32 v33, v6, v9
	s_andn2_b64 vcc, exec, s[24:25]
	s_nop 1
	v_cvt_f32_i32_e32 v6, v33
	v_pk_mul_f32 v[14:15], v[6:7], v[12:13]
	s_cbranch_vccnz .LBB37_23
; %bb.22:                               ;   in Loop: Header=BB37_18 Depth=1
	v_mad_i64_i32 v[16:17], s[24:25], v16, 22, s[36:37]
	global_load_dword v6, v[16:17], off
	global_load_ushort v13, v[16:17], off offset:4
	v_lshl_add_u64 v[16:17], v[16:17], 0, v[0:1]
	global_load_dword v32, v[16:17], off offset:6
	global_load_dword v33, v[16:17], off offset:10
	v_mov_b32_e32 v16, v1
	s_waitcnt vmcnt(2)
	v_perm_b32 v13, v6, v13, s28
	v_ashrrev_i32_e32 v17, v28, v13
	v_lshlrev_b32_e32 v36, 4, v17
	v_lshlrev_b32_e32 v37, 11, v17
	v_ashrrev_i32_e32 v13, v29, v13
	s_waitcnt vmcnt(1)
	v_and_b32_e32 v34, 0xf0f0f0f, v32
	v_lshlrev_b32_e32 v38, 18, v17
	v_lshlrev_b32_e32 v39, 25, v17
	v_lshrrev_b32_e32 v40, 12, v17
	v_lshrrev_b32_e32 v41, 5, v17
	v_lshlrev_b32_e32 v42, 2, v17
	v_and_b32_e32 v36, 16, v36
	v_and_b32_e32 v37, 0x1000, v37
	v_lshrrev_b32_e32 v32, 4, v32
	v_lshlrev_b32_e32 v17, 9, v17
	v_lshlrev_b32_e32 v43, 4, v13
	;; [unrolled: 1-line block ×4, first 2 shown]
	v_and_b32_e32 v38, 0x100000, v38
	v_and_b32_e32 v39, 0x10000000, v39
	;; [unrolled: 1-line block ×5, first 2 shown]
	v_or3_b32 v34, v36, v34, v37
	v_and_b32_e32 v32, 0xf0f0f0f, v32
	v_lshlrev_b32_e32 v46, 25, v13
	v_lshrrev_b32_e32 v47, 12, v13
	v_lshrrev_b32_e32 v48, 5, v13
	v_lshlrev_b32_e32 v49, 2, v13
	v_and_b32_e32 v17, 0x10000000, v17
	v_and_b32_e32 v43, 16, v43
	;; [unrolled: 1-line block ×4, first 2 shown]
	v_or3_b32 v36, v41, v40, v42
	v_or3_b32 v34, v34, v38, v39
	s_waitcnt vmcnt(0)
	v_and_b32_e32 v35, 0xf0f0f0f, v33
	v_lshrrev_b32_e32 v33, 4, v33
	v_lshlrev_b32_e32 v13, 9, v13
	v_and_b32_e32 v46, 0x10000000, v46
	v_and_b32_e32 v47, 16, v47
	;; [unrolled: 1-line block ×4, first 2 shown]
	v_or3_b32 v37, v44, v43, v45
	v_or3_b32 v17, v36, v17, v32
	v_dot4c_i32_i8_e32 v16, v34, v10
	v_and_b32_e32 v33, 0xf0f0f0f, v33
	v_and_b32_e32 v13, 0x10000000, v13
	v_or3_b32 v40, v48, v47, v49
	v_or3_b32 v32, v37, v46, v35
	v_dot4c_i32_i8_e32 v16, v17, v8
	v_dot4c_i32_i8_e32 v16, v32, v11
	v_or3_b32 v13, v40, v13, v33
	v_dot4c_i32_i8_e32 v16, v13, v9
	s_nop 2
	v_cvt_f32_i32_e32 v13, v16
	v_fma_f32 v13, v12, v13, -v15
	v_fma_mix_f32 v27, v13, v6, v27 op_sel_hi:[0,1,0]
.LBB37_23:                              ;   in Loop: Header=BB37_18 Depth=1
	v_add_u32_e32 v32, s21, v24
	v_mad_i64_i32 v[34:35], s[24:25], v32, 22, s[16:17]
	v_lshl_add_u64 v[36:37], v[34:35], 0, v[0:1]
	global_load_dword v6, v[34:35], off
	global_load_ushort v13, v[34:35], off offset:4
	global_load_dwordx2 v[16:17], v[36:37], off offset:6
	s_andn2_b64 vcc, exec, s[22:23]
	s_cbranch_vccnz .LBB37_17
; %bb.24:                               ;   in Loop: Header=BB37_18 Depth=1
	v_mad_i64_i32 v[32:33], s[24:25], v32, 22, s[36:37]
	global_load_dword v34, v[32:33], off
	global_load_ushort v35, v[32:33], off offset:4
	v_lshl_add_u64 v[32:33], v[32:33], 0, v[0:1]
	global_load_dword v36, v[32:33], off offset:6
	global_load_dword v37, v[32:33], off offset:10
	v_mov_b32_e32 v32, v1
	s_waitcnt vmcnt(2)
	v_perm_b32 v33, v34, v35, s28
	v_ashrrev_i32_e32 v35, v28, v33
	v_lshlrev_b32_e32 v40, 4, v35
	v_lshlrev_b32_e32 v41, 11, v35
	v_ashrrev_i32_e32 v33, v29, v33
	s_waitcnt vmcnt(1)
	v_and_b32_e32 v38, 0xf0f0f0f, v36
	v_lshlrev_b32_e32 v42, 18, v35
	v_lshlrev_b32_e32 v43, 25, v35
	v_lshrrev_b32_e32 v44, 12, v35
	v_lshrrev_b32_e32 v45, 5, v35
	v_lshlrev_b32_e32 v46, 2, v35
	v_and_b32_e32 v40, 16, v40
	v_and_b32_e32 v41, 0x1000, v41
	v_lshrrev_b32_e32 v36, 4, v36
	v_lshlrev_b32_e32 v35, 9, v35
	v_lshlrev_b32_e32 v47, 4, v33
	;; [unrolled: 1-line block ×4, first 2 shown]
	v_and_b32_e32 v42, 0x100000, v42
	v_and_b32_e32 v43, 0x10000000, v43
	;; [unrolled: 1-line block ×5, first 2 shown]
	v_or3_b32 v38, v40, v38, v41
	v_and_b32_e32 v36, 0xf0f0f0f, v36
	v_lshlrev_b32_e32 v50, 25, v33
	v_lshrrev_b32_e32 v51, 12, v33
	v_lshrrev_b32_e32 v52, 5, v33
	v_lshlrev_b32_e32 v53, 2, v33
	v_and_b32_e32 v35, 0x10000000, v35
	v_and_b32_e32 v47, 16, v47
	;; [unrolled: 1-line block ×4, first 2 shown]
	v_or3_b32 v40, v45, v44, v46
	v_or3_b32 v38, v38, v42, v43
	s_waitcnt vmcnt(0)
	v_and_b32_e32 v39, 0xf0f0f0f, v37
	v_lshrrev_b32_e32 v37, 4, v37
	v_lshlrev_b32_e32 v33, 9, v33
	v_and_b32_e32 v50, 0x10000000, v50
	v_and_b32_e32 v51, 16, v51
	;; [unrolled: 1-line block ×4, first 2 shown]
	v_or3_b32 v41, v48, v47, v49
	v_or3_b32 v35, v40, v35, v36
	v_dot4c_i32_i8_e32 v32, v38, v10
	v_and_b32_e32 v37, 0xf0f0f0f, v37
	v_and_b32_e32 v33, 0x10000000, v33
	v_or3_b32 v44, v52, v51, v53
	v_or3_b32 v36, v41, v50, v39
	v_dot4c_i32_i8_e32 v32, v35, v8
	v_dot4c_i32_i8_e32 v32, v36, v11
	v_or3_b32 v33, v44, v33, v37
	v_dot4c_i32_i8_e32 v32, v33, v9
	s_nop 2
	v_cvt_f32_i32_e32 v32, v32
	v_fma_f32 v32, v12, v32, -v15
	v_fma_mix_f32 v26, v32, v34, v26 op_sel_hi:[0,1,0]
	s_branch .LBB37_17
.LBB37_25:
	s_or_b64 exec, exec, s[12:13]
	ds_write2_b32 v22, v30, v25 offset1:1
	ds_write2_b32 v21, v27, v26 offset1:1
.LBB37_26:
	s_or_b64 exec, exec, s[10:11]
	s_load_dword s15, s[2:3], 0x30
; %bb.27:
	v_cmp_eq_u32_e64 s[0:1], 0, v23
	v_cmp_ne_u32_e32 vcc, 0, v23
	v_lshlrev_b32_e32 v0, 2, v18
	s_and_saveexec_b64 s[10:11], vcc
	s_cbranch_execz .LBB37_32
; %bb.28:
	v_add_u32_e32 v1, -1, v23
	v_lshl_or_b32 v1, v1, 9, v0
	s_mov_b64 s[12:13], -1
	s_and_b64 vcc, exec, s[34:35]
	ds_write_b32 v1, v30
	s_cbranch_vccz .LBB37_30
; %bb.29:
	ds_write_b32 v1, v25 offset:256
	s_mov_b64 s[12:13], 0
.LBB37_30:
	s_andn2_b64 vcc, exec, s[12:13]
	s_cbranch_vccnz .LBB37_32
; %bb.31:
	ds_write_b32 v1, v25 offset:256
	ds_write2st64_b32 v1, v27, v26 offset0:2 offset1:3
.LBB37_32:
	s_or_b64 exec, exec, s[10:11]
	s_waitcnt lgkmcnt(0)
	s_barrier
	s_and_saveexec_b64 s[10:11], s[0:1]
	s_cbranch_execz .LBB37_65
; %bb.33:
	ds_read_b32 v2, v0
	ds_read_b32 v3, v22
	v_cndmask_b32_e64 v1, 0, 1, s[22:23]
	v_cmp_ne_u32_e64 s[0:1], 1, v1
	s_andn2_b64 vcc, exec, s[22:23]
	s_cbranch_vccnz .LBB37_35
; %bb.34:
	ds_read_b32 v1, v0 offset:512
	ds_read_b32 v4, v21
	s_waitcnt lgkmcnt(0)
	v_add_f32_e32 v1, v1, v4
	ds_write_b32 v21, v1
.LBB37_35:
	v_mbcnt_lo_u32_b32 v1, -1, 0
	v_mbcnt_hi_u32_b32 v6, -1, v1
	v_and_b32_e32 v1, 64, v6
	v_add_u32_e32 v7, 64, v1
	v_xor_b32_e32 v1, 32, v6
	v_cmp_lt_i32_e32 vcc, v1, v7
	s_waitcnt lgkmcnt(0)
	v_add_f32_e32 v3, v2, v3
	v_xor_b32_e32 v2, 16, v6
	v_cndmask_b32_e32 v1, v6, v1, vcc
	v_lshlrev_b32_e32 v1, 2, v1
	ds_bpermute_b32 v4, v1, v3
	v_cmp_lt_i32_e32 vcc, v2, v7
	v_xor_b32_e32 v10, 1, v6
	s_waitcnt lgkmcnt(0)
	v_add_f32_e32 v4, v3, v4
	v_cndmask_b32_e32 v2, v6, v2, vcc
	v_lshlrev_b32_e32 v2, 2, v2
	ds_bpermute_b32 v5, v2, v4
	v_xor_b32_e32 v3, 8, v6
	v_cmp_lt_i32_e32 vcc, v3, v7
	s_waitcnt lgkmcnt(0)
	v_add_f32_e32 v5, v4, v5
	v_cndmask_b32_e32 v3, v6, v3, vcc
	v_lshlrev_b32_e32 v3, 2, v3
	ds_bpermute_b32 v8, v3, v5
	v_xor_b32_e32 v4, 4, v6
	v_cmp_lt_i32_e32 vcc, v4, v7
	;; [unrolled: 7-line block ×3, first 2 shown]
	s_waitcnt lgkmcnt(0)
	v_add_f32_e32 v8, v8, v9
	v_cndmask_b32_e32 v5, v6, v5, vcc
	v_lshlrev_b32_e32 v5, 2, v5
	ds_bpermute_b32 v9, v5, v8
	v_cmp_lt_i32_e32 vcc, v10, v7
	s_waitcnt lgkmcnt(0)
	v_add_f32_e32 v7, v8, v9
	v_cndmask_b32_e32 v6, v6, v10, vcc
	v_lshlrev_b32_e32 v6, 2, v6
	ds_bpermute_b32 v8, v6, v7
	s_and_b64 vcc, exec, s[0:1]
	s_waitcnt lgkmcnt(0)
	v_add_f32_e32 v7, v7, v8
	ds_write_b32 v22, v7
	s_cbranch_vccnz .LBB37_37
; %bb.36:
	ds_read_b32 v7, v21
	s_waitcnt lgkmcnt(0)
	ds_bpermute_b32 v8, v1, v7
	s_waitcnt lgkmcnt(0)
	v_add_f32_e32 v7, v7, v8
	ds_bpermute_b32 v8, v2, v7
	s_waitcnt lgkmcnt(0)
	v_add_f32_e32 v7, v7, v8
	ds_bpermute_b32 v8, v3, v7
	s_waitcnt lgkmcnt(0)
	v_add_f32_e32 v7, v7, v8
	ds_bpermute_b32 v8, v4, v7
	s_waitcnt lgkmcnt(0)
	v_add_f32_e32 v7, v7, v8
	ds_bpermute_b32 v8, v5, v7
	s_waitcnt lgkmcnt(0)
	v_add_f32_e32 v7, v7, v8
	ds_bpermute_b32 v8, v6, v7
	s_waitcnt lgkmcnt(0)
	v_add_f32_e32 v7, v7, v8
	ds_write_b32 v21, v7
.LBB37_37:
	ds_read_b32 v7, v0 offset:256
	ds_read_b32 v8, v22 offset:4
	s_and_b64 vcc, exec, s[0:1]
	s_cbranch_vccnz .LBB37_39
; %bb.38:
	ds_read_b32 v9, v0 offset:768
	ds_read_b32 v10, v21 offset:4
	s_waitcnt lgkmcnt(0)
	v_add_f32_e32 v9, v9, v10
	ds_write_b32 v21, v9 offset:4
.LBB37_39:
	s_waitcnt lgkmcnt(0)
	v_add_f32_e32 v7, v7, v8
	ds_bpermute_b32 v8, v1, v7
	s_and_b64 vcc, exec, s[0:1]
	s_waitcnt lgkmcnt(0)
	v_add_f32_e32 v7, v7, v8
	ds_bpermute_b32 v8, v2, v7
	s_waitcnt lgkmcnt(0)
	v_add_f32_e32 v7, v7, v8
	ds_bpermute_b32 v8, v3, v7
	;; [unrolled: 3-line block ×5, first 2 shown]
	s_waitcnt lgkmcnt(0)
	v_add_f32_e32 v7, v7, v8
	ds_write_b32 v22, v7 offset:4
	s_cbranch_vccnz .LBB37_41
; %bb.40:
	ds_read_b32 v7, v21 offset:4
	s_waitcnt lgkmcnt(0)
	ds_bpermute_b32 v1, v1, v7
	s_waitcnt lgkmcnt(0)
	v_add_f32_e32 v1, v7, v1
	ds_bpermute_b32 v2, v2, v1
	s_waitcnt lgkmcnt(0)
	v_add_f32_e32 v1, v1, v2
	;; [unrolled: 3-line block ×6, first 2 shown]
	ds_write_b32 v21, v1 offset:4
.LBB37_41:
	v_add_u32_e32 v1, s20, v18
	v_cmp_gt_u32_e32 vcc, 2, v18
	v_cmp_gt_u32_e64 s[10:11], s7, v1
	s_and_b64 s[10:11], vcc, s[10:11]
	s_and_b64 exec, exec, s[10:11]
	s_cbranch_execz .LBB37_65
; %bb.42:
	v_lshl_add_u32 v1, v18, 2, v22
	ds_read_b32 v1, v1
	s_and_b64 vcc, exec, s[0:1]
	s_waitcnt vmcnt(0) lgkmcnt(0)
	v_add_f32_e32 v2, v20, v1
	v_cndmask_b32_e64 v1, v2, v1, s[8:9]
	s_cbranch_vccnz .LBB37_64
; %bb.43:
	v_lshl_add_u32 v2, v18, 2, v21
	ds_read_b32 v2, v2
	s_cmp_lt_i32 s15, 2
	s_mov_b64 s[0:1], 0
	s_waitcnt lgkmcnt(0)
	v_add_f32_e32 v3, v19, v2
	v_cndmask_b32_e64 v2, v2, v3, s[4:5]
	s_cbranch_scc1 .LBB37_47
; %bb.44:
	s_cmp_gt_i32 s15, 2
	s_cbranch_scc0 .LBB37_48
; %bb.45:
	s_cmp_eq_u32 s15, 3
	s_cbranch_scc0 .LBB37_49
; %bb.46:
	v_max_f32_e32 v3, v2, v2
	v_min_f32_e32 v3, 0x40e00000, v3
	v_mul_f32_e32 v5, 0xbfd9db23, v3
	s_mov_b32 s4, 0x3fb8aa3b
	v_mul_f32_e32 v4, 0x3fb8aa3b, v5
	v_fma_f32 v6, v5, s4, -v4
	v_rndne_f32_e32 v7, v4
	v_fmamk_f32 v6, v5, 0x32a5705f, v6
	v_sub_f32_e32 v4, v4, v7
	v_add_f32_e32 v4, v4, v6
	v_exp_f32_e32 v6, v4
	v_cvt_i32_f32_e32 v7, v7
	s_mov_b32 s4, 0xc2ce8ed0
	v_max_f32_e32 v4, v1, v1
	v_cmp_ngt_f32_e32 vcc, s4, v5
	v_ldexp_f32 v6, v6, v7
	s_mov_b32 s4, 0x42b17218
	v_min_f32_e32 v4, 0x40e00000, v4
	v_cndmask_b32_e32 v6, 0, v6, vcc
	v_mov_b32_e32 v7, 0x7f800000
	v_cmp_nlt_f32_e32 vcc, s4, v5
	v_max_f32_e32 v4, 0xc0e00000, v4
	s_nop 0
	v_cndmask_b32_e32 v5, v7, v6, vcc
	v_pk_add_f32 v[4:5], v[4:5], 1.0 op_sel_hi:[1,0]
	s_nop 0
	v_div_scale_f32 v6, s[4:5], v5, v5, v3
	v_rcp_f32_e32 v7, v6
	s_mov_b64 s[4:5], 0
	v_fma_f32 v8, -v6, v7, 1.0
	v_fmac_f32_e32 v7, v8, v7
	v_div_scale_f32 v8, vcc, v3, v5, v3
	v_mul_f32_e32 v9, v8, v7
	v_fma_f32 v10, -v6, v9, v8
	v_fmac_f32_e32 v9, v10, v7
	v_fma_f32 v6, -v6, v9, v8
	v_div_fmas_f32 v6, v6, v7, v9
	v_div_fixup_f32 v3, v6, v5, v3
	v_mul_f32_e32 v3, v4, v3
	s_branch .LBB37_50
.LBB37_47:
                                        ; implicit-def: $vgpr3
	s_mov_b64 s[4:5], 0
	s_cbranch_execnz .LBB37_54
	s_branch .LBB37_55
.LBB37_48:
	s_mov_b64 s[8:9], -1
	s_mov_b64 s[4:5], 0
                                        ; implicit-def: $vgpr3
	s_branch .LBB37_51
.LBB37_49:
	s_mov_b64 s[4:5], -1
                                        ; implicit-def: $vgpr3
.LBB37_50:
	s_mov_b64 s[8:9], 0
.LBB37_51:
	s_and_b64 vcc, exec, s[8:9]
	s_cbranch_vccz .LBB37_53
; %bb.52:
	v_mul_f32_e32 v3, 0xbfb8aa3b, v2
	s_mov_b32 s7, 0xbfb8aa3b
	v_rndne_f32_e32 v4, v3
	v_sub_f32_e32 v5, v3, v4
	v_fma_f32 v3, v2, s7, -v3
	v_fmamk_f32 v3, v2, 0xb2a5705f, v3
	v_add_f32_e32 v3, v5, v3
	v_exp_f32_e32 v3, v3
	v_cvt_i32_f32_e32 v4, v4
	s_mov_b32 s7, 0x42ce8ed0
	v_cmp_nlt_f32_e32 vcc, s7, v2
	s_mov_b32 s7, 0xc2b17218
	v_ldexp_f32 v3, v3, v4
	v_cndmask_b32_e32 v3, 0, v3, vcc
	v_mov_b32_e32 v4, 0x7f800000
	v_cmp_ngt_f32_e32 vcc, s7, v2
	s_nop 1
	v_cndmask_b32_e32 v3, v4, v3, vcc
	v_add_f32_e32 v3, 1.0, v3
	v_div_scale_f32 v4, s[8:9], v3, v3, v2
	v_rcp_f32_e32 v5, v4
	s_nop 0
	v_fma_f32 v6, -v4, v5, 1.0
	v_fmac_f32_e32 v5, v6, v5
	v_div_scale_f32 v6, vcc, v2, v3, v2
	v_mul_f32_e32 v7, v6, v5
	v_fma_f32 v8, -v4, v7, v6
	v_fmac_f32_e32 v7, v8, v5
	v_fma_f32 v4, -v4, v7, v6
	v_div_fmas_f32 v4, v4, v5, v7
	v_div_fixup_f32 v3, v4, v3, v2
	v_mul_f32_e32 v3, v1, v3
.LBB37_53:
	s_branch .LBB37_55
.LBB37_54:
	s_cmp_lg_u32 s15, 1
	s_mov_b64 s[0:1], -1
	s_cselect_b64 s[4:5], -1, 0
                                        ; implicit-def: $vgpr3
.LBB37_55:
	s_andn2_b64 vcc, exec, s[4:5]
	s_cbranch_vccz .LBB37_57
; %bb.56:
	s_andn2_b64 vcc, exec, s[0:1]
	s_cbranch_vccz .LBB37_58
	s_branch .LBB37_63
.LBB37_57:
	v_mul_f32_e32 v3, v1, v2
	s_cbranch_execnz .LBB37_63
.LBB37_58:
	v_mul_f32_e32 v4, 0x3d372713, v2
	v_mul_f32_e32 v3, 0x3f4c422a, v2
	v_fma_f32 v4, v2, v4, 1.0
	v_mul_f32_e32 v3, v3, v4
	s_mov_b32 s0, 0x3f200000
	v_cmp_nlt_f32_e64 s[0:1], |v3|, s0
                                        ; implicit-def: $vgpr4
	s_and_saveexec_b64 s[4:5], s[0:1]
	s_xor_b64 s[0:1], exec, s[4:5]
	s_cbranch_execz .LBB37_60
; %bb.59:
	v_add_f32_e64 v4, |v3|, |v3|
	v_mul_f32_e32 v5, 0x3fb8aa3b, v4
	s_mov_b32 s4, 0x3fb8aa3b
	v_rndne_f32_e32 v6, v5
	v_sub_f32_e32 v7, v5, v6
	v_fma_f32 v5, v4, s4, -v5
	v_fmamk_f32 v5, v4, 0x32a5705f, v5
	v_add_f32_e32 v5, v7, v5
	v_exp_f32_e32 v5, v5
	v_cvt_i32_f32_e32 v6, v6
	s_mov_b32 s4, 0xc2ce8ed0
	v_cmp_ngt_f32_e32 vcc, s4, v4
	s_mov_b32 s4, 0x42b17218
	v_ldexp_f32 v5, v5, v6
	v_cndmask_b32_e32 v5, 0, v5, vcc
	v_mov_b32_e32 v6, 0x7f800000
	v_cmp_nlt_f32_e32 vcc, s4, v4
	s_nop 1
	v_cndmask_b32_e32 v4, v6, v5, vcc
	v_add_f32_e32 v4, 1.0, v4
	v_rcp_f32_e32 v4, v4
	s_nop 0
	v_fma_f32 v4, v4, -2.0, 1.0
.LBB37_60:
	s_andn2_saveexec_b64 s[0:1], s[0:1]
; %bb.61:
	v_mul_f32_e32 v4, v3, v3
	v_mov_b32_e32 v5, 0x3ca908c9
	v_fmac_f32_e32 v5, 0xbbbac73d, v4
	v_fmaak_f32 v5, v4, v5, 0xbd5c1c4e
	v_fmaak_f32 v5, v4, v5, 0x3e088382
	;; [unrolled: 1-line block ×3, first 2 shown]
	v_mul_f32_e64 v5, |v3|, v5
	v_fma_f32 v4, v4, v5, |v3|
; %bb.62:
	s_or_b64 exec, exec, s[0:1]
	s_brev_b32 s0, -2
	v_bfi_b32 v3, s0, v4, v3
	v_mul_f32_e32 v2, 0.5, v2
	v_add_f32_e32 v3, 1.0, v3
	v_mul_f32_e32 v2, v2, v3
	v_mul_f32_e32 v3, v1, v2
.LBB37_63:
	v_mov_b32_e32 v1, v3
.LBB37_64:
	s_load_dwordx2 s[0:1], s[2:3], 0x38
	s_mul_i32 s4, s14, s26
	s_mul_i32 s6, s6, s30
	s_add_i32 s2, s4, s20
	s_add_i32 s2, s2, s6
	s_mov_b32 s3, 0
	s_lshl_b64 s[2:3], s[2:3], 2
	s_waitcnt lgkmcnt(0)
	s_add_u32 s0, s0, s2
	s_addc_u32 s1, s1, s3
	global_store_dword v0, v1, s[0:1]
.LBB37_65:
	s_endpgm
	.section	.rodata,"a",@progbits
	.p2align	6, 0x0
	.amdhsa_kernel _ZL13mul_mat_vec_qIL9ggml_type6ELi1ELb1ELb1EEvPKvS2_PKi31ggml_cuda_mm_fusion_args_devicePfj15HIP_vector_typeIjLj3EEjjjS8_jjjS8_jjjj
		.amdhsa_group_segment_fixed_size 3072
		.amdhsa_private_segment_fixed_size 0
		.amdhsa_kernarg_size 144
		.amdhsa_user_sgpr_count 4
		.amdhsa_user_sgpr_dispatch_ptr 1
		.amdhsa_user_sgpr_queue_ptr 0
		.amdhsa_user_sgpr_kernarg_segment_ptr 1
		.amdhsa_user_sgpr_dispatch_id 0
		.amdhsa_user_sgpr_kernarg_preload_length 0
		.amdhsa_user_sgpr_kernarg_preload_offset 0
		.amdhsa_user_sgpr_private_segment_size 0
		.amdhsa_uses_dynamic_stack 0
		.amdhsa_enable_private_segment 0
		.amdhsa_system_sgpr_workgroup_id_x 1
		.amdhsa_system_sgpr_workgroup_id_y 1
		.amdhsa_system_sgpr_workgroup_id_z 1
		.amdhsa_system_sgpr_workgroup_info 0
		.amdhsa_system_vgpr_workitem_id 2
		.amdhsa_next_free_vgpr 54
		.amdhsa_next_free_sgpr 46
		.amdhsa_accum_offset 56
		.amdhsa_reserve_vcc 1
		.amdhsa_float_round_mode_32 0
		.amdhsa_float_round_mode_16_64 0
		.amdhsa_float_denorm_mode_32 3
		.amdhsa_float_denorm_mode_16_64 3
		.amdhsa_dx10_clamp 1
		.amdhsa_ieee_mode 1
		.amdhsa_fp16_overflow 0
		.amdhsa_tg_split 0
		.amdhsa_exception_fp_ieee_invalid_op 0
		.amdhsa_exception_fp_denorm_src 0
		.amdhsa_exception_fp_ieee_div_zero 0
		.amdhsa_exception_fp_ieee_overflow 0
		.amdhsa_exception_fp_ieee_underflow 0
		.amdhsa_exception_fp_ieee_inexact 0
		.amdhsa_exception_int_div_zero 0
	.end_amdhsa_kernel
	.section	.text._ZL13mul_mat_vec_qIL9ggml_type6ELi1ELb1ELb1EEvPKvS2_PKi31ggml_cuda_mm_fusion_args_devicePfj15HIP_vector_typeIjLj3EEjjjS8_jjjS8_jjjj,"axG",@progbits,_ZL13mul_mat_vec_qIL9ggml_type6ELi1ELb1ELb1EEvPKvS2_PKi31ggml_cuda_mm_fusion_args_devicePfj15HIP_vector_typeIjLj3EEjjjS8_jjjS8_jjjj,comdat
.Lfunc_end37:
	.size	_ZL13mul_mat_vec_qIL9ggml_type6ELi1ELb1ELb1EEvPKvS2_PKi31ggml_cuda_mm_fusion_args_devicePfj15HIP_vector_typeIjLj3EEjjjS8_jjjS8_jjjj, .Lfunc_end37-_ZL13mul_mat_vec_qIL9ggml_type6ELi1ELb1ELb1EEvPKvS2_PKi31ggml_cuda_mm_fusion_args_devicePfj15HIP_vector_typeIjLj3EEjjjS8_jjjS8_jjjj
                                        ; -- End function
	.section	.AMDGPU.csdata,"",@progbits
; Kernel info:
; codeLenInByte = 4412
; NumSgprs: 52
; NumVgprs: 54
; NumAgprs: 0
; TotalNumVgprs: 54
; ScratchSize: 0
; MemoryBound: 0
; FloatMode: 240
; IeeeMode: 1
; LDSByteSize: 3072 bytes/workgroup (compile time only)
; SGPRBlocks: 6
; VGPRBlocks: 6
; NumSGPRsForWavesPerEU: 52
; NumVGPRsForWavesPerEU: 54
; AccumOffset: 56
; Occupancy: 8
; WaveLimiterHint : 0
; COMPUTE_PGM_RSRC2:SCRATCH_EN: 0
; COMPUTE_PGM_RSRC2:USER_SGPR: 4
; COMPUTE_PGM_RSRC2:TRAP_HANDLER: 0
; COMPUTE_PGM_RSRC2:TGID_X_EN: 1
; COMPUTE_PGM_RSRC2:TGID_Y_EN: 1
; COMPUTE_PGM_RSRC2:TGID_Z_EN: 1
; COMPUTE_PGM_RSRC2:TIDIG_COMP_CNT: 2
; COMPUTE_PGM_RSRC3_GFX90A:ACCUM_OFFSET: 13
; COMPUTE_PGM_RSRC3_GFX90A:TG_SPLIT: 0
	.section	.text._ZL13mul_mat_vec_qIL9ggml_type6ELi1ELb0ELb1EEvPKvS2_PKi31ggml_cuda_mm_fusion_args_devicePfj15HIP_vector_typeIjLj3EEjjjS8_jjjS8_jjjj,"axG",@progbits,_ZL13mul_mat_vec_qIL9ggml_type6ELi1ELb0ELb1EEvPKvS2_PKi31ggml_cuda_mm_fusion_args_devicePfj15HIP_vector_typeIjLj3EEjjjS8_jjjS8_jjjj,comdat
	.globl	_ZL13mul_mat_vec_qIL9ggml_type6ELi1ELb0ELb1EEvPKvS2_PKi31ggml_cuda_mm_fusion_args_devicePfj15HIP_vector_typeIjLj3EEjjjS8_jjjS8_jjjj ; -- Begin function _ZL13mul_mat_vec_qIL9ggml_type6ELi1ELb0ELb1EEvPKvS2_PKi31ggml_cuda_mm_fusion_args_devicePfj15HIP_vector_typeIjLj3EEjjjS8_jjjS8_jjjj
	.p2align	8
	.type	_ZL13mul_mat_vec_qIL9ggml_type6ELi1ELb0ELb1EEvPKvS2_PKi31ggml_cuda_mm_fusion_args_devicePfj15HIP_vector_typeIjLj3EEjjjS8_jjjS8_jjjj,@function
_ZL13mul_mat_vec_qIL9ggml_type6ELi1ELb0ELb1EEvPKvS2_PKi31ggml_cuda_mm_fusion_args_devicePfj15HIP_vector_typeIjLj3EEjjjS8_jjjS8_jjjj: ; @_ZL13mul_mat_vec_qIL9ggml_type6ELi1ELb0ELb1EEvPKvS2_PKi31ggml_cuda_mm_fusion_args_devicePfj15HIP_vector_typeIjLj3EEjjjS8_jjjS8_jjjj
; %bb.0:
	s_load_dwordx2 s[8:9], s[2:3], 0x10
	s_load_dwordx4 s[16:19], s[2:3], 0x40
	s_mov_b32 s20, s5
	s_mov_b64 s[14:15], 0
	s_waitcnt lgkmcnt(0)
	s_cmp_lg_u64 s[8:9], 0
	s_cselect_b64 s[12:13], -1, 0
	s_cmp_eq_u64 s[8:9], 0
	s_cbranch_scc1 .LBB38_5
; %bb.1:
	s_mov_b32 s21, 0
	s_lshl_b64 s[10:11], s[20:21], 2
	s_add_u32 s8, s8, s10
	s_addc_u32 s9, s9, s11
	s_load_dword s21, s[8:9], 0x0
	s_nop 0
	s_load_dwordx4 s[8:11], s[2:3], 0x68
	s_load_dword s5, s[2:3], 0x50
	s_andn2_b64 vcc, exec, s[14:15]
	s_cbranch_vccnz .LBB38_3
.LBB38_2:
	s_load_dwordx2 s[14:15], s[2:3], 0x5c
	s_waitcnt lgkmcnt(0)
	s_mul_hi_u32 s7, s14, s20
	s_add_i32 s7, s20, s7
	s_lshr_b32 s21, s7, s15
.LBB38_3:
	s_load_dword s22, s[2:3], 0x78
	s_andn2_b64 vcc, exec, s[12:13]
	s_cbranch_vccnz .LBB38_6
; %bb.4:
	s_mul_hi_u32 s7, s17, s20
	s_add_i32 s7, s20, s7
	s_lshr_b32 s7, s7, s18
	s_mul_i32 s7, s7, s19
	s_sub_i32 s23, s20, s7
	s_branch .LBB38_7
.LBB38_5:
                                        ; implicit-def: $sgpr21
	s_load_dwordx4 s[8:11], s[2:3], 0x68
	s_load_dword s5, s[2:3], 0x50
	s_branch .LBB38_2
.LBB38_6:
	s_mov_b32 s23, s20
.LBB38_7:
	s_load_dwordx2 s[18:19], s[0:1], 0x4
	s_load_dwordx4 s[12:15], s[2:3], 0x80
	v_bfe_u32 v10, v0, 10, 10
	v_and_b32_e32 v9, 0x3ff, v0
	v_bfe_u32 v0, v0, 20, 10
	s_waitcnt lgkmcnt(0)
	s_lshr_b32 s0, s18, 16
	v_mul_u32_u24_e32 v1, s19, v10
	s_mul_i32 s0, s0, s19
	v_mad_u32_u24 v1, s0, v9, v1
	v_add_lshl_u32 v0, v1, v0, 3
	v_lshlrev_b32_e32 v2, 6, v10
	v_mov_b32_e32 v1, 0
	v_add_u32_e32 v8, 0x200, v0
	ds_write2_b32 v0, v1, v1 offset0:128 offset1:129
	v_add_u16_e32 v0, v2, v9
	s_lshr_b32 s15, s16, 5
	v_lshrrev_b16_e32 v11, 1, v0
	s_lshl_b32 s7, s4, 1
	v_cmp_gt_u32_e32 vcc, s15, v11
	v_mov_b32_e32 v0, 0
	s_and_saveexec_b64 s[0:1], vcc
	s_cbranch_execz .LBB38_11
; %bb.8:
	s_load_dwordx4 s[16:19], s[2:3], 0x0
	s_mul_i32 s4, s6, s13
	s_mul_i32 s13, s21, s8
	s_mul_hi_u32 s8, s11, s6
	s_add_i32 s8, s6, s8
	s_lshr_b32 s8, s8, s22
	s_mul_i32 s11, s8, s12
	s_mul_hi_u32 s8, s4, 36
	s_mul_i32 s4, s4, 36
	s_mul_i32 s9, s23, s9
	s_waitcnt lgkmcnt(0)
	s_add_u32 s4, s18, s4
	s_mul_hi_u32 s21, s9, 36
	s_mul_i32 s9, s9, 36
	s_addc_u32 s18, s19, s8
	v_add_u32_e32 v1, v2, v9
	s_add_u32 s8, s4, s9
	v_lshrrev_b32_e32 v1, 1, v1
	s_addc_u32 s9, s18, s21
	v_lshlrev_b32_e32 v0, 1, v9
	v_mad_u64_u32 v[4:5], s[8:9], v1, 36, s[8:9]
	v_and_b32_e32 v2, 2, v0
	s_add_i32 s8, s7, 1
	v_lshlrev_b32_e32 v0, 1, v2
	v_mov_b32_e32 v3, 0
	v_lshlrev_b32_e32 v12, 2, v2
	s_mul_i32 s12, s7, s5
	v_and_b32_e32 v2, 1, v9
	s_add_i32 s4, s11, s13
	s_mul_i32 s5, s5, s8
	v_or_b32_e32 v13, 4, v12
	v_lshlrev_b32_e32 v2, 3, v2
	s_add_i32 s11, s4, s5
	s_add_i32 s12, s4, s12
	s_mov_b64 s[4:5], 0
	s_mov_b32 s13, 0x1000706
	v_lshlrev_b32_e32 v6, 1, v0
	v_mov_b32_e32 v7, v3
	s_mov_b64 s[8:9], 0x900
	v_mov_b32_e32 v0, v3
	v_mov_b32_e32 v1, v3
.LBB38_9:                               ; =>This Inner Loop Header: Depth=1
	v_lshl_add_u64 v[14:15], v[4:5], 0, v[2:3]
	v_add_u32_e32 v20, s12, v11
	global_load_dword v24, v[4:5], off
	global_load_dwordx2 v[16:17], v[14:15], off offset:4
	global_load_dwordx2 v[18:19], v[14:15], off offset:20
	v_mad_i64_i32 v[14:15], s[18:19], v20, 22, s[16:17]
	global_load_dword v27, v[14:15], off
	global_load_ushort v28, v[14:15], off offset:4
	v_add_u32_e32 v21, s11, v11
	v_mad_i64_i32 v[20:21], s[18:19], v21, 22, s[16:17]
	v_lshl_add_u64 v[14:15], v[14:15], 0, v[6:7]
	v_lshl_add_u64 v[22:23], v[20:21], 0, v[6:7]
	global_load_dword v29, v[14:15], off offset:6
	global_load_dword v30, v[14:15], off offset:10
	global_load_dword v31, v[20:21], off
	global_load_ushort v32, v[20:21], off offset:4
	global_load_dword v33, v[22:23], off offset:6
	global_load_dword v34, v[22:23], off offset:10
	v_mov_b32_e32 v25, 0
	v_mov_b32_e32 v26, 0
	v_add_u32_e32 v11, 64, v11
	v_cmp_le_u32_e32 vcc, s15, v11
	v_lshl_add_u64 v[4:5], v[4:5], 0, s[8:9]
	s_or_b64 s[4:5], vcc, s[4:5]
	s_waitcnt vmcnt(10)
	v_cvt_f32_f16_e32 v14, v24
	v_cvt_f32_f16_sdwa v15, v24 dst_sel:DWORD dst_unused:UNUSED_PAD src0_sel:WORD_1
	s_waitcnt vmcnt(7)
	v_cvt_f32_f16_e32 v20, v27
	s_waitcnt vmcnt(6)
	v_perm_b32 v21, v27, v28, s13
	v_ashrrev_i32_e32 v22, v12, v21
	v_ashrrev_i32_e32 v21, v13, v21
	s_waitcnt vmcnt(5)
	v_and_b32_e32 v23, 0xf0f0f0f, v29
	v_lshrrev_b32_e32 v24, 4, v29
	s_waitcnt vmcnt(2)
	v_perm_b32 v29, v31, v32, s13
	v_lshlrev_b32_e32 v35, 4, v22
	v_lshlrev_b32_e32 v36, 11, v22
	v_lshrrev_b32_e32 v39, 12, v22
	v_lshrrev_b32_e32 v40, 5, v22
	v_lshlrev_b32_e32 v41, 2, v22
	v_lshlrev_b32_e32 v42, 4, v21
	;; [unrolled: 1-line block ×4, first 2 shown]
	v_ashrrev_i32_e32 v49, v12, v29
	v_lshlrev_b32_e32 v37, 18, v22
	v_lshlrev_b32_e32 v38, 25, v22
	v_lshlrev_b32_e32 v22, 9, v22
	v_lshlrev_b32_e32 v45, 25, v21
	v_lshrrev_b32_e32 v46, 12, v21
	v_lshrrev_b32_e32 v47, 5, v21
	v_lshlrev_b32_e32 v48, 2, v21
	v_and_b32_e32 v35, 16, v35
	v_and_b32_e32 v36, 0x1000, v36
	;; [unrolled: 1-line block ×8, first 2 shown]
	v_lshlrev_b32_e32 v50, 4, v49
	v_lshlrev_b32_e32 v51, 11, v49
	v_and_b32_e32 v27, 0xf0f0f0f, v30
	v_lshrrev_b32_e32 v28, 4, v30
	s_waitcnt vmcnt(1)
	v_and_b32_e32 v30, 0xf0f0f0f, v33
	v_and_b32_e32 v24, 0xf0f0f0f, v24
	v_lshlrev_b32_e32 v21, 9, v21
	v_ashrrev_i32_e32 v29, v13, v29
	v_and_b32_e32 v37, 0x100000, v37
	v_and_b32_e32 v38, 0x10000000, v38
	;; [unrolled: 1-line block ×7, first 2 shown]
	v_lshlrev_b32_e32 v52, 18, v49
	v_lshlrev_b32_e32 v53, 25, v49
	v_lshrrev_b32_e32 v54, 12, v49
	v_lshrrev_b32_e32 v55, 5, v49
	v_lshlrev_b32_e32 v56, 2, v49
	v_or3_b32 v23, v35, v23, v36
	v_or3_b32 v39, v40, v39, v41
	;; [unrolled: 1-line block ×3, first 2 shown]
	v_and_b32_e32 v43, 16, v50
	v_and_b32_e32 v44, 0x1000, v51
	v_lshrrev_b32_e32 v32, 4, v33
	v_and_b32_e32 v28, 0xf0f0f0f, v28
	v_and_b32_e32 v21, 0x10000000, v21
	v_lshlrev_b32_e32 v49, 9, v49
	v_lshlrev_b32_e32 v57, 4, v29
	;; [unrolled: 1-line block ×4, first 2 shown]
	v_or3_b32 v42, v47, v46, v48
	v_and_b32_e32 v46, 0x100000, v52
	v_and_b32_e32 v47, 0x10000000, v53
	;; [unrolled: 1-line block ×5, first 2 shown]
	v_or3_b32 v23, v23, v37, v38
	v_or3_b32 v22, v39, v22, v24
	;; [unrolled: 1-line block ×4, first 2 shown]
	v_and_b32_e32 v32, 0xf0f0f0f, v32
	v_lshlrev_b32_e32 v60, 25, v29
	v_lshrrev_b32_e32 v35, 12, v29
	v_lshrrev_b32_e32 v36, 5, v29
	v_lshlrev_b32_e32 v40, 2, v29
	v_and_b32_e32 v49, 0x10000000, v49
	v_and_b32_e32 v52, 16, v57
	;; [unrolled: 1-line block ×4, first 2 shown]
	v_or3_b32 v21, v42, v21, v28
	v_or3_b32 v28, v50, v48, v51
	v_dot4c_i32_i8_e32 v25, v23, v16
	v_or3_b32 v23, v27, v46, v47
	s_waitcnt vmcnt(0)
	v_and_b32_e32 v33, 0xf0f0f0f, v34
	v_lshrrev_b32_e32 v34, 4, v34
	v_lshlrev_b32_e32 v29, 9, v29
	v_and_b32_e32 v55, 0x10000000, v60
	v_and_b32_e32 v35, 16, v35
	;; [unrolled: 1-line block ×4, first 2 shown]
	v_or3_b32 v30, v53, v52, v54
	v_or3_b32 v27, v28, v49, v32
	v_dot4c_i32_i8_e32 v26, v23, v16
	v_and_b32_e32 v34, 0xf0f0f0f, v34
	v_and_b32_e32 v29, 0x10000000, v29
	v_or3_b32 v35, v36, v35, v40
	v_or3_b32 v28, v30, v55, v33
	v_dot4c_i32_i8_e32 v25, v22, v18
	v_dot4c_i32_i8_e32 v26, v27, v18
	v_or3_b32 v29, v35, v29, v34
	v_dot4c_i32_i8_e32 v25, v24, v17
	v_dot4c_i32_i8_e32 v26, v28, v17
	;; [unrolled: 1-line block ×4, first 2 shown]
	v_cvt_f32_f16_e32 v21, v31
	v_mul_f32_e32 v18, 0x41000000, v15
	v_cvt_f32_i32_e32 v16, v25
	v_cvt_f32_i32_e32 v17, v26
	v_pk_fma_f32 v[14:15], v[14:15], v[16:17], v[18:19] op_sel_hi:[0,1,0] neg_lo:[0,0,1] neg_hi:[0,0,1]
	v_pk_fma_f32 v[0:1], v[14:15], v[20:21], v[0:1]
	s_andn2_b64 exec, exec, s[4:5]
	s_cbranch_execnz .LBB38_9
; %bb.10:
	s_or_b64 exec, exec, s[4:5]
	ds_write2_b32 v8, v0, v1 offset1:1
.LBB38_11:
	s_or_b64 exec, exec, s[0:1]
	v_cmp_eq_u32_e32 vcc, 0, v10
	v_cmp_ne_u32_e64 s[0:1], 0, v10
	v_lshlrev_b32_e32 v2, 2, v9
	s_and_saveexec_b64 s[4:5], s[0:1]
	s_cbranch_execz .LBB38_13
; %bb.12:
	v_lshl_or_b32 v3, v10, 9, v2
	v_add_u32_e32 v3, 0xfffffe00, v3
	ds_write2st64_b32 v3, v0, v1 offset1:1
.LBB38_13:
	s_or_b64 exec, exec, s[4:5]
	s_waitcnt lgkmcnt(0)
	s_barrier
	s_and_saveexec_b64 s[0:1], vcc
	s_cbranch_execz .LBB38_16
; %bb.14:
	v_mbcnt_lo_u32_b32 v0, -1, 0
	v_mbcnt_hi_u32_b32 v3, -1, v0
	v_and_b32_e32 v0, 64, v3
	v_add_u32_e32 v6, 64, v0
	ds_read2st64_b32 v[0:1], v2 offset1:1
	ds_read2_b32 v[4:5], v8 offset1:1
	v_xor_b32_e32 v7, 32, v3
	v_cmp_lt_i32_e32 vcc, v7, v6
	s_load_dword s0, s[2:3], 0x58
	s_mov_b32 s5, 0
	v_cndmask_b32_e32 v7, v3, v7, vcc
	v_lshlrev_b32_e32 v7, 2, v7
	s_waitcnt lgkmcnt(0)
	v_pk_add_f32 v[0:1], v[0:1], v[4:5]
	ds_bpermute_b32 v4, v7, v0
	ds_bpermute_b32 v5, v7, v1
	v_xor_b32_e32 v7, 16, v3
	v_cmp_lt_i32_e32 vcc, v7, v6
	s_waitcnt lgkmcnt(0)
	v_pk_add_f32 v[0:1], v[0:1], v[4:5]
	v_cndmask_b32_e32 v7, v3, v7, vcc
	v_lshlrev_b32_e32 v7, 2, v7
	ds_bpermute_b32 v4, v7, v0
	ds_bpermute_b32 v5, v7, v1
	v_xor_b32_e32 v7, 8, v3
	v_cmp_lt_i32_e32 vcc, v7, v6
	s_waitcnt lgkmcnt(0)
	v_pk_add_f32 v[0:1], v[0:1], v[4:5]
	v_cndmask_b32_e32 v7, v3, v7, vcc
	v_lshlrev_b32_e32 v7, 2, v7
	ds_bpermute_b32 v4, v7, v0
	ds_bpermute_b32 v5, v7, v1
	v_xor_b32_e32 v7, 4, v3
	v_cmp_lt_i32_e32 vcc, v7, v6
	s_waitcnt lgkmcnt(0)
	v_pk_add_f32 v[0:1], v[0:1], v[4:5]
	v_cndmask_b32_e32 v7, v3, v7, vcc
	v_lshlrev_b32_e32 v7, 2, v7
	ds_bpermute_b32 v4, v7, v0
	ds_bpermute_b32 v5, v7, v1
	v_xor_b32_e32 v7, 2, v3
	v_cmp_lt_i32_e32 vcc, v7, v6
	s_waitcnt lgkmcnt(0)
	v_pk_add_f32 v[0:1], v[0:1], v[4:5]
	v_cndmask_b32_e32 v7, v3, v7, vcc
	v_lshlrev_b32_e32 v7, 2, v7
	ds_bpermute_b32 v4, v7, v0
	ds_bpermute_b32 v5, v7, v1
	v_xor_b32_e32 v7, 1, v3
	v_cmp_lt_i32_e32 vcc, v7, v6
	s_waitcnt lgkmcnt(0)
	v_pk_add_f32 v[0:1], v[0:1], v[4:5]
	v_cndmask_b32_e32 v3, v3, v7, vcc
	v_lshlrev_b32_e32 v3, 2, v3
	ds_bpermute_b32 v4, v3, v0
	ds_bpermute_b32 v5, v3, v1
	v_cmp_gt_u32_e32 vcc, 2, v9
	s_waitcnt lgkmcnt(0)
	v_pk_add_f32 v[0:1], v[0:1], v[4:5]
	ds_write2_b32 v8, v0, v1 offset1:1
	v_or_b32_e32 v0, s7, v9
	v_cmp_gt_u32_e64 s[0:1], s0, v0
	s_and_b64 s[0:1], vcc, s[0:1]
	s_and_b64 exec, exec, s[0:1]
	s_cbranch_execz .LBB38_16
; %bb.15:
	s_load_dwordx2 s[0:1], s[2:3], 0x38
	s_mul_i32 s2, s20, s10
	v_add_u32_e32 v0, v8, v2
	s_add_i32 s2, s2, s7
	s_mul_i32 s6, s6, s14
	ds_read_b32 v0, v0
	s_add_i32 s4, s2, s6
	s_lshl_b64 s[2:3], s[4:5], 2
	s_waitcnt lgkmcnt(0)
	s_add_u32 s0, s0, s2
	s_addc_u32 s1, s1, s3
	global_store_dword v2, v0, s[0:1]
.LBB38_16:
	s_endpgm
	.section	.rodata,"a",@progbits
	.p2align	6, 0x0
	.amdhsa_kernel _ZL13mul_mat_vec_qIL9ggml_type6ELi1ELb0ELb1EEvPKvS2_PKi31ggml_cuda_mm_fusion_args_devicePfj15HIP_vector_typeIjLj3EEjjjS8_jjjS8_jjjj
		.amdhsa_group_segment_fixed_size 1536
		.amdhsa_private_segment_fixed_size 0
		.amdhsa_kernarg_size 144
		.amdhsa_user_sgpr_count 4
		.amdhsa_user_sgpr_dispatch_ptr 1
		.amdhsa_user_sgpr_queue_ptr 0
		.amdhsa_user_sgpr_kernarg_segment_ptr 1
		.amdhsa_user_sgpr_dispatch_id 0
		.amdhsa_user_sgpr_kernarg_preload_length 0
		.amdhsa_user_sgpr_kernarg_preload_offset 0
		.amdhsa_user_sgpr_private_segment_size 0
		.amdhsa_uses_dynamic_stack 0
		.amdhsa_enable_private_segment 0
		.amdhsa_system_sgpr_workgroup_id_x 1
		.amdhsa_system_sgpr_workgroup_id_y 1
		.amdhsa_system_sgpr_workgroup_id_z 1
		.amdhsa_system_sgpr_workgroup_info 0
		.amdhsa_system_vgpr_workitem_id 2
		.amdhsa_next_free_vgpr 61
		.amdhsa_next_free_sgpr 24
		.amdhsa_accum_offset 64
		.amdhsa_reserve_vcc 1
		.amdhsa_float_round_mode_32 0
		.amdhsa_float_round_mode_16_64 0
		.amdhsa_float_denorm_mode_32 3
		.amdhsa_float_denorm_mode_16_64 3
		.amdhsa_dx10_clamp 1
		.amdhsa_ieee_mode 1
		.amdhsa_fp16_overflow 0
		.amdhsa_tg_split 0
		.amdhsa_exception_fp_ieee_invalid_op 0
		.amdhsa_exception_fp_denorm_src 0
		.amdhsa_exception_fp_ieee_div_zero 0
		.amdhsa_exception_fp_ieee_overflow 0
		.amdhsa_exception_fp_ieee_underflow 0
		.amdhsa_exception_fp_ieee_inexact 0
		.amdhsa_exception_int_div_zero 0
	.end_amdhsa_kernel
	.section	.text._ZL13mul_mat_vec_qIL9ggml_type6ELi1ELb0ELb1EEvPKvS2_PKi31ggml_cuda_mm_fusion_args_devicePfj15HIP_vector_typeIjLj3EEjjjS8_jjjS8_jjjj,"axG",@progbits,_ZL13mul_mat_vec_qIL9ggml_type6ELi1ELb0ELb1EEvPKvS2_PKi31ggml_cuda_mm_fusion_args_devicePfj15HIP_vector_typeIjLj3EEjjjS8_jjjS8_jjjj,comdat
.Lfunc_end38:
	.size	_ZL13mul_mat_vec_qIL9ggml_type6ELi1ELb0ELb1EEvPKvS2_PKi31ggml_cuda_mm_fusion_args_devicePfj15HIP_vector_typeIjLj3EEjjjS8_jjjS8_jjjj, .Lfunc_end38-_ZL13mul_mat_vec_qIL9ggml_type6ELi1ELb0ELb1EEvPKvS2_PKi31ggml_cuda_mm_fusion_args_devicePfj15HIP_vector_typeIjLj3EEjjjS8_jjjS8_jjjj
                                        ; -- End function
	.section	.AMDGPU.csdata,"",@progbits
; Kernel info:
; codeLenInByte = 1880
; NumSgprs: 30
; NumVgprs: 61
; NumAgprs: 0
; TotalNumVgprs: 61
; ScratchSize: 0
; MemoryBound: 0
; FloatMode: 240
; IeeeMode: 1
; LDSByteSize: 1536 bytes/workgroup (compile time only)
; SGPRBlocks: 3
; VGPRBlocks: 7
; NumSGPRsForWavesPerEU: 30
; NumVGPRsForWavesPerEU: 61
; AccumOffset: 64
; Occupancy: 8
; WaveLimiterHint : 0
; COMPUTE_PGM_RSRC2:SCRATCH_EN: 0
; COMPUTE_PGM_RSRC2:USER_SGPR: 4
; COMPUTE_PGM_RSRC2:TRAP_HANDLER: 0
; COMPUTE_PGM_RSRC2:TGID_X_EN: 1
; COMPUTE_PGM_RSRC2:TGID_Y_EN: 1
; COMPUTE_PGM_RSRC2:TGID_Z_EN: 1
; COMPUTE_PGM_RSRC2:TIDIG_COMP_CNT: 2
; COMPUTE_PGM_RSRC3_GFX90A:ACCUM_OFFSET: 15
; COMPUTE_PGM_RSRC3_GFX90A:TG_SPLIT: 0
	.section	.text._ZL13mul_mat_vec_qIL9ggml_type6ELi1ELb1ELb0EEvPKvS2_PKi31ggml_cuda_mm_fusion_args_devicePfj15HIP_vector_typeIjLj3EEjjjS8_jjjS8_jjjj,"axG",@progbits,_ZL13mul_mat_vec_qIL9ggml_type6ELi1ELb1ELb0EEvPKvS2_PKi31ggml_cuda_mm_fusion_args_devicePfj15HIP_vector_typeIjLj3EEjjjS8_jjjS8_jjjj,comdat
	.globl	_ZL13mul_mat_vec_qIL9ggml_type6ELi1ELb1ELb0EEvPKvS2_PKi31ggml_cuda_mm_fusion_args_devicePfj15HIP_vector_typeIjLj3EEjjjS8_jjjS8_jjjj ; -- Begin function _ZL13mul_mat_vec_qIL9ggml_type6ELi1ELb1ELb0EEvPKvS2_PKi31ggml_cuda_mm_fusion_args_devicePfj15HIP_vector_typeIjLj3EEjjjS8_jjjS8_jjjj
	.p2align	8
	.type	_ZL13mul_mat_vec_qIL9ggml_type6ELi1ELb1ELb0EEvPKvS2_PKi31ggml_cuda_mm_fusion_args_devicePfj15HIP_vector_typeIjLj3EEjjjS8_jjjS8_jjjj,@function
_ZL13mul_mat_vec_qIL9ggml_type6ELi1ELb1ELb0EEvPKvS2_PKi31ggml_cuda_mm_fusion_args_devicePfj15HIP_vector_typeIjLj3EEjjjS8_jjjS8_jjjj: ; @_ZL13mul_mat_vec_qIL9ggml_type6ELi1ELb1ELb0EEvPKvS2_PKi31ggml_cuda_mm_fusion_args_devicePfj15HIP_vector_typeIjLj3EEjjjS8_jjjS8_jjjj
; %bb.0:
	s_load_dwordx8 s[16:23], s[0:1], 0x0
	s_load_dwordx4 s[36:39], s[0:1], 0x20
	s_load_dwordx4 s[8:11], s[0:1], 0x40
	;; [unrolled: 1-line block ×3, first 2 shown]
	s_mov_b32 s14, s3
	s_waitcnt lgkmcnt(0)
	s_cmp_lg_u64 s[20:21], 0
	s_cselect_b64 s[6:7], -1, 0
	s_cmp_eq_u64 s[20:21], 0
	s_mov_b64 s[12:13], 0
	s_cbranch_scc1 .LBB39_5
; %bb.1:
	s_mov_b32 s15, 0
	s_lshl_b64 s[28:29], s[14:15], 2
	s_add_u32 s20, s20, s28
	s_addc_u32 s21, s21, s29
	s_load_dword s5, s[20:21], 0x0
	s_load_dword s15, s[0:1], 0x50
	;; [unrolled: 1-line block ×3, first 2 shown]
	s_andn2_b64 vcc, exec, s[12:13]
	s_cbranch_vccnz .LBB39_3
.LBB39_2:
	s_load_dwordx2 s[12:13], s[0:1], 0x5c
	s_waitcnt lgkmcnt(0)
	s_mul_hi_u32 s3, s12, s14
	s_add_i32 s3, s14, s3
	s_lshr_b32 s5, s3, s13
.LBB39_3:
	s_andn2_b64 vcc, exec, s[6:7]
	s_cbranch_vccnz .LBB39_6
; %bb.4:
	s_mul_hi_u32 s3, s9, s14
	s_add_i32 s3, s14, s3
	s_lshr_b32 s3, s3, s10
	s_mul_i32 s3, s3, s11
	s_sub_i32 s34, s14, s3
	s_waitcnt lgkmcnt(0)
	s_mov_b32 s3, s5
	s_branch .LBB39_7
.LBB39_5:
                                        ; implicit-def: $sgpr5
	s_load_dword s15, s[0:1], 0x50
	s_load_dword s33, s[0:1], 0x78
	s_branch .LBB39_2
.LBB39_6:
	s_mov_b32 s3, s14
	s_mov_b32 s34, s14
.LBB39_7:
	s_load_dwordx4 s[28:31], s[0:1], 0x80
	v_bfe_u32 v20, v0, 10, 10
	v_and_b32_e32 v17, 0x3ff, v0
	s_cmp_lg_u64 s[22:23], 0
	v_or_b32_e32 v0, v20, v17
	s_cselect_b64 s[12:13], -1, 0
	v_cmp_eq_u32_e32 vcc, 0, v0
	s_mov_b32 s21, 0
	s_and_b64 s[40:41], vcc, s[12:13]
	v_mov_b32_e32 v18, 0
	s_mul_i32 s10, s3, s26
	v_lshlrev_b32_e32 v16, 2, v17
	v_mov_b32_e32 v19, 0
	s_and_saveexec_b64 s[6:7], s[40:41]
	s_cbranch_execz .LBB39_9
; %bb.8:
	s_waitcnt lgkmcnt(0)
	s_mul_i32 s20, s4, s30
	s_lshl_b64 s[40:41], s[20:21], 2
	s_add_u32 s3, s22, s40
	s_mov_b32 s11, s21
	s_addc_u32 s9, s23, s41
	s_lshl_b64 s[20:21], s[10:11], 2
	s_add_u32 s11, s3, s20
	s_addc_u32 s9, s9, s21
	s_ashr_i32 s3, s2, 31
	s_lshl_b64 s[20:21], s[2:3], 2
	s_add_u32 s20, s11, s20
	s_addc_u32 s21, s9, s21
	global_load_dword v19, v16, s[20:21]
.LBB39_9:
	s_or_b64 exec, exec, s[6:7]
	s_cmp_lg_u64 s[36:37], 0
	s_cselect_b64 s[20:21], -1, 0
	s_cmp_lg_u64 s[38:39], 0
	s_cselect_b64 s[6:7], -1, 0
	s_and_b64 s[22:23], s[6:7], s[20:21]
	s_and_b64 s[40:41], vcc, s[22:23]
	s_and_saveexec_b64 s[22:23], s[40:41]
	s_cbranch_execz .LBB39_11
; %bb.10:
	s_waitcnt lgkmcnt(0)
	s_mul_i32 s40, s4, s30
	s_mov_b32 s41, 0
	s_lshl_b64 s[42:43], s[40:41], 2
	s_add_u32 s3, s38, s42
	s_mov_b32 s11, s41
	s_addc_u32 s9, s39, s43
	s_lshl_b64 s[10:11], s[10:11], 2
	s_add_u32 s31, s3, s10
	s_addc_u32 s9, s9, s11
	s_ashr_i32 s3, s2, 31
	s_lshl_b64 s[10:11], s[2:3], 2
	s_add_u32 s10, s31, s10
	s_addc_u32 s11, s9, s11
	global_load_dword v18, v16, s[10:11]
.LBB39_11:
	s_or_b64 exec, exec, s[22:23]
	v_lshlrev_b32_e32 v0, 6, v20
	v_xor_b32_e32 v2, v0, v17
	v_and_b32_e32 v1, v0, v17
	v_lshrrev_b16_e32 v2, 1, v2
	s_lshr_b32 s3, s8, 5
	v_add_u16_e32 v23, v1, v2
	v_cndmask_b32_e64 v1, 0, 1, s[20:21]
	v_cmp_gt_u32_e32 vcc, s3, v23
	v_mov_b32_e32 v22, 0
	v_cmp_ne_u32_e64 s[8:9], 1, v1
	v_mov_b32_e32 v21, 0
	s_and_saveexec_b64 s[10:11], vcc
	s_cbranch_execz .LBB39_17
; %bb.12:
	s_mul_hi_u32 s22, s27, s4
	s_add_i32 s22, s4, s22
	s_waitcnt lgkmcnt(0)
	s_lshr_b32 s22, s22, s33
	s_mul_i32 s5, s5, s24
	s_mul_i32 s22, s22, s28
	;; [unrolled: 1-line block ×4, first 2 shown]
	s_add_i32 s5, s22, s5
	s_add_i32 s5, s5, s15
	s_mul_hi_u32 s22, s20, 36
	s_mul_i32 s20, s20, 36
	s_mul_i32 s21, s34, s25
	s_add_u32 s18, s18, s20
	s_mul_hi_u32 s15, s21, 36
	s_mul_i32 s21, s21, 36
	s_addc_u32 s19, s19, s22
	v_add_u32_e32 v2, v0, v17
	v_lshlrev_b32_e32 v0, 1, v17
	s_add_u32 s18, s18, s21
	v_and_b32_e32 v0, 2, v0
	v_lshrrev_b32_e32 v2, 1, v2
	s_addc_u32 s19, s19, s15
	v_lshlrev_b32_e32 v4, 1, v0
	v_mov_b32_e32 v1, 0
	v_lshlrev_b32_e32 v24, 2, v0
	v_and_b32_e32 v0, 1, v17
	v_mad_u64_u32 v[2:3], s[18:19], v2, 36, s[18:19]
	v_or_b32_e32 v25, 4, v24
	v_lshlrev_b32_e32 v0, 3, v0
	s_mov_b64 s[18:19], 0
	s_mov_b32 s15, 0x1000706
	v_lshlrev_b32_e32 v4, 1, v4
	v_mov_b32_e32 v5, v1
	v_mov_b32_e32 v7, 0x41000000
	s_mov_b64 s[20:21], 0x900
	v_mov_b32_e32 v22, v1
	v_mov_b32_e32 v21, v1
	s_branch .LBB39_14
.LBB39_13:                              ;   in Loop: Header=BB39_14 Depth=1
	v_add_u32_e32 v23, 64, v23
	v_sub_f32_e32 v6, v14, v15
	v_cmp_le_u32_e32 vcc, s3, v23
	v_fma_mix_f32 v22, v6, v26, v22 op_sel_hi:[0,1,0]
	s_or_b64 s[18:19], vcc, s[18:19]
	v_lshl_add_u64 v[2:3], v[2:3], 0, s[20:21]
	s_andn2_b64 exec, exec, s[18:19]
	s_cbranch_execz .LBB39_16
.LBB39_14:                              ; =>This Inner Loop Header: Depth=1
	v_add_u32_e32 v27, s5, v23
	v_mad_i64_i32 v[8:9], s[22:23], v27, 22, s[16:17]
	global_load_dword v14, v[2:3], off
	global_load_dword v26, v[8:9], off
	global_load_ushort v6, v[8:9], off offset:4
	v_lshl_add_u64 v[8:9], v[8:9], 0, v[4:5]
	global_load_dword v15, v[8:9], off offset:6
	global_load_dword v28, v[8:9], off offset:10
	v_lshl_add_u64 v[12:13], v[2:3], 0, v[0:1]
	global_load_dwordx2 v[10:11], v[12:13], off offset:4
	global_load_dwordx2 v[8:9], v[12:13], off offset:20
	v_mov_b32_e32 v12, 0
	s_and_b64 vcc, exec, s[8:9]
	s_waitcnt vmcnt(6)
	v_cvt_f32_f16_sdwa v13, v14 dst_sel:DWORD dst_unused:UNUSED_PAD src0_sel:WORD_1
	s_waitcnt vmcnt(4)
	v_perm_b32 v6, v26, v6, s15
	v_ashrrev_i32_e32 v29, v24, v6
	v_lshlrev_b32_e32 v32, 4, v29
	v_lshlrev_b32_e32 v33, 11, v29
	v_ashrrev_i32_e32 v6, v25, v6
	s_waitcnt vmcnt(3)
	v_and_b32_e32 v30, 0xf0f0f0f, v15
	v_lshlrev_b32_e32 v34, 18, v29
	v_lshlrev_b32_e32 v35, 25, v29
	v_lshrrev_b32_e32 v36, 12, v29
	v_lshrrev_b32_e32 v37, 5, v29
	v_lshlrev_b32_e32 v38, 2, v29
	v_and_b32_e32 v32, 16, v32
	v_and_b32_e32 v33, 0x1000, v33
	v_lshrrev_b32_e32 v15, 4, v15
	v_lshlrev_b32_e32 v29, 9, v29
	v_lshlrev_b32_e32 v39, 4, v6
	;; [unrolled: 1-line block ×4, first 2 shown]
	v_and_b32_e32 v34, 0x100000, v34
	v_and_b32_e32 v35, 0x10000000, v35
	;; [unrolled: 1-line block ×5, first 2 shown]
	v_or3_b32 v30, v32, v30, v33
	v_and_b32_e32 v15, 0xf0f0f0f, v15
	v_lshlrev_b32_e32 v42, 25, v6
	v_lshrrev_b32_e32 v43, 12, v6
	v_lshrrev_b32_e32 v44, 5, v6
	v_lshlrev_b32_e32 v45, 2, v6
	v_and_b32_e32 v29, 0x10000000, v29
	v_and_b32_e32 v39, 16, v39
	;; [unrolled: 1-line block ×4, first 2 shown]
	v_or3_b32 v32, v37, v36, v38
	v_or3_b32 v30, v30, v34, v35
	s_waitcnt vmcnt(2)
	v_and_b32_e32 v31, 0xf0f0f0f, v28
	v_lshrrev_b32_e32 v28, 4, v28
	v_lshlrev_b32_e32 v6, 9, v6
	v_and_b32_e32 v42, 0x10000000, v42
	v_and_b32_e32 v43, 16, v43
	;; [unrolled: 1-line block ×4, first 2 shown]
	v_or3_b32 v33, v40, v39, v41
	v_or3_b32 v15, v32, v29, v15
	s_waitcnt vmcnt(1)
	v_dot4c_i32_i8_e32 v12, v30, v10
	v_and_b32_e32 v28, 0xf0f0f0f, v28
	v_and_b32_e32 v6, 0x10000000, v6
	v_or3_b32 v36, v44, v43, v45
	v_or3_b32 v29, v33, v42, v31
	s_waitcnt vmcnt(0)
	v_dot4c_i32_i8_e32 v12, v15, v8
	v_or3_b32 v6, v36, v6, v28
	v_dot4c_i32_i8_e32 v12, v29, v11
	v_dot4c_i32_i8_e32 v12, v6, v9
	s_nop 2
	v_cvt_f32_i32_e32 v6, v12
	v_cvt_f32_f16_e32 v12, v14
	v_pk_mul_f32 v[14:15], v[6:7], v[12:13]
	s_cbranch_vccnz .LBB39_13
; %bb.15:                               ;   in Loop: Header=BB39_14 Depth=1
	v_mad_i64_i32 v[28:29], s[22:23], v27, 22, s[36:37]
	global_load_dword v6, v[28:29], off
	global_load_ushort v13, v[28:29], off offset:4
	v_lshl_add_u64 v[28:29], v[28:29], 0, v[4:5]
	global_load_dword v27, v[28:29], off offset:6
	global_load_dword v30, v[28:29], off offset:10
	v_mov_b32_e32 v28, 0
	s_waitcnt vmcnt(2)
	v_perm_b32 v13, v6, v13, s15
	v_ashrrev_i32_e32 v29, v24, v13
	v_lshlrev_b32_e32 v33, 4, v29
	v_lshlrev_b32_e32 v34, 11, v29
	v_ashrrev_i32_e32 v13, v25, v13
	s_waitcnt vmcnt(1)
	v_and_b32_e32 v31, 0xf0f0f0f, v27
	v_lshlrev_b32_e32 v35, 18, v29
	v_lshlrev_b32_e32 v36, 25, v29
	v_lshrrev_b32_e32 v37, 12, v29
	v_lshrrev_b32_e32 v38, 5, v29
	v_lshlrev_b32_e32 v39, 2, v29
	v_and_b32_e32 v33, 16, v33
	v_and_b32_e32 v34, 0x1000, v34
	v_lshrrev_b32_e32 v27, 4, v27
	v_lshlrev_b32_e32 v29, 9, v29
	v_lshlrev_b32_e32 v40, 4, v13
	;; [unrolled: 1-line block ×4, first 2 shown]
	v_and_b32_e32 v35, 0x100000, v35
	v_and_b32_e32 v36, 0x10000000, v36
	;; [unrolled: 1-line block ×5, first 2 shown]
	v_or3_b32 v31, v33, v31, v34
	v_and_b32_e32 v27, 0xf0f0f0f, v27
	v_lshlrev_b32_e32 v43, 25, v13
	v_lshrrev_b32_e32 v44, 12, v13
	v_lshrrev_b32_e32 v45, 5, v13
	v_lshlrev_b32_e32 v46, 2, v13
	v_and_b32_e32 v29, 0x10000000, v29
	v_and_b32_e32 v40, 16, v40
	;; [unrolled: 1-line block ×4, first 2 shown]
	v_or3_b32 v33, v38, v37, v39
	v_or3_b32 v31, v31, v35, v36
	s_waitcnt vmcnt(0)
	v_and_b32_e32 v32, 0xf0f0f0f, v30
	v_lshrrev_b32_e32 v30, 4, v30
	v_lshlrev_b32_e32 v13, 9, v13
	v_and_b32_e32 v43, 0x10000000, v43
	v_and_b32_e32 v44, 16, v44
	v_and_b32_e32 v45, 0x1000, v45
	v_and_b32_e32 v46, 0x100000, v46
	v_or3_b32 v34, v41, v40, v42
	v_or3_b32 v27, v33, v29, v27
	v_dot4c_i32_i8_e32 v28, v31, v10
	v_and_b32_e32 v30, 0xf0f0f0f, v30
	v_and_b32_e32 v13, 0x10000000, v13
	v_or3_b32 v37, v45, v44, v46
	v_or3_b32 v29, v34, v43, v32
	v_dot4c_i32_i8_e32 v28, v27, v8
	v_dot4c_i32_i8_e32 v28, v29, v11
	v_or3_b32 v8, v37, v13, v30
	v_dot4c_i32_i8_e32 v28, v8, v9
	s_nop 2
	v_cvt_f32_i32_e32 v8, v28
	v_fma_f32 v8, v12, v8, -v15
	v_fma_mix_f32 v21, v8, v6, v21 op_sel_hi:[0,1,0]
	s_branch .LBB39_13
.LBB39_16:
	s_or_b64 exec, exec, s[18:19]
.LBB39_17:
	s_or_b64 exec, exec, s[10:11]
	s_load_dword s3, s[0:1], 0x30
	v_cmp_eq_u32_e64 s[10:11], 0, v20
	v_cmp_ne_u32_e32 vcc, 0, v20
	s_and_saveexec_b64 s[16:17], vcc
	s_cbranch_execz .LBB39_20
; %bb.18:
	v_add_u32_e32 v0, -1, v20
	v_lshl_add_u32 v0, v0, 8, v16
	s_and_b64 vcc, exec, s[8:9]
	ds_write_b32 v0, v22
	s_cbranch_vccnz .LBB39_20
; %bb.19:
	ds_write_b32 v0, v21 offset:256
.LBB39_20:
	s_or_b64 exec, exec, s[16:17]
	s_waitcnt lgkmcnt(0)
	s_barrier
	s_and_saveexec_b64 s[16:17], s[10:11]
	s_cbranch_execz .LBB39_49
; %bb.21:
	ds_read_b32 v0, v16
	s_and_b64 vcc, exec, s[8:9]
	s_cbranch_vccnz .LBB39_23
; %bb.22:
	ds_read_b32 v1, v16 offset:256
	s_waitcnt lgkmcnt(0)
	v_add_f32_e32 v21, v21, v1
.LBB39_23:
	s_waitcnt lgkmcnt(0)
	v_add_f32_e32 v1, v22, v0
	v_mbcnt_lo_u32_b32 v0, -1, 0
	v_mbcnt_hi_u32_b32 v4, -1, v0
	v_and_b32_e32 v0, 64, v4
	v_add_u32_e32 v7, 64, v0
	v_xor_b32_e32 v0, 32, v4
	v_cmp_lt_i32_e32 vcc, v0, v7
	v_xor_b32_e32 v3, 16, v4
	v_xor_b32_e32 v5, 8, v4
	v_cndmask_b32_e32 v0, v4, v0, vcc
	v_lshlrev_b32_e32 v0, 2, v0
	ds_bpermute_b32 v2, v0, v1
	v_cmp_lt_i32_e32 vcc, v3, v7
	v_xor_b32_e32 v6, 4, v4
	v_xor_b32_e32 v8, 2, v4
	;; [unrolled: 1-line block ×3, first 2 shown]
	s_waitcnt lgkmcnt(0)
	v_add_f32_e32 v2, v1, v2
	v_cndmask_b32_e32 v1, v4, v3, vcc
	v_lshlrev_b32_e32 v1, 2, v1
	ds_bpermute_b32 v3, v1, v2
	v_cmp_lt_i32_e32 vcc, v5, v7
	s_waitcnt lgkmcnt(0)
	v_add_f32_e32 v2, v2, v3
	v_cndmask_b32_e32 v3, v4, v5, vcc
	v_lshlrev_b32_e32 v3, 2, v3
	ds_bpermute_b32 v5, v3, v2
	v_cmp_lt_i32_e32 vcc, v6, v7
	;; [unrolled: 6-line block ×4, first 2 shown]
	s_waitcnt lgkmcnt(0)
	v_add_f32_e32 v2, v2, v8
	v_cndmask_b32_e32 v4, v4, v9, vcc
	v_lshlrev_b32_e32 v7, 2, v4
	ds_bpermute_b32 v4, v7, v2
	s_and_b64 vcc, exec, s[8:9]
	s_cbranch_vccnz .LBB39_25
; %bb.24:
	ds_bpermute_b32 v0, v0, v21
	s_waitcnt lgkmcnt(0)
	v_add_f32_e32 v0, v21, v0
	ds_bpermute_b32 v1, v1, v0
	s_waitcnt lgkmcnt(0)
	v_add_f32_e32 v0, v0, v1
	;; [unrolled: 3-line block ×6, first 2 shown]
.LBB39_25:
	v_cmp_eq_u32_e32 vcc, 0, v17
	s_and_b64 exec, exec, vcc
	s_cbranch_execz .LBB39_49
; %bb.26:
	s_waitcnt lgkmcnt(0)
	v_add_f32_e32 v0, v2, v4
	s_waitcnt vmcnt(0)
	v_add_f32_e32 v1, v19, v0
	s_and_b64 vcc, exec, s[8:9]
	v_cndmask_b32_e64 v0, v0, v1, s[12:13]
	s_cbranch_vccnz .LBB39_48
; %bb.27:
	v_add_f32_e32 v1, v18, v21
	v_cndmask_b32_e64 v1, v21, v1, s[6:7]
	s_cmp_lt_i32 s3, 2
	s_mov_b64 s[6:7], 0
	s_cbranch_scc1 .LBB39_31
; %bb.28:
	s_cmp_gt_i32 s3, 2
	s_cbranch_scc0 .LBB39_32
; %bb.29:
	s_cmp_eq_u32 s3, 3
	s_cbranch_scc0 .LBB39_33
; %bb.30:
	v_max_f32_e32 v2, v1, v1
	v_min_f32_e32 v4, 0x40e00000, v2
	v_mul_f32_e32 v3, 0xbfd9db23, v4
	s_mov_b32 s5, 0x3fb8aa3b
	v_mul_f32_e32 v2, 0x3fb8aa3b, v3
	v_fma_f32 v5, v3, s5, -v2
	v_rndne_f32_e32 v6, v2
	v_fmamk_f32 v5, v3, 0x32a5705f, v5
	v_sub_f32_e32 v2, v2, v6
	v_add_f32_e32 v2, v2, v5
	v_exp_f32_e32 v5, v2
	v_cvt_i32_f32_e32 v6, v6
	s_mov_b32 s5, 0xc2ce8ed0
	v_max_f32_e32 v2, v0, v0
	v_cmp_ngt_f32_e32 vcc, s5, v3
	v_ldexp_f32 v5, v5, v6
	s_mov_b32 s5, 0x42b17218
	v_min_f32_e32 v2, 0x40e00000, v2
	v_cndmask_b32_e32 v5, 0, v5, vcc
	v_mov_b32_e32 v6, 0x7f800000
	v_cmp_nlt_f32_e32 vcc, s5, v3
	v_max_f32_e32 v2, 0xc0e00000, v2
	s_nop 0
	v_cndmask_b32_e32 v3, v6, v5, vcc
	v_pk_add_f32 v[2:3], v[2:3], 1.0 op_sel_hi:[1,0]
	s_nop 0
	v_div_scale_f32 v5, s[8:9], v3, v3, v4
	v_rcp_f32_e32 v6, v5
	s_mov_b64 s[8:9], 0
	v_fma_f32 v7, -v5, v6, 1.0
	v_fmac_f32_e32 v6, v7, v6
	v_div_scale_f32 v7, vcc, v4, v3, v4
	v_mul_f32_e32 v8, v7, v6
	v_fma_f32 v9, -v5, v8, v7
	v_fmac_f32_e32 v8, v9, v6
	v_fma_f32 v5, -v5, v8, v7
	v_div_fmas_f32 v5, v5, v6, v8
	v_div_fixup_f32 v3, v5, v3, v4
	v_mul_f32_e32 v2, v2, v3
	s_branch .LBB39_34
.LBB39_31:
                                        ; implicit-def: $vgpr2
	s_mov_b64 s[8:9], 0
	s_cbranch_execnz .LBB39_38
	s_branch .LBB39_39
.LBB39_32:
	s_mov_b64 s[10:11], -1
	s_mov_b64 s[8:9], 0
                                        ; implicit-def: $vgpr2
	s_branch .LBB39_35
.LBB39_33:
	s_mov_b64 s[8:9], -1
                                        ; implicit-def: $vgpr2
.LBB39_34:
	s_mov_b64 s[10:11], 0
.LBB39_35:
	s_and_b64 vcc, exec, s[10:11]
	s_cbranch_vccz .LBB39_37
; %bb.36:
	v_mul_f32_e32 v2, 0xbfb8aa3b, v1
	s_mov_b32 s5, 0xbfb8aa3b
	v_rndne_f32_e32 v3, v2
	v_sub_f32_e32 v4, v2, v3
	v_fma_f32 v2, v1, s5, -v2
	v_fmamk_f32 v2, v1, 0xb2a5705f, v2
	v_add_f32_e32 v2, v4, v2
	v_exp_f32_e32 v2, v2
	v_cvt_i32_f32_e32 v3, v3
	s_mov_b32 s5, 0x42ce8ed0
	v_cmp_nlt_f32_e32 vcc, s5, v1
	s_mov_b32 s5, 0xc2b17218
	v_ldexp_f32 v2, v2, v3
	v_cndmask_b32_e32 v2, 0, v2, vcc
	v_mov_b32_e32 v3, 0x7f800000
	v_cmp_ngt_f32_e32 vcc, s5, v1
	s_nop 1
	v_cndmask_b32_e32 v2, v3, v2, vcc
	v_add_f32_e32 v2, 1.0, v2
	v_div_scale_f32 v3, s[10:11], v2, v2, v1
	v_rcp_f32_e32 v4, v3
	s_nop 0
	v_fma_f32 v5, -v3, v4, 1.0
	v_fmac_f32_e32 v4, v5, v4
	v_div_scale_f32 v5, vcc, v1, v2, v1
	v_mul_f32_e32 v6, v5, v4
	v_fma_f32 v7, -v3, v6, v5
	v_fmac_f32_e32 v6, v7, v4
	v_fma_f32 v3, -v3, v6, v5
	v_div_fmas_f32 v3, v3, v4, v6
	v_div_fixup_f32 v2, v3, v2, v1
	v_mul_f32_e32 v2, v0, v2
.LBB39_37:
	s_branch .LBB39_39
.LBB39_38:
	s_cmp_lg_u32 s3, 1
	s_mov_b64 s[6:7], -1
	s_cselect_b64 s[8:9], -1, 0
                                        ; implicit-def: $vgpr2
.LBB39_39:
	s_andn2_b64 vcc, exec, s[8:9]
	s_cbranch_vccz .LBB39_41
; %bb.40:
	s_andn2_b64 vcc, exec, s[6:7]
	s_cbranch_vccz .LBB39_42
	s_branch .LBB39_47
.LBB39_41:
	v_mul_f32_e32 v2, v0, v1
	s_cbranch_execnz .LBB39_47
.LBB39_42:
	v_mul_f32_e32 v3, 0x3d372713, v1
	v_mul_f32_e32 v2, 0x3f4c422a, v1
	v_fma_f32 v3, v1, v3, 1.0
	v_mul_f32_e32 v2, v2, v3
	s_mov_b32 s3, 0x3f200000
	v_cmp_nlt_f32_e64 s[6:7], |v2|, s3
                                        ; implicit-def: $vgpr3
	s_and_saveexec_b64 s[8:9], s[6:7]
	s_xor_b64 s[6:7], exec, s[8:9]
	s_cbranch_execz .LBB39_44
; %bb.43:
	v_add_f32_e64 v3, |v2|, |v2|
	v_mul_f32_e32 v4, 0x3fb8aa3b, v3
	s_mov_b32 s3, 0x3fb8aa3b
	v_rndne_f32_e32 v5, v4
	v_sub_f32_e32 v6, v4, v5
	v_fma_f32 v4, v3, s3, -v4
	v_fmamk_f32 v4, v3, 0x32a5705f, v4
	v_add_f32_e32 v4, v6, v4
	v_exp_f32_e32 v4, v4
	v_cvt_i32_f32_e32 v5, v5
	s_mov_b32 s3, 0xc2ce8ed0
	v_cmp_ngt_f32_e32 vcc, s3, v3
	s_mov_b32 s3, 0x42b17218
	v_ldexp_f32 v4, v4, v5
	v_cndmask_b32_e32 v4, 0, v4, vcc
	v_mov_b32_e32 v5, 0x7f800000
	v_cmp_nlt_f32_e32 vcc, s3, v3
	s_nop 1
	v_cndmask_b32_e32 v3, v5, v4, vcc
	v_add_f32_e32 v3, 1.0, v3
	v_rcp_f32_e32 v3, v3
	s_nop 0
	v_fma_f32 v3, v3, -2.0, 1.0
.LBB39_44:
	s_andn2_saveexec_b64 s[6:7], s[6:7]
; %bb.45:
	v_mul_f32_e32 v3, v2, v2
	v_mov_b32_e32 v4, 0x3ca908c9
	v_fmac_f32_e32 v4, 0xbbbac73d, v3
	v_fmaak_f32 v4, v3, v4, 0xbd5c1c4e
	v_fmaak_f32 v4, v3, v4, 0x3e088382
	v_fmaak_f32 v4, v3, v4, 0xbeaaaa99
	v_mul_f32_e64 v4, |v2|, v4
	v_fma_f32 v3, v3, v4, |v2|
; %bb.46:
	s_or_b64 exec, exec, s[6:7]
	s_brev_b32 s3, -2
	v_bfi_b32 v2, s3, v3, v2
	v_mul_f32_e32 v1, 0.5, v1
	v_add_f32_e32 v2, 1.0, v2
	v_mul_f32_e32 v1, v1, v2
	v_mul_f32_e32 v2, v0, v1
.LBB39_47:
	v_mov_b32_e32 v0, v2
.LBB39_48:
	s_load_dwordx2 s[0:1], s[0:1], 0x38
	s_mul_i32 s3, s14, s26
	s_mul_i32 s4, s4, s30
	s_add_i32 s2, s3, s2
	s_add_i32 s2, s2, s4
	s_mov_b32 s3, 0
	s_lshl_b64 s[2:3], s[2:3], 2
	s_waitcnt lgkmcnt(0)
	s_add_u32 s0, s0, s2
	s_addc_u32 s1, s1, s3
	global_store_dword v16, v0, s[0:1]
.LBB39_49:
	s_endpgm
	.section	.rodata,"a",@progbits
	.p2align	6, 0x0
	.amdhsa_kernel _ZL13mul_mat_vec_qIL9ggml_type6ELi1ELb1ELb0EEvPKvS2_PKi31ggml_cuda_mm_fusion_args_devicePfj15HIP_vector_typeIjLj3EEjjjS8_jjjS8_jjjj
		.amdhsa_group_segment_fixed_size 512
		.amdhsa_private_segment_fixed_size 0
		.amdhsa_kernarg_size 144
		.amdhsa_user_sgpr_count 2
		.amdhsa_user_sgpr_dispatch_ptr 0
		.amdhsa_user_sgpr_queue_ptr 0
		.amdhsa_user_sgpr_kernarg_segment_ptr 1
		.amdhsa_user_sgpr_dispatch_id 0
		.amdhsa_user_sgpr_kernarg_preload_length 0
		.amdhsa_user_sgpr_kernarg_preload_offset 0
		.amdhsa_user_sgpr_private_segment_size 0
		.amdhsa_uses_dynamic_stack 0
		.amdhsa_enable_private_segment 0
		.amdhsa_system_sgpr_workgroup_id_x 1
		.amdhsa_system_sgpr_workgroup_id_y 1
		.amdhsa_system_sgpr_workgroup_id_z 1
		.amdhsa_system_sgpr_workgroup_info 0
		.amdhsa_system_vgpr_workitem_id 1
		.amdhsa_next_free_vgpr 47
		.amdhsa_next_free_sgpr 44
		.amdhsa_accum_offset 48
		.amdhsa_reserve_vcc 1
		.amdhsa_float_round_mode_32 0
		.amdhsa_float_round_mode_16_64 0
		.amdhsa_float_denorm_mode_32 3
		.amdhsa_float_denorm_mode_16_64 3
		.amdhsa_dx10_clamp 1
		.amdhsa_ieee_mode 1
		.amdhsa_fp16_overflow 0
		.amdhsa_tg_split 0
		.amdhsa_exception_fp_ieee_invalid_op 0
		.amdhsa_exception_fp_denorm_src 0
		.amdhsa_exception_fp_ieee_div_zero 0
		.amdhsa_exception_fp_ieee_overflow 0
		.amdhsa_exception_fp_ieee_underflow 0
		.amdhsa_exception_fp_ieee_inexact 0
		.amdhsa_exception_int_div_zero 0
	.end_amdhsa_kernel
	.section	.text._ZL13mul_mat_vec_qIL9ggml_type6ELi1ELb1ELb0EEvPKvS2_PKi31ggml_cuda_mm_fusion_args_devicePfj15HIP_vector_typeIjLj3EEjjjS8_jjjS8_jjjj,"axG",@progbits,_ZL13mul_mat_vec_qIL9ggml_type6ELi1ELb1ELb0EEvPKvS2_PKi31ggml_cuda_mm_fusion_args_devicePfj15HIP_vector_typeIjLj3EEjjjS8_jjjS8_jjjj,comdat
.Lfunc_end39:
	.size	_ZL13mul_mat_vec_qIL9ggml_type6ELi1ELb1ELb0EEvPKvS2_PKi31ggml_cuda_mm_fusion_args_devicePfj15HIP_vector_typeIjLj3EEjjjS8_jjjS8_jjjj, .Lfunc_end39-_ZL13mul_mat_vec_qIL9ggml_type6ELi1ELb1ELb0EEvPKvS2_PKi31ggml_cuda_mm_fusion_args_devicePfj15HIP_vector_typeIjLj3EEjjjS8_jjjS8_jjjj
                                        ; -- End function
	.section	.AMDGPU.csdata,"",@progbits
; Kernel info:
; codeLenInByte = 2956
; NumSgprs: 50
; NumVgprs: 47
; NumAgprs: 0
; TotalNumVgprs: 47
; ScratchSize: 0
; MemoryBound: 0
; FloatMode: 240
; IeeeMode: 1
; LDSByteSize: 512 bytes/workgroup (compile time only)
; SGPRBlocks: 6
; VGPRBlocks: 5
; NumSGPRsForWavesPerEU: 50
; NumVGPRsForWavesPerEU: 47
; AccumOffset: 48
; Occupancy: 8
; WaveLimiterHint : 0
; COMPUTE_PGM_RSRC2:SCRATCH_EN: 0
; COMPUTE_PGM_RSRC2:USER_SGPR: 2
; COMPUTE_PGM_RSRC2:TRAP_HANDLER: 0
; COMPUTE_PGM_RSRC2:TGID_X_EN: 1
; COMPUTE_PGM_RSRC2:TGID_Y_EN: 1
; COMPUTE_PGM_RSRC2:TGID_Z_EN: 1
; COMPUTE_PGM_RSRC2:TIDIG_COMP_CNT: 1
; COMPUTE_PGM_RSRC3_GFX90A:ACCUM_OFFSET: 11
; COMPUTE_PGM_RSRC3_GFX90A:TG_SPLIT: 0
	.section	.text._ZL13mul_mat_vec_qIL9ggml_type6ELi1ELb0ELb0EEvPKvS2_PKi31ggml_cuda_mm_fusion_args_devicePfj15HIP_vector_typeIjLj3EEjjjS8_jjjS8_jjjj,"axG",@progbits,_ZL13mul_mat_vec_qIL9ggml_type6ELi1ELb0ELb0EEvPKvS2_PKi31ggml_cuda_mm_fusion_args_devicePfj15HIP_vector_typeIjLj3EEjjjS8_jjjS8_jjjj,comdat
	.globl	_ZL13mul_mat_vec_qIL9ggml_type6ELi1ELb0ELb0EEvPKvS2_PKi31ggml_cuda_mm_fusion_args_devicePfj15HIP_vector_typeIjLj3EEjjjS8_jjjS8_jjjj ; -- Begin function _ZL13mul_mat_vec_qIL9ggml_type6ELi1ELb0ELb0EEvPKvS2_PKi31ggml_cuda_mm_fusion_args_devicePfj15HIP_vector_typeIjLj3EEjjjS8_jjjS8_jjjj
	.p2align	8
	.type	_ZL13mul_mat_vec_qIL9ggml_type6ELi1ELb0ELb0EEvPKvS2_PKi31ggml_cuda_mm_fusion_args_devicePfj15HIP_vector_typeIjLj3EEjjjS8_jjjS8_jjjj,@function
_ZL13mul_mat_vec_qIL9ggml_type6ELi1ELb0ELb0EEvPKvS2_PKi31ggml_cuda_mm_fusion_args_devicePfj15HIP_vector_typeIjLj3EEjjjS8_jjjS8_jjjj: ; @_ZL13mul_mat_vec_qIL9ggml_type6ELi1ELb0ELb0EEvPKvS2_PKi31ggml_cuda_mm_fusion_args_devicePfj15HIP_vector_typeIjLj3EEjjjS8_jjjS8_jjjj
; %bb.0:
	s_load_dwordx2 s[8:9], s[0:1], 0x10
	s_load_dwordx4 s[16:19], s[0:1], 0x40
	s_mov_b32 s20, s3
	s_mov_b64 s[12:13], 0
	s_waitcnt lgkmcnt(0)
	s_cmp_lg_u64 s[8:9], 0
	s_cselect_b64 s[6:7], -1, 0
	s_cmp_eq_u64 s[8:9], 0
	s_cbranch_scc1 .LBB40_5
; %bb.1:
	s_mov_b32 s21, 0
	s_lshl_b64 s[10:11], s[20:21], 2
	s_add_u32 s8, s8, s10
	s_addc_u32 s9, s9, s11
	s_load_dword s5, s[8:9], 0x0
	s_nop 0
	s_load_dwordx4 s[8:11], s[0:1], 0x68
	s_load_dword s21, s[0:1], 0x50
	s_andn2_b64 vcc, exec, s[12:13]
	s_cbranch_vccnz .LBB40_3
.LBB40_2:
	s_load_dwordx2 s[12:13], s[0:1], 0x5c
	s_waitcnt lgkmcnt(0)
	s_mul_hi_u32 s3, s12, s20
	s_add_i32 s3, s20, s3
	s_lshr_b32 s5, s3, s13
.LBB40_3:
	s_load_dword s22, s[0:1], 0x78
	s_andn2_b64 vcc, exec, s[6:7]
	s_cbranch_vccnz .LBB40_6
; %bb.4:
	s_mul_hi_u32 s3, s17, s20
	s_add_i32 s3, s20, s3
	s_lshr_b32 s3, s3, s18
	s_mul_i32 s3, s3, s19
	s_sub_i32 s23, s20, s3
	s_branch .LBB40_7
.LBB40_5:
                                        ; implicit-def: $sgpr5
	s_load_dwordx4 s[8:11], s[0:1], 0x68
	s_load_dword s21, s[0:1], 0x50
	s_branch .LBB40_2
.LBB40_6:
	s_mov_b32 s23, s20
.LBB40_7:
	s_load_dwordx4 s[12:15], s[0:1], 0x80
	v_bfe_u32 v9, v0, 10, 10
	v_lshlrev_b32_e32 v1, 6, v9
	v_and_b32_e32 v8, 0x3ff, v0
	v_add_u16_e32 v0, v1, v8
	s_lshr_b32 s3, s16, 5
	v_lshrrev_b16_e32 v10, 1, v0
	v_cmp_gt_u32_e32 vcc, s3, v10
	v_mov_b32_e32 v11, 0
	s_and_saveexec_b64 s[6:7], vcc
	s_cbranch_execz .LBB40_11
; %bb.8:
	s_waitcnt lgkmcnt(0)
	s_mul_i32 s5, s5, s8
	s_mul_hi_u32 s8, s11, s4
	s_load_dwordx4 s[16:19], s[0:1], 0x0
	s_add_i32 s8, s4, s8
	s_lshr_b32 s8, s8, s22
	s_mul_i32 s8, s8, s12
	s_mul_i32 s13, s4, s13
	;; [unrolled: 1-line block ×3, first 2 shown]
	s_add_i32 s5, s8, s5
	s_add_i32 s5, s5, s15
	s_mul_hi_u32 s8, s13, 36
	s_mul_i32 s13, s13, 36
	s_mul_i32 s9, s23, s9
	s_waitcnt lgkmcnt(0)
	s_add_u32 s12, s18, s13
	s_mul_hi_u32 s11, s9, 36
	s_mul_i32 s9, s9, 36
	s_addc_u32 s13, s19, s8
	v_add_u32_e32 v2, v1, v8
	v_lshlrev_b32_e32 v0, 1, v8
	s_add_u32 s8, s12, s9
	v_and_b32_e32 v0, 2, v0
	v_lshrrev_b32_e32 v2, 1, v2
	s_addc_u32 s9, s13, s11
	v_lshlrev_b32_e32 v4, 1, v0
	v_mov_b32_e32 v1, 0
	v_lshlrev_b32_e32 v12, 2, v0
	v_and_b32_e32 v0, 1, v8
	v_mad_u64_u32 v[2:3], s[8:9], v2, 36, s[8:9]
	v_or_b32_e32 v13, 4, v12
	v_lshlrev_b32_e32 v0, 3, v0
	s_mov_b64 s[8:9], 0
	s_mov_b32 s11, 0x1000706
	v_lshlrev_b32_e32 v4, 1, v4
	v_mov_b32_e32 v5, v1
	v_mov_b32_e32 v7, 0x41000000
	s_mov_b64 s[12:13], 0x900
	v_mov_b32_e32 v11, v1
.LBB40_9:                               ; =>This Inner Loop Header: Depth=1
	v_add_u32_e32 v6, s5, v10
	v_lshl_add_u64 v[14:15], v[2:3], 0, v[0:1]
	v_mad_i64_i32 v[16:17], s[18:19], v6, 22, s[16:17]
	global_load_dwordx2 v[18:19], v[14:15], off offset:4
	global_load_dwordx2 v[20:21], v[14:15], off offset:20
	v_lshl_add_u64 v[14:15], v[16:17], 0, v[4:5]
	global_load_dword v22, v[16:17], off
	global_load_ushort v6, v[16:17], off offset:4
	global_load_dword v23, v[14:15], off offset:6
	global_load_dword v24, v[14:15], off offset:10
	global_load_dword v25, v[2:3], off
	v_mov_b32_e32 v16, 0
	v_add_u32_e32 v10, 64, v10
	v_cmp_le_u32_e32 vcc, s3, v10
	v_lshl_add_u64 v[2:3], v[2:3], 0, s[12:13]
	s_or_b64 s[8:9], vcc, s[8:9]
	s_waitcnt vmcnt(3)
	v_perm_b32 v6, v22, v6, s11
	v_ashrrev_i32_e32 v17, v12, v6
	v_lshlrev_b32_e32 v27, 4, v17
	v_lshlrev_b32_e32 v28, 11, v17
	s_waitcnt vmcnt(0)
	v_cvt_f32_f16_sdwa v15, v25 dst_sel:DWORD dst_unused:UNUSED_PAD src0_sel:WORD_1
	v_cvt_f32_f16_e32 v14, v25
	v_ashrrev_i32_e32 v6, v13, v6
	v_and_b32_e32 v25, 0xf0f0f0f, v23
	v_lshlrev_b32_e32 v29, 18, v17
	v_lshlrev_b32_e32 v30, 25, v17
	v_lshrrev_b32_e32 v31, 12, v17
	v_lshrrev_b32_e32 v32, 5, v17
	v_lshlrev_b32_e32 v33, 2, v17
	v_and_b32_e32 v27, 16, v27
	v_and_b32_e32 v28, 0x1000, v28
	v_lshrrev_b32_e32 v23, 4, v23
	v_lshlrev_b32_e32 v17, 9, v17
	v_lshlrev_b32_e32 v34, 4, v6
	;; [unrolled: 1-line block ×4, first 2 shown]
	v_and_b32_e32 v29, 0x100000, v29
	v_and_b32_e32 v30, 0x10000000, v30
	;; [unrolled: 1-line block ×5, first 2 shown]
	v_or3_b32 v25, v27, v25, v28
	v_and_b32_e32 v23, 0xf0f0f0f, v23
	v_lshlrev_b32_e32 v37, 25, v6
	v_lshrrev_b32_e32 v38, 12, v6
	v_lshrrev_b32_e32 v39, 5, v6
	v_lshlrev_b32_e32 v40, 2, v6
	v_and_b32_e32 v17, 0x10000000, v17
	v_and_b32_e32 v34, 16, v34
	;; [unrolled: 1-line block ×4, first 2 shown]
	v_or3_b32 v27, v32, v31, v33
	v_or3_b32 v25, v25, v29, v30
	v_and_b32_e32 v26, 0xf0f0f0f, v24
	v_lshrrev_b32_e32 v24, 4, v24
	v_lshlrev_b32_e32 v6, 9, v6
	v_and_b32_e32 v37, 0x10000000, v37
	v_and_b32_e32 v38, 16, v38
	;; [unrolled: 1-line block ×4, first 2 shown]
	v_or3_b32 v28, v35, v34, v36
	v_or3_b32 v17, v27, v17, v23
	v_dot4c_i32_i8_e32 v16, v25, v18
	v_and_b32_e32 v24, 0xf0f0f0f, v24
	v_and_b32_e32 v6, 0x10000000, v6
	v_or3_b32 v31, v39, v38, v40
	v_or3_b32 v23, v28, v37, v26
	v_dot4c_i32_i8_e32 v16, v17, v20
	v_or3_b32 v6, v31, v6, v24
	v_dot4c_i32_i8_e32 v16, v23, v19
	v_dot4c_i32_i8_e32 v16, v6, v21
	s_nop 2
	v_cvt_f32_i32_e32 v6, v16
	v_pk_mul_f32 v[14:15], v[6:7], v[14:15]
	s_nop 0
	v_sub_f32_e32 v6, v14, v15
	v_fma_mix_f32 v11, v6, v22, v11 op_sel_hi:[0,1,0]
	s_andn2_b64 exec, exec, s[8:9]
	s_cbranch_execnz .LBB40_9
; %bb.10:
	s_or_b64 exec, exec, s[8:9]
.LBB40_11:
	s_or_b64 exec, exec, s[6:7]
	v_cmp_eq_u32_e32 vcc, 0, v9
	v_cmp_ne_u32_e64 s[6:7], 0, v9
	v_lshlrev_b32_e32 v0, 2, v8
	s_waitcnt lgkmcnt(0)
	s_and_saveexec_b64 s[8:9], s[6:7]
	s_cbranch_execz .LBB40_13
; %bb.12:
	v_lshlrev_b32_e32 v1, 8, v9
	s_movk_i32 s3, 0xff00
	v_add3_u32 v1, v1, v0, s3
	ds_write_b32 v1, v11
.LBB40_13:
	s_or_b64 exec, exec, s[8:9]
	s_waitcnt lgkmcnt(0)
	s_barrier
	s_and_saveexec_b64 s[6:7], vcc
	s_cbranch_execz .LBB40_16
; %bb.14:
	v_mbcnt_lo_u32_b32 v1, -1, 0
	ds_read_b32 v0, v0
	v_mbcnt_hi_u32_b32 v1, -1, v1
	v_and_b32_e32 v2, 64, v1
	v_add_u32_e32 v2, 64, v2
	v_xor_b32_e32 v3, 32, v1
	v_cmp_lt_i32_e32 vcc, v3, v2
	s_waitcnt lgkmcnt(0)
	v_add_f32_e32 v0, v11, v0
	s_mov_b32 s3, 0
	v_cndmask_b32_e32 v3, v1, v3, vcc
	v_lshlrev_b32_e32 v3, 2, v3
	ds_bpermute_b32 v3, v3, v0
	s_waitcnt lgkmcnt(0)
	v_add_f32_e32 v0, v0, v3
	v_xor_b32_e32 v3, 16, v1
	v_cmp_lt_i32_e32 vcc, v3, v2
	s_nop 1
	v_cndmask_b32_e32 v3, v1, v3, vcc
	v_lshlrev_b32_e32 v3, 2, v3
	ds_bpermute_b32 v3, v3, v0
	s_waitcnt lgkmcnt(0)
	v_add_f32_e32 v0, v0, v3
	v_xor_b32_e32 v3, 8, v1
	v_cmp_lt_i32_e32 vcc, v3, v2
	s_nop 1
	;; [unrolled: 8-line block ×5, first 2 shown]
	v_cndmask_b32_e32 v1, v1, v3, vcc
	v_lshlrev_b32_e32 v1, 2, v1
	ds_bpermute_b32 v1, v1, v0
	v_cmp_eq_u32_e32 vcc, 0, v8
	s_and_b64 exec, exec, vcc
	s_cbranch_execz .LBB40_16
; %bb.15:
	s_load_dwordx2 s[0:1], s[0:1], 0x38
	s_mul_i32 s5, s20, s10
	s_mul_i32 s4, s4, s14
	s_add_i32 s2, s5, s2
	s_add_i32 s2, s2, s4
	s_lshl_b64 s[2:3], s[2:3], 2
	s_waitcnt lgkmcnt(0)
	s_add_u32 s0, s0, s2
	s_addc_u32 s1, s1, s3
	v_mov_b32_e32 v2, 0
	v_add_f32_e32 v0, v0, v1
	global_store_dword v2, v0, s[0:1]
.LBB40_16:
	s_endpgm
	.section	.rodata,"a",@progbits
	.p2align	6, 0x0
	.amdhsa_kernel _ZL13mul_mat_vec_qIL9ggml_type6ELi1ELb0ELb0EEvPKvS2_PKi31ggml_cuda_mm_fusion_args_devicePfj15HIP_vector_typeIjLj3EEjjjS8_jjjS8_jjjj
		.amdhsa_group_segment_fixed_size 256
		.amdhsa_private_segment_fixed_size 0
		.amdhsa_kernarg_size 144
		.amdhsa_user_sgpr_count 2
		.amdhsa_user_sgpr_dispatch_ptr 0
		.amdhsa_user_sgpr_queue_ptr 0
		.amdhsa_user_sgpr_kernarg_segment_ptr 1
		.amdhsa_user_sgpr_dispatch_id 0
		.amdhsa_user_sgpr_kernarg_preload_length 0
		.amdhsa_user_sgpr_kernarg_preload_offset 0
		.amdhsa_user_sgpr_private_segment_size 0
		.amdhsa_uses_dynamic_stack 0
		.amdhsa_enable_private_segment 0
		.amdhsa_system_sgpr_workgroup_id_x 1
		.amdhsa_system_sgpr_workgroup_id_y 1
		.amdhsa_system_sgpr_workgroup_id_z 1
		.amdhsa_system_sgpr_workgroup_info 0
		.amdhsa_system_vgpr_workitem_id 1
		.amdhsa_next_free_vgpr 41
		.amdhsa_next_free_sgpr 24
		.amdhsa_accum_offset 44
		.amdhsa_reserve_vcc 1
		.amdhsa_float_round_mode_32 0
		.amdhsa_float_round_mode_16_64 0
		.amdhsa_float_denorm_mode_32 3
		.amdhsa_float_denorm_mode_16_64 3
		.amdhsa_dx10_clamp 1
		.amdhsa_ieee_mode 1
		.amdhsa_fp16_overflow 0
		.amdhsa_tg_split 0
		.amdhsa_exception_fp_ieee_invalid_op 0
		.amdhsa_exception_fp_denorm_src 0
		.amdhsa_exception_fp_ieee_div_zero 0
		.amdhsa_exception_fp_ieee_overflow 0
		.amdhsa_exception_fp_ieee_underflow 0
		.amdhsa_exception_fp_ieee_inexact 0
		.amdhsa_exception_int_div_zero 0
	.end_amdhsa_kernel
	.section	.text._ZL13mul_mat_vec_qIL9ggml_type6ELi1ELb0ELb0EEvPKvS2_PKi31ggml_cuda_mm_fusion_args_devicePfj15HIP_vector_typeIjLj3EEjjjS8_jjjS8_jjjj,"axG",@progbits,_ZL13mul_mat_vec_qIL9ggml_type6ELi1ELb0ELb0EEvPKvS2_PKi31ggml_cuda_mm_fusion_args_devicePfj15HIP_vector_typeIjLj3EEjjjS8_jjjS8_jjjj,comdat
.Lfunc_end40:
	.size	_ZL13mul_mat_vec_qIL9ggml_type6ELi1ELb0ELb0EEvPKvS2_PKi31ggml_cuda_mm_fusion_args_devicePfj15HIP_vector_typeIjLj3EEjjjS8_jjjS8_jjjj, .Lfunc_end40-_ZL13mul_mat_vec_qIL9ggml_type6ELi1ELb0ELb0EEvPKvS2_PKi31ggml_cuda_mm_fusion_args_devicePfj15HIP_vector_typeIjLj3EEjjjS8_jjjS8_jjjj
                                        ; -- End function
	.section	.AMDGPU.csdata,"",@progbits
; Kernel info:
; codeLenInByte = 1296
; NumSgprs: 30
; NumVgprs: 41
; NumAgprs: 0
; TotalNumVgprs: 41
; ScratchSize: 0
; MemoryBound: 0
; FloatMode: 240
; IeeeMode: 1
; LDSByteSize: 256 bytes/workgroup (compile time only)
; SGPRBlocks: 3
; VGPRBlocks: 5
; NumSGPRsForWavesPerEU: 30
; NumVGPRsForWavesPerEU: 41
; AccumOffset: 44
; Occupancy: 8
; WaveLimiterHint : 0
; COMPUTE_PGM_RSRC2:SCRATCH_EN: 0
; COMPUTE_PGM_RSRC2:USER_SGPR: 2
; COMPUTE_PGM_RSRC2:TRAP_HANDLER: 0
; COMPUTE_PGM_RSRC2:TGID_X_EN: 1
; COMPUTE_PGM_RSRC2:TGID_Y_EN: 1
; COMPUTE_PGM_RSRC2:TGID_Z_EN: 1
; COMPUTE_PGM_RSRC2:TIDIG_COMP_CNT: 1
; COMPUTE_PGM_RSRC3_GFX90A:ACCUM_OFFSET: 10
; COMPUTE_PGM_RSRC3_GFX90A:TG_SPLIT: 0
	.section	.text._ZL13mul_mat_vec_qIL9ggml_type6ELi2ELb0ELb0EEvPKvS2_PKi31ggml_cuda_mm_fusion_args_devicePfj15HIP_vector_typeIjLj3EEjjjS8_jjjS8_jjjj,"axG",@progbits,_ZL13mul_mat_vec_qIL9ggml_type6ELi2ELb0ELb0EEvPKvS2_PKi31ggml_cuda_mm_fusion_args_devicePfj15HIP_vector_typeIjLj3EEjjjS8_jjjS8_jjjj,comdat
	.globl	_ZL13mul_mat_vec_qIL9ggml_type6ELi2ELb0ELb0EEvPKvS2_PKi31ggml_cuda_mm_fusion_args_devicePfj15HIP_vector_typeIjLj3EEjjjS8_jjjS8_jjjj ; -- Begin function _ZL13mul_mat_vec_qIL9ggml_type6ELi2ELb0ELb0EEvPKvS2_PKi31ggml_cuda_mm_fusion_args_devicePfj15HIP_vector_typeIjLj3EEjjjS8_jjjS8_jjjj
	.p2align	8
	.type	_ZL13mul_mat_vec_qIL9ggml_type6ELi2ELb0ELb0EEvPKvS2_PKi31ggml_cuda_mm_fusion_args_devicePfj15HIP_vector_typeIjLj3EEjjjS8_jjjS8_jjjj,@function
_ZL13mul_mat_vec_qIL9ggml_type6ELi2ELb0ELb0EEvPKvS2_PKi31ggml_cuda_mm_fusion_args_devicePfj15HIP_vector_typeIjLj3EEjjjS8_jjjS8_jjjj: ; @_ZL13mul_mat_vec_qIL9ggml_type6ELi2ELb0ELb0EEvPKvS2_PKi31ggml_cuda_mm_fusion_args_devicePfj15HIP_vector_typeIjLj3EEjjjS8_jjjS8_jjjj
; %bb.0:
	s_load_dwordx2 s[20:21], s[0:1], 0x4
	s_load_dword s7, s[2:3], 0x40
	s_load_dwordx4 s[8:11], s[2:3], 0x50
	s_load_dword s25, s[2:3], 0x60
	s_load_dwordx4 s[12:15], s[2:3], 0x68
	;; [unrolled: 2-line block ×3, first 2 shown]
	s_waitcnt lgkmcnt(0)
	s_lshr_b32 s0, s20, 16
	v_bfe_u32 v14, v0, 10, 10
	v_and_b32_e32 v12, 0x3ff, v0
	s_mul_i32 s0, s0, s21
	v_mul_u32_u24_e32 v1, s21, v14
	v_lshlrev_b32_e32 v5, 6, v14
	v_mad_u32_u24 v1, s0, v12, v1
	v_bfe_u32 v0, v0, 20, 10
	v_add_u16_e32 v6, v5, v12
	v_add_lshl_u32 v4, v1, v0, 4
	s_lshr_b32 s7, s7, 5
	v_mov_b32_e32 v0, 0
	v_lshrrev_b16_e32 v15, 1, v6
	v_add_u32_e32 v13, 0x400, v4
	s_lshl_b32 s4, s4, 1
	v_mov_b32_e32 v1, v0
	v_mov_b32_e32 v2, v0
	v_mov_b32_e32 v3, v0
	v_cmp_gt_u32_e32 vcc, s7, v15
	ds_write_b128 v4, v[0:3] offset:1024
	s_and_saveexec_b64 s[0:1], vcc
	s_cbranch_execz .LBB41_4
; %bb.1:
	s_load_dwordx4 s[20:23], s[2:3], 0x0
	s_mul_i32 s17, s6, s17
	s_mul_hi_u32 s19, s17, 36
	s_mul_i32 s17, s17, 36
	s_mul_i32 s13, s5, s13
	s_waitcnt lgkmcnt(0)
	s_add_u32 s17, s22, s17
	s_addc_u32 s19, s23, s19
	s_mul_hi_u32 s23, s13, 36
	s_mul_i32 s13, s13, 36
	s_add_u32 s22, s17, s13
	s_mul_hi_u32 s11, s11, s5
	s_addc_u32 s23, s19, s23
	s_add_i32 s11, s5, s11
	s_lshr_b32 s11, s11, s25
	s_mul_i32 s11, s11, s12
	s_mul_hi_u32 s12, s15, s6
	s_add_i32 s12, s6, s12
	v_and_b32_e32 v1, 1, v12
	s_lshr_b32 s12, s12, s24
	v_lshlrev_b32_e32 v4, 3, v1
	v_lshrrev_b16_e32 v1, 1, v6
	s_mul_i32 s15, s12, s16
	v_lshlrev_b32_e32 v0, 1, v12
	v_mad_u64_u32 v[6:7], s[12:13], v1, 36, s[22:23]
	v_and_b32_e32 v0, 2, v0
	s_add_i32 s12, s4, 1
	v_lshlrev_b32_e32 v2, 1, v0
	v_mov_b32_e32 v5, 0
	v_lshlrev_b32_e32 v16, 2, v0
	s_mul_i32 s16, s4, s8
	s_add_i32 s11, s15, s11
	s_mul_i32 s8, s8, s12
	v_or_b32_e32 v17, 4, v16
	s_add_i32 s8, s11, s8
	s_add_i32 s11, s11, s16
	s_mov_b64 s[12:13], 0
	s_mov_b32 s15, 0x1000706
	v_lshlrev_b32_e32 v8, 1, v2
	v_lshlrev_b32_e32 v10, 2, v0
	s_mov_b64 s[16:17], 0x900
	v_mov_b32_e32 v9, v5
	v_mov_b32_e32 v11, v5
	;; [unrolled: 1-line block ×6, first 2 shown]
.LBB41_2:                               ; =>This Inner Loop Header: Depth=1
	v_add_u32_e32 v24, s11, v15
	v_lshl_add_u64 v[18:19], v[6:7], 0, v[4:5]
	global_load_dword v36, v[6:7], off
	global_load_dwordx2 v[20:21], v[18:19], off offset:4
	global_load_dwordx2 v[22:23], v[18:19], off offset:20
	v_mad_i64_i32 v[18:19], s[24:25], v24, 22, s[20:21]
	global_load_dword v41, v[18:19], off
	global_load_ushort v42, v[18:19], off offset:4
	v_add_u32_e32 v25, s8, v15
	v_add_u32_e32 v26, s9, v15
	v_mad_i64_i32 v[24:25], s[24:25], v25, 22, s[20:21]
	v_mad_u64_u32 v[26:27], s[24:25], v26, 36, s[22:23]
	v_lshl_add_u64 v[28:29], v[18:19], 0, v[8:9]
	v_lshl_add_u64 v[18:19], v[24:25], 0, v[8:9]
	;; [unrolled: 1-line block ×3, first 2 shown]
	global_load_dword v43, v[28:29], off offset:6
	global_load_dword v44, v[28:29], off offset:10
	global_load_dword v45, v[24:25], off
	global_load_ushort v46, v[24:25], off offset:4
	global_load_dword v47, v[18:19], off offset:6
	global_load_dword v48, v[18:19], off offset:10
	global_load_dwordx2 v[32:33], v[30:31], off offset:20
	global_load_dword v49, v[26:27], off
	global_load_dwordx2 v[34:35], v[30:31], off offset:4
	v_mov_b32_e32 v37, 0
	v_mov_b32_e32 v38, 0
	;; [unrolled: 1-line block ×4, first 2 shown]
	v_add_u32_e32 v15, 64, v15
	v_cmp_le_u32_e32 vcc, s7, v15
	v_lshl_add_u64 v[6:7], v[6:7], 0, s[16:17]
	s_or_b64 s[12:13], vcc, s[12:13]
	s_waitcnt vmcnt(13)
	v_cvt_f32_f16_sdwa v19, v36 dst_sel:DWORD dst_unused:UNUSED_PAD src0_sel:WORD_1
	v_cvt_f32_f16_e32 v18, v36
	s_waitcnt vmcnt(10)
	v_cvt_f32_f16_e32 v24, v41
	s_waitcnt vmcnt(9)
	v_perm_b32 v25, v41, v42, s15
	v_ashrrev_i32_e32 v27, v16, v25
	s_waitcnt vmcnt(8)
	v_and_b32_e32 v30, 0xf0f0f0f, v43
	v_lshrrev_b32_e32 v31, 4, v43
	s_waitcnt vmcnt(7)
	v_and_b32_e32 v36, 0xf0f0f0f, v44
	v_lshrrev_b32_e32 v41, 4, v44
	s_waitcnt vmcnt(5)
	v_perm_b32 v42, v45, v46, s15
	s_waitcnt vmcnt(4)
	v_and_b32_e32 v43, 0xf0f0f0f, v47
	v_lshrrev_b32_e32 v44, 4, v47
	s_waitcnt vmcnt(3)
	v_and_b32_e32 v46, 0xf0f0f0f, v48
	v_lshrrev_b32_e32 v47, 4, v48
	v_mul_f32_e32 v28, 0x41000000, v19
	v_lshlrev_b32_e32 v19, 4, v27
	v_lshlrev_b32_e32 v48, 11, v27
	v_ashrrev_i32_e32 v29, v17, v25
	v_and_b32_e32 v19, 16, v19
	v_and_b32_e32 v48, 0x1000, v48
	v_lshrrev_b32_e32 v51, 12, v27
	v_lshrrev_b32_e32 v52, 5, v27
	v_lshlrev_b32_e32 v53, 2, v27
	v_lshlrev_b32_e32 v54, 4, v29
	;; [unrolled: 1-line block ×3, first 2 shown]
	v_or3_b32 v19, v19, v30, v48
	v_lshlrev_b32_e32 v30, 18, v29
	v_and_b32_e32 v51, 16, v51
	v_and_b32_e32 v52, 0x1000, v52
	;; [unrolled: 1-line block ×6, first 2 shown]
	v_or3_b32 v51, v52, v51, v53
	v_lshrrev_b32_e32 v52, 12, v29
	v_lshrrev_b32_e32 v53, 5, v29
	v_or3_b32 v30, v55, v54, v30
	v_lshlrev_b32_e32 v54, 2, v29
	v_cvt_f32_f16_e32 v25, v45
	s_waitcnt vmcnt(1)
	v_cvt_f32_f16_e32 v26, v49
	v_cvt_f32_f16_sdwa v45, v49 dst_sel:DWORD dst_unused:UNUSED_PAD src0_sel:WORD_1
	v_lshlrev_b32_e32 v49, 18, v27
	v_lshlrev_b32_e32 v50, 25, v27
	;; [unrolled: 1-line block ×4, first 2 shown]
	v_ashrrev_i32_e32 v55, v16, v42
	v_and_b32_e32 v52, 16, v52
	v_and_b32_e32 v53, 0x1000, v53
	;; [unrolled: 1-line block ×4, first 2 shown]
	v_lshlrev_b32_e32 v29, 9, v29
	v_and_b32_e32 v49, 0x100000, v49
	v_and_b32_e32 v50, 0x10000000, v50
	;; [unrolled: 1-line block ×4, first 2 shown]
	v_or3_b32 v52, v53, v52, v54
	v_lshlrev_b32_e32 v53, 4, v55
	v_lshlrev_b32_e32 v54, 11, v55
	v_and_b32_e32 v41, 0xf0f0f0f, v41
	v_ashrrev_i32_e32 v42, v17, v42
	v_and_b32_e32 v29, 0x10000000, v29
	v_or3_b32 v19, v19, v49, v50
	v_lshlrev_b32_e32 v49, 18, v55
	v_lshlrev_b32_e32 v50, 25, v55
	v_or3_b32 v27, v51, v27, v31
	v_lshrrev_b32_e32 v31, 12, v55
	v_lshrrev_b32_e32 v51, 5, v55
	v_or3_b32 v30, v30, v48, v36
	v_lshlrev_b32_e32 v36, 2, v55
	v_and_b32_e32 v53, 16, v53
	v_and_b32_e32 v54, 0x1000, v54
	v_lshlrev_b32_e32 v48, 9, v55
	v_lshlrev_b32_e32 v55, 4, v42
	v_or3_b32 v29, v52, v29, v41
	v_lshlrev_b32_e32 v41, 11, v42
	v_lshlrev_b32_e32 v52, 18, v42
	v_or3_b32 v43, v53, v43, v54
	v_and_b32_e32 v31, 16, v31
	v_and_b32_e32 v51, 0x1000, v51
	;; [unrolled: 1-line block ×6, first 2 shown]
	v_lshlrev_b32_e32 v53, 25, v42
	v_lshrrev_b32_e32 v54, 12, v42
	v_or3_b32 v31, v51, v31, v36
	v_lshrrev_b32_e32 v36, 5, v42
	v_lshlrev_b32_e32 v51, 2, v42
	v_and_b32_e32 v48, 0x10000000, v48
	v_and_b32_e32 v55, 16, v55
	;; [unrolled: 1-line block ×4, first 2 shown]
	v_or3_b32 v43, v43, v49, v50
	v_lshlrev_b32_e32 v42, 9, v42
	v_and_b32_e32 v53, 0x10000000, v53
	v_and_b32_e32 v54, 16, v54
	;; [unrolled: 1-line block ×4, first 2 shown]
	v_or3_b32 v41, v41, v55, v52
	v_dot4c_i32_i8_e32 v37, v19, v20
	v_or3_b32 v31, v31, v48, v44
	s_waitcnt vmcnt(0)
	v_dot4c_i32_i8_e32 v39, v19, v34
	v_dot4c_i32_i8_e32 v38, v43, v20
	;; [unrolled: 1-line block ×3, first 2 shown]
	v_and_b32_e32 v47, 0xf0f0f0f, v47
	v_and_b32_e32 v42, 0x10000000, v42
	v_or3_b32 v36, v36, v54, v51
	v_or3_b32 v41, v41, v53, v46
	v_dot4c_i32_i8_e32 v37, v27, v22
	v_dot4c_i32_i8_e32 v39, v27, v32
	;; [unrolled: 1-line block ×4, first 2 shown]
	v_or3_b32 v36, v36, v42, v47
	v_dot4c_i32_i8_e32 v37, v30, v21
	v_dot4c_i32_i8_e32 v39, v30, v35
	;; [unrolled: 1-line block ×8, first 2 shown]
	v_cvt_f32_i32_e32 v20, v37
	v_cvt_f32_i32_e32 v22, v39
	;; [unrolled: 1-line block ×4, first 2 shown]
	v_mul_f32_e32 v30, 0x41000000, v45
	v_pk_fma_f32 v[18:19], v[18:19], v[20:21], v[28:29] op_sel_hi:[0,1,0] neg_lo:[0,0,1] neg_hi:[0,0,1]
	v_pk_fma_f32 v[20:21], v[26:27], v[22:23], v[30:31] op_sel_hi:[0,1,0] neg_lo:[0,0,1] neg_hi:[0,0,1]
	v_pk_fma_f32 v[2:3], v[18:19], v[24:25], v[2:3]
	v_pk_fma_f32 v[0:1], v[20:21], v[24:25], v[0:1]
	s_andn2_b64 exec, exec, s[12:13]
	s_cbranch_execnz .LBB41_2
; %bb.3:
	s_or_b64 exec, exec, s[12:13]
	v_mov_b32_e32 v4, v0
	v_mov_b32_e32 v5, v1
	ds_write_b128 v13, v[2:5]
.LBB41_4:
	s_or_b64 exec, exec, s[0:1]
	v_cmp_eq_u32_e32 vcc, 0, v14
	v_cmp_ne_u32_e64 s[0:1], 0, v14
	v_lshlrev_b32_e32 v4, 2, v12
	s_and_saveexec_b64 s[8:9], s[0:1]
	s_cbranch_execz .LBB41_6
; %bb.5:
	v_lshl_or_b32 v5, v14, 10, v4
	v_add_u32_e32 v5, 0xfffffc00, v5
	ds_write2st64_b32 v5, v2, v3 offset1:1
	ds_write2st64_b32 v5, v0, v1 offset0:2 offset1:3
.LBB41_6:
	s_or_b64 exec, exec, s[8:9]
	s_waitcnt lgkmcnt(0)
	s_barrier
	s_and_saveexec_b64 s[0:1], vcc
	s_cbranch_execz .LBB41_11
; %bb.7:
	v_mbcnt_lo_u32_b32 v0, -1, 0
	v_mbcnt_hi_u32_b32 v14, -1, v0
	ds_read2st64_b32 v[2:3], v4 offset1:1
	ds_read_b64 v[6:7], v13
	v_and_b32_e32 v0, 64, v14
	v_add_u32_e32 v15, 64, v0
	v_xor_b32_e32 v0, 32, v14
	v_cmp_lt_i32_e32 vcc, v0, v15
	s_waitcnt lgkmcnt(0)
	v_pk_add_f32 v[2:3], v[2:3], v[6:7]
	v_xor_b32_e32 v1, 16, v14
	v_cndmask_b32_e32 v0, v14, v0, vcc
	v_lshlrev_b32_e32 v0, 2, v0
	ds_bpermute_b32 v6, v0, v2
	ds_bpermute_b32 v7, v0, v3
	v_cmp_lt_i32_e32 vcc, v1, v15
	v_xor_b32_e32 v5, 2, v14
	s_load_dwordx2 s[0:1], s[2:3], 0x38
	v_cndmask_b32_e32 v1, v14, v1, vcc
	v_lshlrev_b32_e32 v1, 2, v1
	s_waitcnt lgkmcnt(0)
	v_pk_add_f32 v[6:7], v[2:3], v[6:7]
	ds_bpermute_b32 v8, v1, v6
	ds_bpermute_b32 v9, v1, v7
	v_xor_b32_e32 v2, 8, v14
	v_cmp_lt_i32_e32 vcc, v2, v15
	v_xor_b32_e32 v3, 4, v14
	s_mul_i32 s2, s5, s14
	v_cndmask_b32_e32 v2, v14, v2, vcc
	v_lshlrev_b32_e32 v2, 2, v2
	s_waitcnt lgkmcnt(0)
	v_pk_add_f32 v[6:7], v[6:7], v[8:9]
	ds_bpermute_b32 v8, v2, v6
	ds_bpermute_b32 v9, v2, v7
	v_cmp_lt_i32_e32 vcc, v3, v15
	s_mul_i32 s6, s6, s18
	s_add_i32 s2, s2, s4
	v_cndmask_b32_e32 v3, v14, v3, vcc
	v_lshlrev_b32_e32 v3, 2, v3
	s_waitcnt lgkmcnt(0)
	v_pk_add_f32 v[6:7], v[6:7], v[8:9]
	ds_bpermute_b32 v8, v3, v6
	ds_bpermute_b32 v9, v3, v7
	v_cmp_lt_i32_e32 vcc, v5, v15
	s_add_i32 s2, s2, s6
	s_mov_b32 s3, 0
	v_cndmask_b32_e32 v5, v14, v5, vcc
	v_lshlrev_b32_e32 v5, 2, v5
	s_waitcnt lgkmcnt(0)
	v_pk_add_f32 v[8:9], v[6:7], v[8:9]
	ds_bpermute_b32 v10, v5, v8
	ds_bpermute_b32 v11, v5, v9
	v_xor_b32_e32 v6, 1, v14
	v_cmp_lt_i32_e32 vcc, v6, v15
	s_lshl_b64 s[2:3], s[2:3], 2
	s_add_u32 s2, s0, s2
	v_cndmask_b32_e32 v6, v14, v6, vcc
	v_lshlrev_b32_e32 v6, 2, v6
	s_waitcnt lgkmcnt(0)
	v_pk_add_f32 v[8:9], v[8:9], v[10:11]
	ds_bpermute_b32 v10, v6, v8
	ds_bpermute_b32 v11, v6, v9
	v_or_b32_e32 v7, s4, v12
	s_addc_u32 s3, s1, s3
	v_cmp_gt_u32_e32 vcc, 2, v12
	v_cmp_gt_u32_e64 s[0:1], s10, v7
	s_and_b64 s[0:1], vcc, s[0:1]
	s_waitcnt lgkmcnt(0)
	v_pk_add_f32 v[8:9], v[8:9], v[10:11]
	ds_write_b64 v13, v[8:9]
	s_and_saveexec_b64 s[4:5], s[0:1]
	s_cbranch_execz .LBB41_9
; %bb.8:
	v_add_u32_e32 v7, v13, v4
	ds_read_b32 v7, v7
	s_waitcnt lgkmcnt(0)
	global_store_dword v4, v7, s[2:3]
.LBB41_9:
	s_or_b64 exec, exec, s[4:5]
	ds_read2st64_b32 v[8:9], v4 offset0:2 offset1:3
	ds_read_b64 v[10:11], v13 offset:8
	s_waitcnt lgkmcnt(0)
	v_pk_add_f32 v[8:9], v[8:9], v[10:11]
	ds_bpermute_b32 v10, v0, v8
	ds_bpermute_b32 v11, v0, v9
	s_waitcnt lgkmcnt(0)
	v_pk_add_f32 v[8:9], v[8:9], v[10:11]
	ds_bpermute_b32 v0, v1, v8
	ds_bpermute_b32 v1, v1, v9
	;; [unrolled: 4-line block ×6, first 2 shown]
	s_waitcnt lgkmcnt(0)
	v_pk_add_f32 v[0:1], v[0:1], v[2:3]
	ds_write_b64 v13, v[0:1] offset:8
	s_and_b64 exec, exec, s[0:1]
	s_cbranch_execz .LBB41_11
; %bb.10:
	v_lshl_add_u32 v0, v12, 2, v13
	ds_read_b32 v2, v0 offset:8
	v_add_u32_e32 v0, s10, v12
	v_mov_b32_e32 v1, 0
	v_lshl_add_u64 v[0:1], v[0:1], 2, s[2:3]
	s_waitcnt lgkmcnt(0)
	global_store_dword v[0:1], v2, off
.LBB41_11:
	s_endpgm
	.section	.rodata,"a",@progbits
	.p2align	6, 0x0
	.amdhsa_kernel _ZL13mul_mat_vec_qIL9ggml_type6ELi2ELb0ELb0EEvPKvS2_PKi31ggml_cuda_mm_fusion_args_devicePfj15HIP_vector_typeIjLj3EEjjjS8_jjjS8_jjjj
		.amdhsa_group_segment_fixed_size 3072
		.amdhsa_private_segment_fixed_size 0
		.amdhsa_kernarg_size 144
		.amdhsa_user_sgpr_count 4
		.amdhsa_user_sgpr_dispatch_ptr 1
		.amdhsa_user_sgpr_queue_ptr 0
		.amdhsa_user_sgpr_kernarg_segment_ptr 1
		.amdhsa_user_sgpr_dispatch_id 0
		.amdhsa_user_sgpr_kernarg_preload_length 0
		.amdhsa_user_sgpr_kernarg_preload_offset 0
		.amdhsa_user_sgpr_private_segment_size 0
		.amdhsa_uses_dynamic_stack 0
		.amdhsa_enable_private_segment 0
		.amdhsa_system_sgpr_workgroup_id_x 1
		.amdhsa_system_sgpr_workgroup_id_y 1
		.amdhsa_system_sgpr_workgroup_id_z 1
		.amdhsa_system_sgpr_workgroup_info 0
		.amdhsa_system_vgpr_workitem_id 2
		.amdhsa_next_free_vgpr 56
		.amdhsa_next_free_sgpr 26
		.amdhsa_accum_offset 56
		.amdhsa_reserve_vcc 1
		.amdhsa_float_round_mode_32 0
		.amdhsa_float_round_mode_16_64 0
		.amdhsa_float_denorm_mode_32 3
		.amdhsa_float_denorm_mode_16_64 3
		.amdhsa_dx10_clamp 1
		.amdhsa_ieee_mode 1
		.amdhsa_fp16_overflow 0
		.amdhsa_tg_split 0
		.amdhsa_exception_fp_ieee_invalid_op 0
		.amdhsa_exception_fp_denorm_src 0
		.amdhsa_exception_fp_ieee_div_zero 0
		.amdhsa_exception_fp_ieee_overflow 0
		.amdhsa_exception_fp_ieee_underflow 0
		.amdhsa_exception_fp_ieee_inexact 0
		.amdhsa_exception_int_div_zero 0
	.end_amdhsa_kernel
	.section	.text._ZL13mul_mat_vec_qIL9ggml_type6ELi2ELb0ELb0EEvPKvS2_PKi31ggml_cuda_mm_fusion_args_devicePfj15HIP_vector_typeIjLj3EEjjjS8_jjjS8_jjjj,"axG",@progbits,_ZL13mul_mat_vec_qIL9ggml_type6ELi2ELb0ELb0EEvPKvS2_PKi31ggml_cuda_mm_fusion_args_devicePfj15HIP_vector_typeIjLj3EEjjjS8_jjjS8_jjjj,comdat
.Lfunc_end41:
	.size	_ZL13mul_mat_vec_qIL9ggml_type6ELi2ELb0ELb0EEvPKvS2_PKi31ggml_cuda_mm_fusion_args_devicePfj15HIP_vector_typeIjLj3EEjjjS8_jjjS8_jjjj, .Lfunc_end41-_ZL13mul_mat_vec_qIL9ggml_type6ELi2ELb0ELb0EEvPKvS2_PKi31ggml_cuda_mm_fusion_args_devicePfj15HIP_vector_typeIjLj3EEjjjS8_jjjS8_jjjj
                                        ; -- End function
	.section	.AMDGPU.csdata,"",@progbits
; Kernel info:
; codeLenInByte = 2176
; NumSgprs: 32
; NumVgprs: 56
; NumAgprs: 0
; TotalNumVgprs: 56
; ScratchSize: 0
; MemoryBound: 0
; FloatMode: 240
; IeeeMode: 1
; LDSByteSize: 3072 bytes/workgroup (compile time only)
; SGPRBlocks: 3
; VGPRBlocks: 6
; NumSGPRsForWavesPerEU: 32
; NumVGPRsForWavesPerEU: 56
; AccumOffset: 56
; Occupancy: 8
; WaveLimiterHint : 0
; COMPUTE_PGM_RSRC2:SCRATCH_EN: 0
; COMPUTE_PGM_RSRC2:USER_SGPR: 4
; COMPUTE_PGM_RSRC2:TRAP_HANDLER: 0
; COMPUTE_PGM_RSRC2:TGID_X_EN: 1
; COMPUTE_PGM_RSRC2:TGID_Y_EN: 1
; COMPUTE_PGM_RSRC2:TGID_Z_EN: 1
; COMPUTE_PGM_RSRC2:TIDIG_COMP_CNT: 2
; COMPUTE_PGM_RSRC3_GFX90A:ACCUM_OFFSET: 13
; COMPUTE_PGM_RSRC3_GFX90A:TG_SPLIT: 0
	.section	.text._ZL13mul_mat_vec_qIL9ggml_type6ELi3ELb0ELb0EEvPKvS2_PKi31ggml_cuda_mm_fusion_args_devicePfj15HIP_vector_typeIjLj3EEjjjS8_jjjS8_jjjj,"axG",@progbits,_ZL13mul_mat_vec_qIL9ggml_type6ELi3ELb0ELb0EEvPKvS2_PKi31ggml_cuda_mm_fusion_args_devicePfj15HIP_vector_typeIjLj3EEjjjS8_jjjS8_jjjj,comdat
	.globl	_ZL13mul_mat_vec_qIL9ggml_type6ELi3ELb0ELb0EEvPKvS2_PKi31ggml_cuda_mm_fusion_args_devicePfj15HIP_vector_typeIjLj3EEjjjS8_jjjS8_jjjj ; -- Begin function _ZL13mul_mat_vec_qIL9ggml_type6ELi3ELb0ELb0EEvPKvS2_PKi31ggml_cuda_mm_fusion_args_devicePfj15HIP_vector_typeIjLj3EEjjjS8_jjjS8_jjjj
	.p2align	8
	.type	_ZL13mul_mat_vec_qIL9ggml_type6ELi3ELb0ELb0EEvPKvS2_PKi31ggml_cuda_mm_fusion_args_devicePfj15HIP_vector_typeIjLj3EEjjjS8_jjjS8_jjjj,@function
_ZL13mul_mat_vec_qIL9ggml_type6ELi3ELb0ELb0EEvPKvS2_PKi31ggml_cuda_mm_fusion_args_devicePfj15HIP_vector_typeIjLj3EEjjjS8_jjjS8_jjjj: ; @_ZL13mul_mat_vec_qIL9ggml_type6ELi3ELb0ELb0EEvPKvS2_PKi31ggml_cuda_mm_fusion_args_devicePfj15HIP_vector_typeIjLj3EEjjjS8_jjjS8_jjjj
; %bb.0:
	v_bfe_u32 v15, v0, 10, 10
	v_and_b32_e32 v14, 0x3ff, v0
	v_mov_b32_e32 v0, 0
	v_lshlrev_b32_e32 v8, 6, v15
	v_mov_b32_e32 v1, v0
	v_mov_b32_e32 v2, v0
	;; [unrolled: 1-line block ×3, first 2 shown]
	s_load_dword s6, s[0:1], 0x40
	s_load_dwordx4 s[8:11], s[0:1], 0x50
	s_load_dword s25, s[0:1], 0x60
	s_load_dwordx4 s[12:15], s[0:1], 0x68
	;; [unrolled: 2-line block ×3, first 2 shown]
	scratch_store_dwordx2 off, v[0:1], off offset:16
	scratch_store_dwordx4 off, v[0:3], off
	s_lshl_b32 s5, s2, 1
	s_waitcnt lgkmcnt(0)
	s_lshr_b32 s2, s6, 5
	v_add_u16_e32 v1, v8, v14
	v_lshrrev_b16_e32 v16, 1, v1
	v_cmp_gt_u32_e32 vcc, s2, v16
	v_mov_b32_e32 v1, v0
	v_mov_b32_e32 v4, v0
	;; [unrolled: 1-line block ×3, first 2 shown]
	s_and_saveexec_b64 s[6:7], vcc
	s_cbranch_execz .LBB42_4
; %bb.1:
	s_load_dwordx4 s[20:23], s[0:1], 0x0
	s_mul_i32 s17, s4, s17
	s_mul_hi_u32 s19, s17, 36
	s_mul_i32 s17, s17, 36
	s_mul_i32 s13, s3, s13
	s_waitcnt lgkmcnt(0)
	s_add_u32 s17, s22, s17
	s_addc_u32 s19, s23, s19
	s_mul_hi_u32 s23, s13, 36
	s_mul_i32 s13, s13, 36
	s_add_u32 s22, s17, s13
	s_mul_hi_u32 s11, s11, s3
	s_addc_u32 s23, s19, s23
	s_add_i32 s11, s3, s11
	s_lshr_b32 s11, s11, s25
	v_and_b32_e32 v1, 1, v14
	v_xor_b32_e32 v3, v8, v14
	s_mul_i32 s17, s11, s12
	s_mul_hi_u32 s11, s15, s4
	v_lshlrev_b32_e32 v6, 3, v1
	v_and_b32_e32 v1, v8, v14
	v_lshrrev_b16_e32 v3, 1, v3
	s_add_i32 s11, s4, s11
	v_add_u16_e32 v1, v1, v3
	s_lshr_b32 s11, s11, s24
	v_lshlrev_b32_e32 v0, 1, v14
	v_mad_u64_u32 v[8:9], s[12:13], v1, 36, s[22:23]
	s_mul_i32 s15, s11, s16
	v_and_b32_e32 v0, 2, v0
	s_add_i32 s12, s5, 1
	v_lshlrev_b32_e32 v2, 1, v0
	v_mov_b32_e32 v7, 0
	v_lshlrev_b32_e32 v17, 2, v0
	s_mul_i32 s16, s5, s8
	s_add_i32 s15, s15, s17
	s_mul_i32 s8, s8, s12
	v_or_b32_e32 v18, 4, v17
	s_lshl_b32 s11, s9, 1
	s_add_i32 s8, s15, s8
	s_add_i32 s15, s15, s16
	s_mov_b64 s[12:13], 0
	s_mov_b32 s19, 0x1000706
	v_lshlrev_b32_e32 v10, 1, v2
	v_lshlrev_b32_e32 v12, 2, v0
	s_mov_b64 s[16:17], 0x900
	v_mov_b32_e32 v11, v7
	v_mov_b32_e32 v13, v7
	;; [unrolled: 1-line block ×8, first 2 shown]
.LBB42_2:                               ; =>This Inner Loop Header: Depth=1
	v_add_u32_e32 v19, s15, v16
	v_lshl_add_u64 v[20:21], v[8:9], 0, v[6:7]
	global_load_dword v46, v[8:9], off
	global_load_dwordx2 v[22:23], v[20:21], off offset:4
	global_load_dwordx2 v[24:25], v[20:21], off offset:20
	v_mad_i64_i32 v[20:21], s[24:25], v19, 22, s[20:21]
	global_load_dword v19, v[20:21], off
	global_load_ushort v53, v[20:21], off offset:4
	v_add_u32_e32 v26, s8, v16
	v_add_u32_e32 v28, s9, v16
	;; [unrolled: 1-line block ×3, first 2 shown]
	v_mad_i64_i32 v[26:27], s[24:25], v26, 22, s[20:21]
	v_mad_u64_u32 v[28:29], s[24:25], v28, 36, s[22:23]
	v_mad_u64_u32 v[30:31], s[24:25], v30, 36, s[22:23]
	v_lshl_add_u64 v[32:33], v[20:21], 0, v[10:11]
	v_lshl_add_u64 v[34:35], v[26:27], 0, v[10:11]
	;; [unrolled: 1-line block ×4, first 2 shown]
	global_load_dword v54, v[32:33], off offset:6
	global_load_dword v55, v[32:33], off offset:10
	global_load_dword v56, v[26:27], off
	global_load_ushort v57, v[26:27], off offset:4
	global_load_dword v58, v[34:35], off offset:6
	global_load_dword v59, v[34:35], off offset:10
	global_load_dwordx2 v[38:39], v[20:21], off offset:20
	global_load_dword v60, v[30:31], off
	global_load_dwordx2 v[40:41], v[20:21], off offset:4
	global_load_dword v61, v[28:29], off
	global_load_dwordx2 v[42:43], v[36:37], off offset:4
	global_load_dwordx2 v[44:45], v[36:37], off offset:20
	v_mov_b32_e32 v47, 0
	v_mov_b32_e32 v48, 0
	;; [unrolled: 1-line block ×6, first 2 shown]
	v_add_u32_e32 v16, 64, v16
	v_cmp_le_u32_e32 vcc, s2, v16
	v_lshl_add_u64 v[8:9], v[8:9], 0, s[16:17]
	s_or_b64 s[12:13], vcc, s[12:13]
	s_waitcnt vmcnt(16)
	v_cvt_f32_f16_e32 v20, v46
	v_cvt_f32_f16_sdwa v21, v46 dst_sel:DWORD dst_unused:UNUSED_PAD src0_sel:WORD_1
	s_waitcnt vmcnt(13)
	v_cvt_f32_f16_e32 v26, v19
	s_waitcnt vmcnt(12)
	v_perm_b32 v27, v19, v53, s19
	v_ashrrev_i32_e32 v19, v17, v27
	v_ashrrev_i32_e32 v28, v18, v27
	s_waitcnt vmcnt(11)
	v_and_b32_e32 v29, 0xf0f0f0f, v54
	v_lshrrev_b32_e32 v30, 4, v54
	s_waitcnt vmcnt(10)
	v_and_b32_e32 v31, 0xf0f0f0f, v55
	v_lshrrev_b32_e32 v32, 4, v55
	s_waitcnt vmcnt(8)
	v_perm_b32 v33, v56, v57, s19
	v_cvt_f32_f16_e32 v27, v56
	v_lshlrev_b32_e32 v46, 4, v19
	v_lshlrev_b32_e32 v53, 11, v19
	v_lshrrev_b32_e32 v54, 12, v19
	v_lshrrev_b32_e32 v55, 5, v19
	v_lshlrev_b32_e32 v56, 2, v19
	v_and_b32_e32 v46, 16, v46
	v_and_b32_e32 v53, 0x1000, v53
	v_and_b32_e32 v54, 16, v54
	v_and_b32_e32 v55, 0x1000, v55
	v_and_b32_e32 v56, 0x100000, v56
	v_or3_b32 v29, v46, v29, v53
	v_lshlrev_b32_e32 v46, 4, v28
	v_lshlrev_b32_e32 v53, 11, v28
	v_or3_b32 v54, v55, v54, v56
	v_lshlrev_b32_e32 v55, 18, v28
	v_and_b32_e32 v46, 16, v46
	v_and_b32_e32 v53, 0x1000, v53
	;; [unrolled: 1-line block ×3, first 2 shown]
	v_lshrrev_b32_e32 v56, 12, v28
	v_or3_b32 v46, v53, v46, v55
	v_lshrrev_b32_e32 v53, 5, v28
	v_lshlrev_b32_e32 v55, 2, v28
	v_and_b32_e32 v56, 16, v56
	v_and_b32_e32 v53, 0x1000, v53
	;; [unrolled: 1-line block ×3, first 2 shown]
	v_or3_b32 v53, v53, v56, v55
	v_lshlrev_b32_e32 v55, 18, v19
	v_lshlrev_b32_e32 v56, 25, v19
	v_and_b32_e32 v55, 0x100000, v55
	v_and_b32_e32 v56, 0x10000000, v56
	v_lshlrev_b32_e32 v19, 9, v19
	v_or3_b32 v29, v29, v55, v56
	v_lshlrev_b32_e32 v55, 25, v28
	v_lshlrev_b32_e32 v28, 9, v28
	v_and_b32_e32 v30, 0xf0f0f0f, v30
	v_and_b32_e32 v32, 0xf0f0f0f, v32
	v_ashrrev_i32_e32 v56, v17, v33
	v_and_b32_e32 v19, 0x10000000, v19
	v_and_b32_e32 v55, 0x10000000, v55
	;; [unrolled: 1-line block ×3, first 2 shown]
	v_or3_b32 v19, v54, v19, v30
	v_lshlrev_b32_e32 v30, 4, v56
	v_lshlrev_b32_e32 v54, 11, v56
	v_or3_b32 v31, v46, v55, v31
	v_lshrrev_b32_e32 v55, 12, v56
	v_or3_b32 v53, v53, v28, v32
	v_lshrrev_b32_e32 v28, 5, v56
	v_lshlrev_b32_e32 v32, 2, v56
	s_waitcnt vmcnt(7)
	v_and_b32_e32 v34, 0xf0f0f0f, v58
	v_ashrrev_i32_e32 v33, v18, v33
	v_and_b32_e32 v30, 16, v30
	v_and_b32_e32 v54, 0x1000, v54
	;; [unrolled: 1-line block ×5, first 2 shown]
	v_or3_b32 v30, v30, v34, v54
	v_lshlrev_b32_e32 v34, 4, v33
	v_lshlrev_b32_e32 v54, 11, v33
	v_or3_b32 v32, v28, v55, v32
	v_lshlrev_b32_e32 v28, 18, v33
	v_and_b32_e32 v34, 16, v34
	v_and_b32_e32 v54, 0x1000, v54
	;; [unrolled: 1-line block ×3, first 2 shown]
	v_lshrrev_b32_e32 v55, 12, v33
	v_or3_b32 v34, v54, v34, v28
	v_lshrrev_b32_e32 v28, 5, v33
	v_lshlrev_b32_e32 v54, 2, v33
	v_and_b32_e32 v55, 16, v55
	v_and_b32_e32 v28, 0x1000, v28
	;; [unrolled: 1-line block ×3, first 2 shown]
	v_lshlrev_b32_e32 v46, 18, v56
	v_or3_b32 v54, v28, v55, v54
	v_lshlrev_b32_e32 v28, 25, v56
	v_lshrrev_b32_e32 v35, 4, v58
	v_and_b32_e32 v46, 0x100000, v46
	v_and_b32_e32 v28, 0x10000000, v28
	v_or3_b32 v46, v30, v46, v28
	v_and_b32_e32 v30, 0xf0f0f0f, v35
	v_lshlrev_b32_e32 v35, 9, v56
	v_and_b32_e32 v35, 0x10000000, v35
	v_or3_b32 v35, v32, v35, v30
	v_lshlrev_b32_e32 v32, 25, v33
	s_waitcnt vmcnt(6)
	v_and_b32_e32 v36, 0xf0f0f0f, v59
	v_lshrrev_b32_e32 v37, 4, v59
	v_and_b32_e32 v32, 0x10000000, v32
	v_lshlrev_b32_e32 v33, 9, v33
	v_dot4c_i32_i8_e32 v47, v29, v22
	s_waitcnt vmcnt(3)
	v_dot4c_i32_i8_e32 v49, v29, v40
	s_waitcnt vmcnt(1)
	v_dot4c_i32_i8_e32 v51, v29, v42
	v_dot4c_i32_i8_e32 v48, v46, v22
	;; [unrolled: 1-line block ×4, first 2 shown]
	v_or3_b32 v57, v34, v32, v36
	v_mul_f32_e32 v32, 0x41000000, v21
	v_and_b32_e32 v21, 0xf0f0f0f, v37
	v_and_b32_e32 v33, 0x10000000, v33
	v_dot4c_i32_i8_e32 v47, v19, v24
	v_dot4c_i32_i8_e32 v49, v19, v38
	s_waitcnt vmcnt(0)
	v_dot4c_i32_i8_e32 v51, v19, v44
	v_dot4c_i32_i8_e32 v48, v35, v24
	;; [unrolled: 1-line block ×4, first 2 shown]
	v_or3_b32 v21, v54, v33, v21
	v_dot4c_i32_i8_e32 v47, v31, v23
	v_dot4c_i32_i8_e32 v49, v31, v41
	;; [unrolled: 1-line block ×6, first 2 shown]
	v_cvt_f32_f16_sdwa v55, v61 dst_sel:DWORD dst_unused:UNUSED_PAD src0_sel:WORD_1
	v_cvt_f32_f16_sdwa v56, v60 dst_sel:DWORD dst_unused:UNUSED_PAD src0_sel:WORD_1
	v_dot4c_i32_i8_e32 v47, v53, v25
	v_dot4c_i32_i8_e32 v49, v53, v39
	;; [unrolled: 1-line block ×6, first 2 shown]
	v_cvt_f32_f16_e32 v28, v61
	v_cvt_f32_f16_e32 v30, v60
	v_cvt_f32_i32_e32 v22, v47
	v_cvt_f32_i32_e32 v24, v49
	;; [unrolled: 1-line block ×6, first 2 shown]
	v_mul_f32_e32 v34, 0x41000000, v55
	v_mul_f32_e32 v36, 0x41000000, v56
	v_pk_fma_f32 v[20:21], v[20:21], v[22:23], v[32:33] op_sel_hi:[0,1,0] neg_lo:[0,0,1] neg_hi:[0,0,1]
	v_pk_fma_f32 v[22:23], v[28:29], v[24:25], v[34:35] op_sel_hi:[0,1,0] neg_lo:[0,0,1] neg_hi:[0,0,1]
	;; [unrolled: 1-line block ×3, first 2 shown]
	v_pk_fma_f32 v[2:3], v[20:21], v[26:27], v[2:3]
	v_pk_fma_f32 v[4:5], v[22:23], v[26:27], v[4:5]
	;; [unrolled: 1-line block ×3, first 2 shown]
	s_andn2_b64 exec, exec, s[12:13]
	s_cbranch_execnz .LBB42_2
; %bb.3:
	s_or_b64 exec, exec, s[12:13]
	scratch_store_dwordx4 off, v[2:5], off
	scratch_store_dwordx2 off, v[0:1], off offset:16
.LBB42_4:
	s_or_b64 exec, exec, s[6:7]
	v_cmp_eq_u32_e32 vcc, 0, v15
	v_cmp_ne_u32_e64 s[6:7], 0, v15
	v_lshlrev_b32_e32 v6, 2, v14
	s_and_saveexec_b64 s[8:9], s[6:7]
	s_cbranch_execz .LBB42_6
; %bb.5:
	v_mul_u32_u24_e32 v7, 0x600, v15
	s_movk_i32 s2, 0xfa00
	v_add3_u32 v7, v7, v6, s2
	ds_write2st64_b32 v7, v2, v3 offset1:1
	ds_write2st64_b32 v7, v4, v5 offset0:2 offset1:3
	ds_write2st64_b32 v7, v0, v1 offset0:4 offset1:5
.LBB42_6:
	s_or_b64 exec, exec, s[8:9]
	s_waitcnt lgkmcnt(0)
	s_barrier
	s_and_saveexec_b64 s[6:7], vcc
	s_cbranch_execz .LBB42_13
; %bb.7:
	scratch_load_dwordx2 v[2:3], off, off
	v_mbcnt_lo_u32_b32 v0, -1, 0
	ds_read2st64_b32 v[4:5], v6 offset1:1
	v_mbcnt_hi_u32_b32 v7, -1, v0
	v_and_b32_e32 v0, 64, v7
	v_xor_b32_e32 v1, 32, v7
	v_add_u32_e32 v12, 64, v0
	v_cmp_lt_i32_e32 vcc, v1, v12
	v_xor_b32_e32 v8, 16, v7
	v_xor_b32_e32 v10, 8, v7
	v_cndmask_b32_e32 v0, v7, v1, vcc
	v_lshlrev_b32_e32 v0, 2, v0
	v_cmp_lt_i32_e32 vcc, v8, v12
	v_xor_b32_e32 v11, 4, v7
	v_xor_b32_e32 v13, 2, v7
	v_cndmask_b32_e32 v1, v7, v8, vcc
	v_lshlrev_b32_e32 v1, 2, v1
	v_cmp_lt_i32_e32 vcc, v10, v12
	v_xor_b32_e32 v15, 1, v7
	s_load_dwordx2 s[0:1], s[0:1], 0x38
	s_mul_i32 s2, s3, s14
	s_mul_i32 s4, s4, s18
	s_add_i32 s2, s2, s5
	s_mov_b32 s3, 0
	s_add_i32 s2, s2, s4
	s_lshl_b64 s[2:3], s[2:3], 2
	s_waitcnt lgkmcnt(0)
	s_add_u32 s2, s0, s2
	s_addc_u32 s3, s1, s3
	s_waitcnt vmcnt(0)
	v_pk_add_f32 v[2:3], v[4:5], v[2:3]
	ds_bpermute_b32 v4, v0, v2
	ds_bpermute_b32 v5, v0, v3
	s_waitcnt lgkmcnt(0)
	v_pk_add_f32 v[4:5], v[2:3], v[4:5]
	ds_bpermute_b32 v8, v1, v4
	ds_bpermute_b32 v9, v1, v5
	v_cndmask_b32_e32 v2, v7, v10, vcc
	v_lshlrev_b32_e32 v2, 2, v2
	v_cmp_lt_i32_e32 vcc, v11, v12
	s_waitcnt lgkmcnt(0)
	v_pk_add_f32 v[4:5], v[4:5], v[8:9]
	ds_bpermute_b32 v8, v2, v4
	ds_bpermute_b32 v9, v2, v5
	v_cndmask_b32_e32 v3, v7, v11, vcc
	v_lshlrev_b32_e32 v3, 2, v3
	v_cmp_lt_i32_e32 vcc, v13, v12
	;; [unrolled: 7-line block ×3, first 2 shown]
	s_waitcnt lgkmcnt(0)
	v_pk_add_f32 v[8:9], v[8:9], v[10:11]
	ds_bpermute_b32 v10, v4, v8
	ds_bpermute_b32 v11, v4, v9
	v_cndmask_b32_e32 v5, v7, v15, vcc
	v_lshlrev_b32_e32 v5, 2, v5
	v_or_b32_e32 v7, s5, v14
	v_cmp_gt_u32_e32 vcc, 2, v14
	s_waitcnt lgkmcnt(0)
	v_pk_add_f32 v[8:9], v[8:9], v[10:11]
	ds_bpermute_b32 v10, v5, v8
	ds_bpermute_b32 v11, v5, v9
	v_cmp_gt_u32_e64 s[0:1], s10, v7
	s_and_b64 s[0:1], vcc, s[0:1]
	s_waitcnt lgkmcnt(0)
	v_pk_add_f32 v[8:9], v[8:9], v[10:11]
	scratch_store_dwordx2 off, v[8:9], off
	s_and_saveexec_b64 s[4:5], s[0:1]
	s_cbranch_execz .LBB42_9
; %bb.8:
	scratch_load_dword v7, v6, off
	s_waitcnt vmcnt(0)
	global_store_dword v6, v7, s[2:3]
.LBB42_9:
	s_or_b64 exec, exec, s[4:5]
	scratch_load_dwordx2 v[8:9], off, off offset:8
	ds_read2st64_b32 v[10:11], v6 offset0:2 offset1:3
	s_waitcnt vmcnt(0) lgkmcnt(0)
	v_pk_add_f32 v[8:9], v[10:11], v[8:9]
	ds_bpermute_b32 v10, v0, v8
	ds_bpermute_b32 v11, v0, v9
	s_waitcnt lgkmcnt(0)
	v_pk_add_f32 v[8:9], v[8:9], v[10:11]
	ds_bpermute_b32 v10, v1, v8
	ds_bpermute_b32 v11, v1, v9
	s_waitcnt lgkmcnt(0)
	;; [unrolled: 4-line block ×6, first 2 shown]
	v_pk_add_f32 v[8:9], v[8:9], v[10:11]
	scratch_store_dwordx2 off, v[8:9], off offset:8
	s_and_saveexec_b64 s[4:5], s[0:1]
	s_cbranch_execz .LBB42_11
; %bb.10:
	scratch_load_dword v7, v6, off offset:8
	v_add_u32_e32 v8, s10, v14
	v_mov_b32_e32 v9, 0
	v_lshl_add_u64 v[8:9], v[8:9], 2, s[2:3]
	s_waitcnt vmcnt(0)
	global_store_dword v[8:9], v7, off
.LBB42_11:
	s_or_b64 exec, exec, s[4:5]
	scratch_load_dwordx2 v[8:9], off, off offset:16
	ds_read2st64_b32 v[10:11], v6 offset0:4 offset1:5
	s_waitcnt vmcnt(0) lgkmcnt(0)
	v_pk_add_f32 v[8:9], v[10:11], v[8:9]
	ds_bpermute_b32 v10, v0, v8
	ds_bpermute_b32 v11, v0, v9
	s_waitcnt lgkmcnt(0)
	v_pk_add_f32 v[8:9], v[8:9], v[10:11]
	ds_bpermute_b32 v0, v1, v8
	ds_bpermute_b32 v1, v1, v9
	s_waitcnt lgkmcnt(0)
	;; [unrolled: 4-line block ×6, first 2 shown]
	v_pk_add_f32 v[0:1], v[0:1], v[2:3]
	scratch_store_dwordx2 off, v[0:1], off offset:16
	s_and_b64 exec, exec, s[0:1]
	s_cbranch_execz .LBB42_13
; %bb.12:
	scratch_load_dword v2, v6, off offset:16
	v_lshl_or_b32 v0, s10, 1, v14
	v_mov_b32_e32 v1, 0
	v_lshl_add_u64 v[0:1], v[0:1], 2, s[2:3]
	s_waitcnt vmcnt(0)
	global_store_dword v[0:1], v2, off
.LBB42_13:
	s_endpgm
	.section	.rodata,"a",@progbits
	.p2align	6, 0x0
	.amdhsa_kernel _ZL13mul_mat_vec_qIL9ggml_type6ELi3ELb0ELb0EEvPKvS2_PKi31ggml_cuda_mm_fusion_args_devicePfj15HIP_vector_typeIjLj3EEjjjS8_jjjS8_jjjj
		.amdhsa_group_segment_fixed_size 1536
		.amdhsa_private_segment_fixed_size 32
		.amdhsa_kernarg_size 144
		.amdhsa_user_sgpr_count 2
		.amdhsa_user_sgpr_dispatch_ptr 0
		.amdhsa_user_sgpr_queue_ptr 0
		.amdhsa_user_sgpr_kernarg_segment_ptr 1
		.amdhsa_user_sgpr_dispatch_id 0
		.amdhsa_user_sgpr_kernarg_preload_length 0
		.amdhsa_user_sgpr_kernarg_preload_offset 0
		.amdhsa_user_sgpr_private_segment_size 0
		.amdhsa_uses_dynamic_stack 0
		.amdhsa_enable_private_segment 1
		.amdhsa_system_sgpr_workgroup_id_x 1
		.amdhsa_system_sgpr_workgroup_id_y 1
		.amdhsa_system_sgpr_workgroup_id_z 1
		.amdhsa_system_sgpr_workgroup_info 0
		.amdhsa_system_vgpr_workitem_id 1
		.amdhsa_next_free_vgpr 62
		.amdhsa_next_free_sgpr 26
		.amdhsa_accum_offset 64
		.amdhsa_reserve_vcc 1
		.amdhsa_float_round_mode_32 0
		.amdhsa_float_round_mode_16_64 0
		.amdhsa_float_denorm_mode_32 3
		.amdhsa_float_denorm_mode_16_64 3
		.amdhsa_dx10_clamp 1
		.amdhsa_ieee_mode 1
		.amdhsa_fp16_overflow 0
		.amdhsa_tg_split 0
		.amdhsa_exception_fp_ieee_invalid_op 0
		.amdhsa_exception_fp_denorm_src 0
		.amdhsa_exception_fp_ieee_div_zero 0
		.amdhsa_exception_fp_ieee_overflow 0
		.amdhsa_exception_fp_ieee_underflow 0
		.amdhsa_exception_fp_ieee_inexact 0
		.amdhsa_exception_int_div_zero 0
	.end_amdhsa_kernel
	.section	.text._ZL13mul_mat_vec_qIL9ggml_type6ELi3ELb0ELb0EEvPKvS2_PKi31ggml_cuda_mm_fusion_args_devicePfj15HIP_vector_typeIjLj3EEjjjS8_jjjS8_jjjj,"axG",@progbits,_ZL13mul_mat_vec_qIL9ggml_type6ELi3ELb0ELb0EEvPKvS2_PKi31ggml_cuda_mm_fusion_args_devicePfj15HIP_vector_typeIjLj3EEjjjS8_jjjS8_jjjj,comdat
.Lfunc_end42:
	.size	_ZL13mul_mat_vec_qIL9ggml_type6ELi3ELb0ELb0EEvPKvS2_PKi31ggml_cuda_mm_fusion_args_devicePfj15HIP_vector_typeIjLj3EEjjjS8_jjjS8_jjjj, .Lfunc_end42-_ZL13mul_mat_vec_qIL9ggml_type6ELi3ELb0ELb0EEvPKvS2_PKi31ggml_cuda_mm_fusion_args_devicePfj15HIP_vector_typeIjLj3EEjjjS8_jjjS8_jjjj
                                        ; -- End function
	.section	.AMDGPU.csdata,"",@progbits
; Kernel info:
; codeLenInByte = 2560
; NumSgprs: 32
; NumVgprs: 62
; NumAgprs: 0
; TotalNumVgprs: 62
; ScratchSize: 32
; MemoryBound: 0
; FloatMode: 240
; IeeeMode: 1
; LDSByteSize: 1536 bytes/workgroup (compile time only)
; SGPRBlocks: 3
; VGPRBlocks: 7
; NumSGPRsForWavesPerEU: 32
; NumVGPRsForWavesPerEU: 62
; AccumOffset: 64
; Occupancy: 8
; WaveLimiterHint : 0
; COMPUTE_PGM_RSRC2:SCRATCH_EN: 1
; COMPUTE_PGM_RSRC2:USER_SGPR: 2
; COMPUTE_PGM_RSRC2:TRAP_HANDLER: 0
; COMPUTE_PGM_RSRC2:TGID_X_EN: 1
; COMPUTE_PGM_RSRC2:TGID_Y_EN: 1
; COMPUTE_PGM_RSRC2:TGID_Z_EN: 1
; COMPUTE_PGM_RSRC2:TIDIG_COMP_CNT: 1
; COMPUTE_PGM_RSRC3_GFX90A:ACCUM_OFFSET: 15
; COMPUTE_PGM_RSRC3_GFX90A:TG_SPLIT: 0
	.section	.text._ZL13mul_mat_vec_qIL9ggml_type6ELi4ELb0ELb0EEvPKvS2_PKi31ggml_cuda_mm_fusion_args_devicePfj15HIP_vector_typeIjLj3EEjjjS8_jjjS8_jjjj,"axG",@progbits,_ZL13mul_mat_vec_qIL9ggml_type6ELi4ELb0ELb0EEvPKvS2_PKi31ggml_cuda_mm_fusion_args_devicePfj15HIP_vector_typeIjLj3EEjjjS8_jjjS8_jjjj,comdat
	.globl	_ZL13mul_mat_vec_qIL9ggml_type6ELi4ELb0ELb0EEvPKvS2_PKi31ggml_cuda_mm_fusion_args_devicePfj15HIP_vector_typeIjLj3EEjjjS8_jjjS8_jjjj ; -- Begin function _ZL13mul_mat_vec_qIL9ggml_type6ELi4ELb0ELb0EEvPKvS2_PKi31ggml_cuda_mm_fusion_args_devicePfj15HIP_vector_typeIjLj3EEjjjS8_jjjS8_jjjj
	.p2align	8
	.type	_ZL13mul_mat_vec_qIL9ggml_type6ELi4ELb0ELb0EEvPKvS2_PKi31ggml_cuda_mm_fusion_args_devicePfj15HIP_vector_typeIjLj3EEjjjS8_jjjS8_jjjj,@function
_ZL13mul_mat_vec_qIL9ggml_type6ELi4ELb0ELb0EEvPKvS2_PKi31ggml_cuda_mm_fusion_args_devicePfj15HIP_vector_typeIjLj3EEjjjS8_jjjS8_jjjj: ; @_ZL13mul_mat_vec_qIL9ggml_type6ELi4ELb0ELb0EEvPKvS2_PKi31ggml_cuda_mm_fusion_args_devicePfj15HIP_vector_typeIjLj3EEjjjS8_jjjS8_jjjj
; %bb.0:
	s_mov_b32 s20, 0
	s_mov_b32 s21, s20
	v_bfe_u32 v9, v0, 10, 10
	v_and_b32_e32 v8, 0x3ff, v0
	s_mov_b32 s22, s20
	s_mov_b32 s23, s20
	v_mov_b64_e32 v[0:1], s[20:21]
	v_lshlrev_b32_e32 v12, 6, v9
	v_mov_b64_e32 v[2:3], s[22:23]
	s_load_dword s6, s[0:1], 0x40
	s_load_dwordx4 s[8:11], s[0:1], 0x50
	s_load_dword s25, s[0:1], 0x60
	s_load_dwordx4 s[12:15], s[0:1], 0x68
	;; [unrolled: 2-line block ×3, first 2 shown]
	scratch_store_dwordx4 off, v[0:3], off offset:16
	scratch_store_dwordx4 off, v[0:3], off
	s_lshl_b32 s5, s2, 1
	s_waitcnt lgkmcnt(0)
	s_lshr_b32 s2, s6, 5
	v_add_u16_e32 v0, v12, v8
	v_lshrrev_b16_e32 v18, 1, v0
	v_mov_b32_e32 v3, 0
	v_cmp_gt_u32_e32 vcc, s2, v18
	v_mov_b32_e32 v4, 0
	v_mov_b32_e32 v2, v3
	;; [unrolled: 1-line block ×7, first 2 shown]
	s_and_saveexec_b64 s[6:7], vcc
	s_cbranch_execz .LBB43_4
; %bb.1:
	s_load_dwordx4 s[20:23], s[0:1], 0x0
	s_mul_i32 s17, s4, s17
	s_mul_hi_u32 s19, s17, 36
	s_mul_i32 s17, s17, 36
	s_mul_i32 s13, s3, s13
	s_waitcnt lgkmcnt(0)
	s_add_u32 s17, s22, s17
	s_addc_u32 s19, s23, s19
	s_mul_hi_u32 s23, s13, 36
	s_mul_i32 s13, s13, 36
	s_add_u32 s22, s17, s13
	s_mul_hi_u32 s11, s11, s3
	s_addc_u32 s23, s19, s23
	s_add_i32 s11, s3, s11
	s_lshr_b32 s11, s11, s25
	v_and_b32_e32 v1, 1, v8
	v_xor_b32_e32 v3, v12, v8
	s_mul_i32 s17, s11, s12
	s_mul_hi_u32 s11, s15, s4
	v_lshlrev_b32_e32 v10, 3, v1
	v_and_b32_e32 v1, v12, v8
	v_lshrrev_b16_e32 v3, 1, v3
	s_add_i32 s11, s4, s11
	v_add_u16_e32 v1, v1, v3
	s_lshr_b32 s11, s11, s24
	v_lshlrev_b32_e32 v0, 1, v8
	v_mad_u64_u32 v[12:13], s[12:13], v1, 36, s[22:23]
	s_mul_i32 s16, s11, s16
	v_and_b32_e32 v0, 2, v0
	s_add_i32 s13, s5, 1
	v_lshlrev_b32_e32 v2, 1, v0
	v_mov_b32_e32 v11, 0
	v_lshlrev_b32_e32 v19, 2, v0
	s_mul_i32 s19, s5, s8
	s_add_i32 s12, s16, s17
	s_mul_i32 s8, s8, s13
	v_or_b32_e32 v20, 4, v19
	s_lshl_b32 s11, s9, 1
	s_mul_i32 s15, s9, 3
	s_add_i32 s8, s12, s8
	s_add_i32 s19, s12, s19
	s_mov_b64 s[12:13], 0
	s_mov_b32 s24, 0x1000706
	v_lshlrev_b32_e32 v14, 1, v2
	v_lshlrev_b32_e32 v16, 2, v0
	s_mov_b64 s[16:17], 0x900
	v_mov_b32_e32 v15, v11
	v_mov_b32_e32 v17, v11
	;; [unrolled: 1-line block ×10, first 2 shown]
.LBB43_2:                               ; =>This Inner Loop Header: Depth=1
	v_add_u32_e32 v21, s19, v18
	v_lshl_add_u64 v[22:23], v[12:13], 0, v[10:11]
	global_load_dword v48, v[12:13], off
	global_load_dwordx2 v[24:25], v[22:23], off offset:4
	global_load_dwordx2 v[26:27], v[22:23], off offset:20
	v_mad_i64_i32 v[22:23], s[26:27], v21, 22, s[20:21]
	global_load_dword v21, v[22:23], off
	global_load_ushort v54, v[22:23], off offset:4
	v_add_u32_e32 v28, s8, v18
	v_add_u32_e32 v30, s9, v18
	;; [unrolled: 1-line block ×4, first 2 shown]
	v_mad_i64_i32 v[28:29], s[26:27], v28, 22, s[20:21]
	v_mad_u64_u32 v[30:31], s[26:27], v30, 36, s[22:23]
	v_mad_u64_u32 v[32:33], s[26:27], v32, 36, s[22:23]
	;; [unrolled: 1-line block ×3, first 2 shown]
	v_lshl_add_u64 v[36:37], v[22:23], 0, v[14:15]
	v_lshl_add_u64 v[38:39], v[28:29], 0, v[14:15]
	;; [unrolled: 1-line block ×5, first 2 shown]
	global_load_dword v55, v[36:37], off offset:6
	global_load_dword v56, v[36:37], off offset:10
	global_load_dword v57, v[28:29], off
	global_load_ushort v58, v[28:29], off offset:4
	global_load_dword v59, v[38:39], off offset:6
	global_load_dword v60, v[38:39], off offset:10
	global_load_dwordx2 v[44:45], v[40:41], off offset:20
	global_load_dword v61, v[32:33], off
	global_load_dwordx2 v[46:47], v[40:41], off offset:4
	global_load_dword v62, v[30:31], off
                                        ; kill: killed $vgpr36_vgpr37
                                        ; kill: killed $vgpr30_vgpr31
                                        ; kill: killed $vgpr38_vgpr39
                                        ; kill: killed $vgpr28_vgpr29
                                        ; kill: killed $vgpr40_vgpr41
                                        ; kill: killed $vgpr32_vgpr33
	global_load_dwordx2 v[28:29], v[22:23], off offset:4
	s_nop 0
	global_load_dwordx2 v[30:31], v[22:23], off offset:20
	global_load_dwordx2 v[32:33], v[42:43], off offset:20
	;; [unrolled: 1-line block ×3, first 2 shown]
	global_load_dword v39, v[34:35], off
	v_mov_b32_e32 v49, 0
	v_mov_b32_e32 v50, 0
	;; [unrolled: 1-line block ×6, first 2 shown]
	v_add_u32_e32 v18, 64, v18
	v_cmp_le_u32_e32 vcc, s2, v18
	v_lshl_add_u64 v[12:13], v[12:13], 0, s[16:17]
	s_or_b64 s[12:13], vcc, s[12:13]
	s_waitcnt vmcnt(14)
	v_and_b32_e32 v34, 0xf0f0f0f, v55
	v_lshrrev_b32_e32 v35, 4, v55
	v_perm_b32 v22, v21, v54, s24
	v_ashrrev_i32_e32 v23, v19, v22
	s_waitcnt vmcnt(13)
	v_and_b32_e32 v38, 0xf0f0f0f, v56
	v_lshrrev_b32_e32 v40, 4, v56
	v_lshlrev_b32_e32 v42, 4, v23
	v_lshlrev_b32_e32 v43, 11, v23
	v_lshrrev_b32_e32 v54, 12, v23
	v_lshrrev_b32_e32 v55, 5, v23
	v_lshlrev_b32_e32 v56, 2, v23
	v_ashrrev_i32_e32 v22, v20, v22
	v_and_b32_e32 v42, 16, v42
	v_and_b32_e32 v43, 0x1000, v43
	;; [unrolled: 1-line block ×5, first 2 shown]
	v_or3_b32 v34, v42, v34, v43
	v_lshlrev_b32_e32 v42, 4, v22
	v_lshlrev_b32_e32 v43, 11, v22
	v_or3_b32 v54, v55, v54, v56
	v_lshlrev_b32_e32 v55, 18, v22
	v_and_b32_e32 v42, 16, v42
	v_and_b32_e32 v43, 0x1000, v43
	;; [unrolled: 1-line block ×3, first 2 shown]
	v_lshrrev_b32_e32 v56, 12, v22
	v_or3_b32 v42, v43, v42, v55
	v_lshrrev_b32_e32 v43, 5, v22
	v_lshlrev_b32_e32 v55, 2, v22
	v_and_b32_e32 v56, 16, v56
	v_and_b32_e32 v43, 0x1000, v43
	;; [unrolled: 1-line block ×3, first 2 shown]
	v_or3_b32 v43, v43, v56, v55
	v_lshlrev_b32_e32 v55, 18, v23
	v_lshlrev_b32_e32 v56, 25, v23
	v_and_b32_e32 v55, 0x100000, v55
	v_and_b32_e32 v56, 0x10000000, v56
	v_lshlrev_b32_e32 v23, 9, v23
	s_waitcnt vmcnt(11)
	v_perm_b32 v41, v57, v58, s24
	v_or3_b32 v55, v34, v55, v56
	v_and_b32_e32 v35, 0xf0f0f0f, v35
	v_lshlrev_b32_e32 v56, 25, v22
	v_lshlrev_b32_e32 v22, 9, v22
	v_and_b32_e32 v23, 0x10000000, v23
	v_and_b32_e32 v40, 0xf0f0f0f, v40
	v_or3_b32 v23, v54, v23, v35
	v_ashrrev_i32_e32 v35, v19, v41
	v_and_b32_e32 v54, 0x10000000, v56
	v_and_b32_e32 v22, 0x10000000, v22
	v_lshlrev_b32_e32 v56, 4, v35
	v_or3_b32 v42, v42, v54, v38
	v_lshlrev_b32_e32 v38, 11, v35
	v_lshrrev_b32_e32 v54, 12, v35
	v_or3_b32 v43, v43, v22, v40
	v_lshrrev_b32_e32 v22, 5, v35
	v_lshlrev_b32_e32 v40, 2, v35
	s_waitcnt vmcnt(10)
	v_and_b32_e32 v34, 0xf0f0f0f, v59
	v_ashrrev_i32_e32 v41, v20, v41
	v_and_b32_e32 v56, 16, v56
	v_and_b32_e32 v38, 0x1000, v38
	v_and_b32_e32 v54, 16, v54
	v_and_b32_e32 v22, 0x1000, v22
	v_and_b32_e32 v40, 0x100000, v40
	v_or3_b32 v34, v56, v34, v38
	v_lshlrev_b32_e32 v38, 4, v41
	v_lshlrev_b32_e32 v56, 11, v41
	v_or3_b32 v22, v22, v54, v40
	v_lshlrev_b32_e32 v40, 18, v41
	v_and_b32_e32 v38, 16, v38
	v_and_b32_e32 v56, 0x1000, v56
	;; [unrolled: 1-line block ×3, first 2 shown]
	v_lshrrev_b32_e32 v54, 12, v41
	v_or3_b32 v38, v56, v38, v40
	v_lshrrev_b32_e32 v40, 5, v41
	v_lshlrev_b32_e32 v56, 2, v41
	v_and_b32_e32 v54, 16, v54
	v_and_b32_e32 v40, 0x1000, v40
	;; [unrolled: 1-line block ×3, first 2 shown]
	v_or3_b32 v40, v40, v54, v56
	v_lshlrev_b32_e32 v54, 18, v35
	v_lshlrev_b32_e32 v56, 25, v35
	v_and_b32_e32 v54, 0x100000, v54
	v_and_b32_e32 v56, 0x10000000, v56
	v_or3_b32 v54, v34, v54, v56
	v_lshrrev_b32_e32 v34, 4, v59
	v_lshlrev_b32_e32 v35, 9, v35
	v_and_b32_e32 v34, 0xf0f0f0f, v34
	v_and_b32_e32 v35, 0x10000000, v35
	v_or3_b32 v59, v22, v35, v34
	v_lshlrev_b32_e32 v34, 25, v41
	v_mov_b32_e32 v56, 0
	v_mov_b32_e32 v58, 0
	s_waitcnt vmcnt(9)
	v_and_b32_e32 v22, 0xf0f0f0f, v60
	v_and_b32_e32 v34, 0x10000000, v34
	v_or3_b32 v63, v38, v34, v22
	v_lshrrev_b32_e32 v22, 4, v60
	v_lshlrev_b32_e32 v34, 9, v41
	v_dot4c_i32_i8_e32 v49, v55, v24
	s_waitcnt vmcnt(6)
	v_dot4c_i32_i8_e32 v51, v55, v46
	s_waitcnt vmcnt(4)
	;; [unrolled: 2-line block ×3, first 2 shown]
	v_dot4c_i32_i8_e32 v58, v55, v36
	v_dot4c_i32_i8_e32 v50, v54, v24
	;; [unrolled: 1-line block ×5, first 2 shown]
	v_and_b32_e32 v22, 0xf0f0f0f, v22
	v_and_b32_e32 v34, 0x10000000, v34
	v_dot4c_i32_i8_e32 v49, v23, v26
	v_dot4c_i32_i8_e32 v50, v59, v26
	;; [unrolled: 1-line block ×8, first 2 shown]
	v_or3_b32 v41, v40, v34, v22
	v_dot4c_i32_i8_e32 v49, v42, v25
	v_dot4c_i32_i8_e32 v50, v63, v25
	;; [unrolled: 1-line block ×8, first 2 shown]
	v_cvt_f32_f16_sdwa v40, v48 dst_sel:DWORD dst_unused:UNUSED_PAD src0_sel:WORD_1
	v_cvt_f32_f16_e32 v34, v21
	v_cvt_f32_f16_sdwa v21, v62 dst_sel:DWORD dst_unused:UNUSED_PAD src0_sel:WORD_1
	v_cvt_f32_f16_sdwa v25, v61 dst_sel:DWORD dst_unused:UNUSED_PAD src0_sel:WORD_1
	s_waitcnt vmcnt(0)
	v_cvt_f32_f16_e32 v26, v39
	v_cvt_f32_f16_sdwa v39, v39 dst_sel:DWORD dst_unused:UNUSED_PAD src0_sel:WORD_1
	v_dot4c_i32_i8_e32 v49, v43, v27
	v_dot4c_i32_i8_e32 v51, v43, v45
	;; [unrolled: 1-line block ×8, first 2 shown]
	v_cvt_f32_f16_e32 v22, v48
	v_cvt_f32_f16_e32 v38, v62
	;; [unrolled: 1-line block ×3, first 2 shown]
	v_cvt_f32_i32_e32 v32, v49
	v_cvt_f32_i32_e32 v42, v51
	;; [unrolled: 1-line block ×8, first 2 shown]
	v_cvt_f32_f16_e32 v35, v57
	v_mul_f32_e32 v40, 0x41000000, v40
	v_mul_f32_e32 v28, 0x41000000, v21
	;; [unrolled: 1-line block ×4, first 2 shown]
	v_pk_fma_f32 v[22:23], v[22:23], v[32:33], v[40:41] op_sel_hi:[0,1,0] neg_lo:[0,0,1] neg_hi:[0,0,1]
	v_pk_fma_f32 v[28:29], v[38:39], v[42:43], v[28:29] op_sel_hi:[0,1,0] neg_lo:[0,0,1] neg_hi:[0,0,1]
	;; [unrolled: 1-line block ×4, first 2 shown]
	v_pk_fma_f32 v[4:5], v[22:23], v[34:35], v[4:5]
	v_pk_fma_f32 v[6:7], v[28:29], v[34:35], v[6:7]
	;; [unrolled: 1-line block ×4, first 2 shown]
	s_andn2_b64 exec, exec, s[12:13]
	s_cbranch_execnz .LBB43_2
; %bb.3:
	s_or_b64 exec, exec, s[12:13]
	scratch_store_dwordx4 off, v[4:7], off
	scratch_store_dwordx4 off, v[0:3], off offset:16
.LBB43_4:
	s_or_b64 exec, exec, s[6:7]
	v_cmp_eq_u32_e32 vcc, 0, v9
	v_cmp_ne_u32_e64 s[6:7], 0, v9
	v_lshlrev_b32_e32 v10, 2, v8
	s_and_saveexec_b64 s[8:9], s[6:7]
	s_cbranch_execz .LBB43_6
; %bb.5:
	v_lshlrev_b32_e32 v9, 11, v9
	s_movk_i32 s2, 0xf800
	v_add3_u32 v9, v9, v10, s2
	ds_write2st64_b32 v9, v4, v5 offset1:1
	ds_write2st64_b32 v9, v6, v7 offset0:2 offset1:3
	ds_write2st64_b32 v9, v0, v1 offset0:4 offset1:5
	;; [unrolled: 1-line block ×3, first 2 shown]
.LBB43_6:
	s_or_b64 exec, exec, s[8:9]
	s_waitcnt lgkmcnt(0)
	s_barrier
	s_and_saveexec_b64 s[6:7], vcc
	s_cbranch_execz .LBB43_15
; %bb.7:
	scratch_load_dwordx2 v[2:3], off, off
	v_mbcnt_lo_u32_b32 v0, -1, 0
	ds_read2st64_b32 v[4:5], v10 offset1:1
	v_mbcnt_hi_u32_b32 v9, -1, v0
	v_and_b32_e32 v0, 64, v9
	v_xor_b32_e32 v1, 32, v9
	v_add_u32_e32 v14, 64, v0
	v_cmp_lt_i32_e32 vcc, v1, v14
	v_xor_b32_e32 v6, 16, v9
	v_xor_b32_e32 v11, 8, v9
	v_cndmask_b32_e32 v0, v9, v1, vcc
	v_lshlrev_b32_e32 v0, 2, v0
	v_cmp_lt_i32_e32 vcc, v6, v14
	v_xor_b32_e32 v12, 4, v9
	v_xor_b32_e32 v15, 2, v9
	v_cndmask_b32_e32 v1, v9, v6, vcc
	v_lshlrev_b32_e32 v1, 2, v1
	v_cmp_lt_i32_e32 vcc, v11, v14
	s_load_dwordx2 s[0:1], s[0:1], 0x38
	s_mul_i32 s2, s3, s14
	s_mul_i32 s4, s4, s18
	s_add_i32 s2, s2, s5
	s_mov_b32 s3, 0
	s_add_i32 s2, s2, s4
	s_lshl_b64 s[2:3], s[2:3], 2
	s_waitcnt lgkmcnt(0)
	s_add_u32 s2, s0, s2
	s_addc_u32 s3, s1, s3
	s_waitcnt vmcnt(0)
	v_pk_add_f32 v[2:3], v[4:5], v[2:3]
	ds_bpermute_b32 v4, v0, v2
	ds_bpermute_b32 v5, v0, v3
	s_waitcnt lgkmcnt(0)
	v_pk_add_f32 v[4:5], v[2:3], v[4:5]
	ds_bpermute_b32 v6, v1, v4
	ds_bpermute_b32 v7, v1, v5
	v_cndmask_b32_e32 v2, v9, v11, vcc
	v_lshlrev_b32_e32 v2, 2, v2
	v_cmp_lt_i32_e32 vcc, v12, v14
	v_xor_b32_e32 v11, 1, v9
	s_waitcnt lgkmcnt(0)
	v_pk_add_f32 v[4:5], v[4:5], v[6:7]
	ds_bpermute_b32 v6, v2, v4
	ds_bpermute_b32 v7, v2, v5
	v_cndmask_b32_e32 v3, v9, v12, vcc
	v_lshlrev_b32_e32 v3, 2, v3
	v_cmp_lt_i32_e32 vcc, v15, v14
	s_waitcnt lgkmcnt(0)
	v_pk_add_f32 v[6:7], v[4:5], v[6:7]
	ds_bpermute_b32 v12, v3, v6
	ds_bpermute_b32 v13, v3, v7
	v_cndmask_b32_e32 v4, v9, v15, vcc
	v_lshlrev_b32_e32 v4, 2, v4
	v_cmp_lt_i32_e32 vcc, v11, v14
	s_waitcnt lgkmcnt(0)
	v_pk_add_f32 v[6:7], v[6:7], v[12:13]
	ds_bpermute_b32 v12, v4, v6
	ds_bpermute_b32 v13, v4, v7
	v_cndmask_b32_e32 v5, v9, v11, vcc
	v_lshlrev_b32_e32 v5, 2, v5
	v_or_b32_e32 v9, s5, v8
	v_cmp_gt_u32_e32 vcc, 2, v8
	s_waitcnt lgkmcnt(0)
	v_pk_add_f32 v[6:7], v[6:7], v[12:13]
	ds_bpermute_b32 v12, v5, v6
	ds_bpermute_b32 v13, v5, v7
	v_cmp_gt_u32_e64 s[0:1], s10, v9
	s_and_b64 s[0:1], vcc, s[0:1]
	s_waitcnt lgkmcnt(0)
	v_pk_add_f32 v[6:7], v[6:7], v[12:13]
	scratch_store_dwordx2 off, v[6:7], off
	s_and_saveexec_b64 s[4:5], s[0:1]
	s_cbranch_execz .LBB43_9
; %bb.8:
	scratch_load_dword v6, v10, off
	s_waitcnt vmcnt(0)
	global_store_dword v10, v6, s[2:3]
.LBB43_9:
	s_or_b64 exec, exec, s[4:5]
	scratch_load_dwordx2 v[6:7], off, off offset:8
	ds_read2st64_b32 v[12:13], v10 offset0:2 offset1:3
	s_waitcnt vmcnt(0) lgkmcnt(0)
	v_pk_add_f32 v[6:7], v[12:13], v[6:7]
	ds_bpermute_b32 v12, v0, v6
	ds_bpermute_b32 v13, v0, v7
	s_waitcnt lgkmcnt(0)
	v_pk_add_f32 v[6:7], v[6:7], v[12:13]
	ds_bpermute_b32 v12, v1, v6
	ds_bpermute_b32 v13, v1, v7
	s_waitcnt lgkmcnt(0)
	;; [unrolled: 4-line block ×6, first 2 shown]
	v_pk_add_f32 v[6:7], v[6:7], v[12:13]
	scratch_store_dwordx2 off, v[6:7], off offset:8
	s_and_saveexec_b64 s[4:5], s[0:1]
	s_cbranch_execz .LBB43_11
; %bb.10:
	scratch_load_dword v9, v10, off offset:8
	v_add_u32_e32 v6, s10, v8
	v_mov_b32_e32 v7, 0
	v_lshl_add_u64 v[6:7], v[6:7], 2, s[2:3]
	s_waitcnt vmcnt(0)
	global_store_dword v[6:7], v9, off
.LBB43_11:
	s_or_b64 exec, exec, s[4:5]
	scratch_load_dwordx2 v[6:7], off, off offset:16
	ds_read2st64_b32 v[12:13], v10 offset0:4 offset1:5
	s_waitcnt vmcnt(0) lgkmcnt(0)
	v_pk_add_f32 v[6:7], v[12:13], v[6:7]
	ds_bpermute_b32 v12, v0, v6
	ds_bpermute_b32 v13, v0, v7
	s_waitcnt lgkmcnt(0)
	v_pk_add_f32 v[6:7], v[6:7], v[12:13]
	ds_bpermute_b32 v12, v1, v6
	ds_bpermute_b32 v13, v1, v7
	s_waitcnt lgkmcnt(0)
	;; [unrolled: 4-line block ×6, first 2 shown]
	v_pk_add_f32 v[6:7], v[6:7], v[12:13]
	scratch_store_dwordx2 off, v[6:7], off offset:16
	s_and_saveexec_b64 s[4:5], s[0:1]
	s_cbranch_execz .LBB43_13
; %bb.12:
	scratch_load_dword v9, v10, off offset:16
	v_lshl_or_b32 v6, s10, 1, v8
	v_mov_b32_e32 v7, 0
	v_lshl_add_u64 v[6:7], v[6:7], 2, s[2:3]
	s_waitcnt vmcnt(0)
	global_store_dword v[6:7], v9, off
.LBB43_13:
	s_or_b64 exec, exec, s[4:5]
	scratch_load_dwordx2 v[6:7], off, off offset:24
	ds_read2st64_b32 v[12:13], v10 offset0:6 offset1:7
	s_waitcnt vmcnt(0) lgkmcnt(0)
	v_pk_add_f32 v[6:7], v[12:13], v[6:7]
	ds_bpermute_b32 v12, v0, v6
	ds_bpermute_b32 v13, v0, v7
	s_waitcnt lgkmcnt(0)
	v_pk_add_f32 v[6:7], v[6:7], v[12:13]
	ds_bpermute_b32 v0, v1, v6
	ds_bpermute_b32 v1, v1, v7
	s_waitcnt lgkmcnt(0)
	;; [unrolled: 4-line block ×6, first 2 shown]
	v_pk_add_f32 v[0:1], v[0:1], v[2:3]
	scratch_store_dwordx2 off, v[0:1], off offset:24
	s_and_b64 exec, exec, s[0:1]
	s_cbranch_execz .LBB43_15
; %bb.14:
	scratch_load_dword v2, v10, off offset:24
	v_mad_u64_u32 v[0:1], s[0:1], s10, 3, v[8:9]
	v_mov_b32_e32 v1, 0
	v_lshl_add_u64 v[0:1], v[0:1], 2, s[2:3]
	s_waitcnt vmcnt(0)
	global_store_dword v[0:1], v2, off
.LBB43_15:
	s_endpgm
	.section	.rodata,"a",@progbits
	.p2align	6, 0x0
	.amdhsa_kernel _ZL13mul_mat_vec_qIL9ggml_type6ELi4ELb0ELb0EEvPKvS2_PKi31ggml_cuda_mm_fusion_args_devicePfj15HIP_vector_typeIjLj3EEjjjS8_jjjS8_jjjj
		.amdhsa_group_segment_fixed_size 2048
		.amdhsa_private_segment_fixed_size 48
		.amdhsa_kernarg_size 144
		.amdhsa_user_sgpr_count 2
		.amdhsa_user_sgpr_dispatch_ptr 0
		.amdhsa_user_sgpr_queue_ptr 0
		.amdhsa_user_sgpr_kernarg_segment_ptr 1
		.amdhsa_user_sgpr_dispatch_id 0
		.amdhsa_user_sgpr_kernarg_preload_length 0
		.amdhsa_user_sgpr_kernarg_preload_offset 0
		.amdhsa_user_sgpr_private_segment_size 0
		.amdhsa_uses_dynamic_stack 0
		.amdhsa_enable_private_segment 1
		.amdhsa_system_sgpr_workgroup_id_x 1
		.amdhsa_system_sgpr_workgroup_id_y 1
		.amdhsa_system_sgpr_workgroup_id_z 1
		.amdhsa_system_sgpr_workgroup_info 0
		.amdhsa_system_vgpr_workitem_id 1
		.amdhsa_next_free_vgpr 65
		.amdhsa_next_free_sgpr 28
		.amdhsa_accum_offset 68
		.amdhsa_reserve_vcc 1
		.amdhsa_float_round_mode_32 0
		.amdhsa_float_round_mode_16_64 0
		.amdhsa_float_denorm_mode_32 3
		.amdhsa_float_denorm_mode_16_64 3
		.amdhsa_dx10_clamp 1
		.amdhsa_ieee_mode 1
		.amdhsa_fp16_overflow 0
		.amdhsa_tg_split 0
		.amdhsa_exception_fp_ieee_invalid_op 0
		.amdhsa_exception_fp_denorm_src 0
		.amdhsa_exception_fp_ieee_div_zero 0
		.amdhsa_exception_fp_ieee_overflow 0
		.amdhsa_exception_fp_ieee_underflow 0
		.amdhsa_exception_fp_ieee_inexact 0
		.amdhsa_exception_int_div_zero 0
	.end_amdhsa_kernel
	.section	.text._ZL13mul_mat_vec_qIL9ggml_type6ELi4ELb0ELb0EEvPKvS2_PKi31ggml_cuda_mm_fusion_args_devicePfj15HIP_vector_typeIjLj3EEjjjS8_jjjS8_jjjj,"axG",@progbits,_ZL13mul_mat_vec_qIL9ggml_type6ELi4ELb0ELb0EEvPKvS2_PKi31ggml_cuda_mm_fusion_args_devicePfj15HIP_vector_typeIjLj3EEjjjS8_jjjS8_jjjj,comdat
.Lfunc_end43:
	.size	_ZL13mul_mat_vec_qIL9ggml_type6ELi4ELb0ELb0EEvPKvS2_PKi31ggml_cuda_mm_fusion_args_devicePfj15HIP_vector_typeIjLj3EEjjjS8_jjjS8_jjjj, .Lfunc_end43-_ZL13mul_mat_vec_qIL9ggml_type6ELi4ELb0ELb0EEvPKvS2_PKi31ggml_cuda_mm_fusion_args_devicePfj15HIP_vector_typeIjLj3EEjjjS8_jjjS8_jjjj
                                        ; -- End function
	.section	.AMDGPU.csdata,"",@progbits
; Kernel info:
; codeLenInByte = 2984
; NumSgprs: 34
; NumVgprs: 65
; NumAgprs: 0
; TotalNumVgprs: 65
; ScratchSize: 48
; MemoryBound: 0
; FloatMode: 240
; IeeeMode: 1
; LDSByteSize: 2048 bytes/workgroup (compile time only)
; SGPRBlocks: 4
; VGPRBlocks: 8
; NumSGPRsForWavesPerEU: 34
; NumVGPRsForWavesPerEU: 65
; AccumOffset: 68
; Occupancy: 7
; WaveLimiterHint : 0
; COMPUTE_PGM_RSRC2:SCRATCH_EN: 1
; COMPUTE_PGM_RSRC2:USER_SGPR: 2
; COMPUTE_PGM_RSRC2:TRAP_HANDLER: 0
; COMPUTE_PGM_RSRC2:TGID_X_EN: 1
; COMPUTE_PGM_RSRC2:TGID_Y_EN: 1
; COMPUTE_PGM_RSRC2:TGID_Z_EN: 1
; COMPUTE_PGM_RSRC2:TIDIG_COMP_CNT: 1
; COMPUTE_PGM_RSRC3_GFX90A:ACCUM_OFFSET: 16
; COMPUTE_PGM_RSRC3_GFX90A:TG_SPLIT: 0
	.section	.text._ZL13mul_mat_vec_qIL9ggml_type6ELi5ELb0ELb0EEvPKvS2_PKi31ggml_cuda_mm_fusion_args_devicePfj15HIP_vector_typeIjLj3EEjjjS8_jjjS8_jjjj,"axG",@progbits,_ZL13mul_mat_vec_qIL9ggml_type6ELi5ELb0ELb0EEvPKvS2_PKi31ggml_cuda_mm_fusion_args_devicePfj15HIP_vector_typeIjLj3EEjjjS8_jjjS8_jjjj,comdat
	.globl	_ZL13mul_mat_vec_qIL9ggml_type6ELi5ELb0ELb0EEvPKvS2_PKi31ggml_cuda_mm_fusion_args_devicePfj15HIP_vector_typeIjLj3EEjjjS8_jjjS8_jjjj ; -- Begin function _ZL13mul_mat_vec_qIL9ggml_type6ELi5ELb0ELb0EEvPKvS2_PKi31ggml_cuda_mm_fusion_args_devicePfj15HIP_vector_typeIjLj3EEjjjS8_jjjS8_jjjj
	.p2align	8
	.type	_ZL13mul_mat_vec_qIL9ggml_type6ELi5ELb0ELb0EEvPKvS2_PKi31ggml_cuda_mm_fusion_args_devicePfj15HIP_vector_typeIjLj3EEjjjS8_jjjS8_jjjj,@function
_ZL13mul_mat_vec_qIL9ggml_type6ELi5ELb0ELb0EEvPKvS2_PKi31ggml_cuda_mm_fusion_args_devicePfj15HIP_vector_typeIjLj3EEjjjS8_jjjS8_jjjj: ; @_ZL13mul_mat_vec_qIL9ggml_type6ELi5ELb0ELb0EEvPKvS2_PKi31ggml_cuda_mm_fusion_args_devicePfj15HIP_vector_typeIjLj3EEjjjS8_jjjS8_jjjj
; %bb.0:
	v_bfe_u32 v9, v0, 10, 10
	v_lshlrev_b32_e32 v1, 6, v9
	v_and_b32_e32 v8, 0x3ff, v0
	s_mov_b32 s20, 0
	s_load_dword s5, s[0:1], 0x40
	s_load_dwordx4 s[8:11], s[0:1], 0x50
	s_load_dword s25, s[0:1], 0x60
	s_load_dwordx4 s[12:15], s[0:1], 0x68
	;; [unrolled: 2-line block ×3, first 2 shown]
	s_mov_b32 s21, s20
	v_add_u16_e32 v0, v1, v8
	s_waitcnt lgkmcnt(0)
	s_lshr_b32 s5, s5, 5
	v_mov_b32_e32 v11, 0
	s_mov_b32 s22, s20
	s_mov_b32 s23, s20
	v_mov_b64_e32 v[2:3], s[20:21]
	v_lshrrev_b16_e32 v20, 1, v0
	s_lshl_b32 s2, s2, 1
	v_mov_b32_e32 v10, v11
	v_mov_b64_e32 v[4:5], s[22:23]
	v_cmp_gt_u32_e32 vcc, s5, v20
	scratch_store_dwordx2 off, v[10:11], off offset:32
	scratch_store_dwordx4 off, v[2:5], off offset:16
	scratch_store_dwordx4 off, v[2:5], off
	s_and_saveexec_b64 s[6:7], vcc
	s_cbranch_execz .LBB44_4
; %bb.1:
	s_load_dwordx4 s[20:23], s[0:1], 0x0
	s_mul_i32 s17, s4, s17
	s_mul_hi_u32 s19, s17, 36
	s_mul_i32 s17, s17, 36
	s_mul_i32 s13, s3, s13
	s_waitcnt lgkmcnt(0)
	s_add_u32 s17, s22, s17
	s_addc_u32 s19, s23, s19
	s_mul_hi_u32 s23, s13, 36
	s_mul_i32 s13, s13, 36
	s_add_u32 s22, s17, s13
	s_mul_hi_u32 s11, s11, s3
	s_addc_u32 s23, s19, s23
	s_add_i32 s11, s3, s11
	v_and_b32_e32 v3, 1, v8
	s_lshr_b32 s11, s11, s25
	v_lshlrev_b32_e32 v10, 3, v3
	v_and_b32_e32 v3, v1, v8
	v_xor_b32_e32 v1, v1, v8
	s_mul_i32 s17, s11, s12
	s_mul_hi_u32 s11, s15, s4
	v_lshrrev_b16_e32 v1, 1, v1
	s_add_i32 s11, s4, s11
	v_add_u16_e32 v1, v3, v1
	s_lshr_b32 s11, s11, s24
	v_lshlrev_b32_e32 v0, 1, v8
	v_mad_u64_u32 v[12:13], s[12:13], v1, 36, s[22:23]
	s_mul_i32 s16, s11, s16
	v_and_b32_e32 v0, 2, v0
	s_add_i32 s13, s2, 1
	v_lshlrev_b32_e32 v2, 1, v0
	v_lshlrev_b32_e32 v21, 2, v0
	s_mul_i32 s24, s2, s8
	s_add_i32 s12, s16, s17
	s_mul_i32 s8, s8, s13
	v_or_b32_e32 v22, 4, v21
	s_lshl_b32 s11, s9, 1
	s_mul_i32 s15, s9, 3
	s_lshl_b32 s19, s9, 2
	s_add_i32 s8, s12, s8
	s_add_i32 s24, s12, s24
	s_mov_b64 s[12:13], 0
	s_mov_b32 s25, 0x1000706
	v_lshlrev_b32_e32 v16, 1, v2
	v_lshlrev_b32_e32 v18, 2, v0
	s_mov_b64 s[16:17], 0x480
	v_mov_b32_e32 v17, v11
	v_mov_b32_e32 v19, v11
	;; [unrolled: 1-line block ×12, first 2 shown]
.LBB44_2:                               ; =>This Inner Loop Header: Depth=1
	v_add_u32_e32 v23, s24, v20
	v_lshl_add_u64 v[24:25], v[12:13], 0, v[10:11]
	global_load_dwordx2 v[26:27], v[24:25], off offset:4
	global_load_dwordx2 v[28:29], v[24:25], off offset:20
	v_mad_i64_i32 v[24:25], s[26:27], v23, 22, s[20:21]
	global_load_dword v23, v[24:25], off
	global_load_ushort v54, v[24:25], off offset:4
	v_add_u32_e32 v30, s8, v20
	v_add_u32_e32 v32, s9, v20
	;; [unrolled: 1-line block ×3, first 2 shown]
	v_mad_i64_i32 v[30:31], s[26:27], v30, 22, s[20:21]
	v_mad_u64_u32 v[32:33], s[26:27], v32, 36, s[22:23]
	v_lshl_add_u64 v[40:41], v[24:25], 0, v[16:17]
	v_mad_u64_u32 v[34:35], s[26:27], v34, 36, s[22:23]
	v_lshl_add_u64 v[42:43], v[30:31], 0, v[16:17]
	v_lshl_add_u64 v[24:25], v[32:33], 0, v[18:19]
	global_load_dword v55, v[40:41], off offset:6
	global_load_dword v56, v[40:41], off offset:10
	global_load_dword v57, v[30:31], off
	global_load_ushort v58, v[30:31], off offset:4
	global_load_dword v59, v[42:43], off offset:6
	global_load_dword v60, v[42:43], off offset:10
	global_load_dwordx2 v[46:47], v[24:25], off offset:20
	global_load_dword v61, v[34:35], off
	global_load_dword v62, v[32:33], off
	v_lshl_add_u64 v[44:45], v[34:35], 0, v[18:19]
	v_mov_b32_e32 v48, 0
	v_mov_b32_e32 v49, 0
	v_add_u32_e32 v38, s19, v20
	v_add_u32_e32 v36, s15, v20
	v_mad_u64_u32 v[38:39], s[26:27], v38, 36, s[22:23]
	v_mad_u64_u32 v[36:37], s[26:27], v36, 36, s[22:23]
	v_mov_b32_e32 v50, 0
	v_mov_b32_e32 v51, 0
	;; [unrolled: 1-line block ×4, first 2 shown]
	v_add_u32_e32 v20, 32, v20
	v_cmp_le_u32_e32 vcc, s5, v20
	s_or_b64 s[12:13], vcc, s[12:13]
	s_waitcnt vmcnt(9)
	v_perm_b32 v30, v23, v54, s25
	v_ashrrev_i32_e32 v31, v21, v30
	v_ashrrev_i32_e32 v42, v22, v30
	v_lshlrev_b32_e32 v40, 4, v31
	v_lshlrev_b32_e32 v41, 11, v31
	s_waitcnt vmcnt(8)
	v_and_b32_e32 v30, 0xf0f0f0f, v55
	v_lshrrev_b32_e32 v32, 4, v55
	v_lshrrev_b32_e32 v43, 12, v31
	;; [unrolled: 1-line block ×3, first 2 shown]
	v_lshlrev_b32_e32 v55, 2, v31
	v_and_b32_e32 v40, 16, v40
	v_and_b32_e32 v41, 0x1000, v41
	v_and_b32_e32 v43, 16, v43
	v_and_b32_e32 v54, 0x1000, v54
	v_and_b32_e32 v55, 0x100000, v55
	v_or3_b32 v30, v40, v30, v41
	v_lshlrev_b32_e32 v40, 4, v42
	v_lshlrev_b32_e32 v41, 11, v42
	v_or3_b32 v43, v54, v43, v55
	v_lshlrev_b32_e32 v54, 18, v42
	v_and_b32_e32 v40, 16, v40
	v_and_b32_e32 v41, 0x1000, v41
	v_and_b32_e32 v54, 0x100000, v54
	v_lshrrev_b32_e32 v55, 12, v42
	v_or3_b32 v40, v41, v40, v54
	v_lshrrev_b32_e32 v41, 5, v42
	v_lshlrev_b32_e32 v54, 2, v42
	v_and_b32_e32 v55, 16, v55
	v_and_b32_e32 v41, 0x1000, v41
	;; [unrolled: 1-line block ×3, first 2 shown]
	v_or3_b32 v54, v41, v55, v54
	v_lshlrev_b32_e32 v41, 18, v31
	v_lshlrev_b32_e32 v55, 25, v31
	s_waitcnt vmcnt(5)
	v_perm_b32 v34, v57, v58, s25
	v_lshlrev_b32_e32 v31, 9, v31
	v_and_b32_e32 v41, 0x100000, v41
	v_and_b32_e32 v55, 0x10000000, v55
	;; [unrolled: 1-line block ×3, first 2 shown]
	v_or3_b32 v55, v30, v41, v55
	v_ashrrev_i32_e32 v41, v21, v34
	v_and_b32_e32 v31, 0x10000000, v31
	v_lshlrev_b32_e32 v30, 25, v42
	v_or3_b32 v43, v43, v31, v32
	v_lshlrev_b32_e32 v31, 4, v41
	v_lshlrev_b32_e32 v32, 11, v41
	v_and_b32_e32 v33, 0xf0f0f0f, v56
	s_waitcnt vmcnt(4)
	v_and_b32_e32 v35, 0xf0f0f0f, v59
	v_and_b32_e32 v30, 0x10000000, v30
	;; [unrolled: 1-line block ×4, first 2 shown]
	v_or3_b32 v63, v40, v30, v33
	v_lshrrev_b32_e32 v30, 12, v41
	v_lshrrev_b32_e32 v33, 5, v41
	v_or3_b32 v31, v31, v35, v32
	v_lshlrev_b32_e32 v32, 2, v41
	v_ashrrev_i32_e32 v58, v22, v34
	v_and_b32_e32 v30, 16, v30
	v_and_b32_e32 v33, 0x1000, v33
	;; [unrolled: 1-line block ×3, first 2 shown]
	v_lshlrev_b32_e32 v34, 4, v58
	v_or3_b32 v32, v33, v30, v32
	v_lshlrev_b32_e32 v30, 11, v58
	v_lshlrev_b32_e32 v33, 18, v58
	v_and_b32_e32 v34, 16, v34
	v_and_b32_e32 v30, 0x1000, v30
	;; [unrolled: 1-line block ×3, first 2 shown]
	v_or3_b32 v33, v30, v34, v33
	v_lshlrev_b32_e32 v30, 18, v41
	v_lshlrev_b32_e32 v34, 25, v41
	v_and_b32_e32 v30, 0x100000, v30
	v_and_b32_e32 v34, 0x10000000, v34
	v_or3_b32 v64, v31, v30, v34
	v_lshrrev_b32_e32 v34, 4, v59
	v_lshlrev_b32_e32 v35, 9, v41
	v_and_b32_e32 v34, 0xf0f0f0f, v34
	v_and_b32_e32 v35, 0x10000000, v35
	v_or3_b32 v59, v32, v35, v34
	v_lshlrev_b32_e32 v34, 25, v58
	s_waitcnt vmcnt(3)
	v_and_b32_e32 v32, 0xf0f0f0f, v60
	v_and_b32_e32 v34, 0x10000000, v34
	v_dot4c_i32_i8_e32 v48, v55, v26
	v_dot4c_i32_i8_e32 v49, v64, v26
	v_lshl_add_u64 v[30:31], v[38:39], 0, v[18:19]
	v_or3_b32 v65, v33, v34, v32
	v_dot4c_i32_i8_e32 v48, v43, v28
	v_dot4c_i32_i8_e32 v49, v59, v28
	global_load_dwordx2 v[32:33], v[30:31], off offset:20
	global_load_dword v66, v[38:39], off
	v_cvt_f32_f16_e32 v34, v23
	global_load_dword v23, v[36:37], off
	v_dot4c_i32_i8_e32 v48, v63, v27
	v_dot4c_i32_i8_e32 v49, v65, v27
	global_load_dwordx2 v[26:27], v[44:45], off offset:4
	s_waitcnt vmcnt(5)
	v_cvt_f32_f16_e32 v28, v61
	global_load_dwordx2 v[24:25], v[24:25], off offset:4
	v_lshl_add_u64 v[36:37], v[36:37], 0, v[18:19]
	v_cvt_f32_f16_e32 v35, v57
	s_waitcnt vmcnt(1)
	v_dot4c_i32_i8_e32 v52, v55, v26
	s_waitcnt vmcnt(0)
	v_dot4c_i32_i8_e32 v50, v55, v24
	v_dot4c_i32_i8_e32 v51, v64, v24
	;; [unrolled: 1-line block ×6, first 2 shown]
	global_load_dwordx2 v[24:25], v[36:37], off offset:4
	global_load_dwordx2 v[38:39], v[30:31], off offset:4
	;; [unrolled: 1-line block ×3, first 2 shown]
	v_mov_b32_e32 v45, 0
	global_load_dwordx2 v[30:31], v[36:37], off offset:20
	v_mov_b32_e32 v37, 0
	v_dot4c_i32_i8_e32 v37, v64, v26
	global_load_dword v26, v[12:13], off
	v_lshlrev_b32_e32 v36, 9, v42
	v_and_b32_e32 v36, 0x10000000, v36
	v_cvt_f32_f16_sdwa v46, v66 dst_sel:DWORD dst_unused:UNUSED_PAD src0_sel:WORD_1
	v_lshl_add_u64 v[12:13], v[12:13], 0, s[16:17]
	s_waitcnt vmcnt(4)
	v_dot4c_i32_i8_e32 v53, v55, v24
	s_waitcnt vmcnt(3)
	v_dot4c_i32_i8_e32 v45, v55, v38
	s_waitcnt vmcnt(2)
	v_dot4c_i32_i8_e32 v52, v43, v40
	v_dot4c_i32_i8_e32 v45, v43, v32
	s_waitcnt vmcnt(1)
	v_dot4c_i32_i8_e32 v53, v43, v30
	v_mov_b32_e32 v43, 0
	v_dot4c_i32_i8_e32 v43, v64, v24
	v_dot4c_i32_i8_e32 v43, v59, v30
	v_lshrrev_b32_e32 v30, 4, v56
	v_mov_b32_e32 v55, 0
	v_and_b32_e32 v30, 0xf0f0f0f, v30
	v_dot4c_i32_i8_e32 v55, v64, v38
	v_lshrrev_b32_e32 v38, 12, v58
	v_or3_b32 v44, v54, v36, v30
	v_lshrrev_b32_e32 v30, 5, v58
	v_lshlrev_b32_e32 v36, 2, v58
	v_and_b32_e32 v38, 16, v38
	v_and_b32_e32 v30, 0x1000, v30
	;; [unrolled: 1-line block ×3, first 2 shown]
	v_dot4c_i32_i8_e32 v55, v59, v32
	v_lshrrev_b32_e32 v32, 4, v60
	v_or3_b32 v36, v30, v38, v36
	v_lshlrev_b32_e32 v38, 9, v58
	v_dot4c_i32_i8_e32 v37, v59, v40
	v_and_b32_e32 v32, 0xf0f0f0f, v32
	v_and_b32_e32 v38, 0x10000000, v38
	v_dot4c_i32_i8_e32 v52, v63, v27
	v_dot4c_i32_i8_e32 v53, v63, v25
	v_dot4c_i32_i8_e32 v45, v63, v39
	v_dot4c_i32_i8_e32 v37, v65, v27
	v_dot4c_i32_i8_e32 v43, v65, v25
	v_dot4c_i32_i8_e32 v55, v65, v39
	v_or3_b32 v54, v36, v38, v32
	s_waitcnt vmcnt(0)
	v_cvt_f32_f16_sdwa v27, v26 dst_sel:DWORD dst_unused:UNUSED_PAD src0_sel:WORD_1
	v_cvt_f32_f16_sdwa v25, v62 dst_sel:DWORD dst_unused:UNUSED_PAD src0_sel:WORD_1
	v_cvt_f32_f16_sdwa v39, v61 dst_sel:DWORD dst_unused:UNUSED_PAD src0_sel:WORD_1
	v_cvt_f32_f16_e32 v30, v23
	v_cvt_f32_f16_sdwa v23, v23 dst_sel:DWORD dst_unused:UNUSED_PAD src0_sel:WORD_1
	v_dot4c_i32_i8_e32 v48, v44, v29
	v_dot4c_i32_i8_e32 v49, v54, v29
	;; [unrolled: 1-line block ×10, first 2 shown]
	v_cvt_f32_f16_e32 v24, v26
	v_cvt_f32_f16_e32 v26, v62
	;; [unrolled: 1-line block ×3, first 2 shown]
	v_mul_f32_e32 v44, 0x41000000, v46
	v_cvt_f32_i32_e32 v46, v48
	v_cvt_f32_i32_e32 v48, v50
	v_cvt_f32_i32_e32 v50, v52
	v_cvt_f32_i32_e32 v52, v53
	v_cvt_f32_i32_e32 v54, v45
	v_cvt_f32_i32_e32 v47, v49
	v_cvt_f32_i32_e32 v49, v51
	v_cvt_f32_i32_e32 v51, v37
	v_cvt_f32_i32_e32 v53, v43
	v_cvt_f32_i32_e32 v55, v55
	v_mul_f32_e32 v36, 0x41000000, v27
	v_mul_f32_e32 v38, 0x41000000, v25
	;; [unrolled: 1-line block ×4, first 2 shown]
	v_pk_fma_f32 v[24:25], v[24:25], v[46:47], v[36:37] op_sel_hi:[0,1,0] neg_lo:[0,0,1] neg_hi:[0,0,1]
	v_pk_fma_f32 v[26:27], v[26:27], v[48:49], v[38:39] op_sel_hi:[0,1,0] neg_lo:[0,0,1] neg_hi:[0,0,1]
	;; [unrolled: 1-line block ×5, first 2 shown]
	v_pk_fma_f32 v[4:5], v[24:25], v[34:35], v[4:5]
	v_pk_fma_f32 v[6:7], v[26:27], v[34:35], v[6:7]
	;; [unrolled: 1-line block ×5, first 2 shown]
	s_andn2_b64 exec, exec, s[12:13]
	s_cbranch_execnz .LBB44_2
; %bb.3:
	s_or_b64 exec, exec, s[12:13]
	scratch_store_dwordx4 off, v[4:7], off
	scratch_store_dwordx4 off, v[0:3], off offset:16
	scratch_store_dwordx2 off, v[14:15], off offset:32
.LBB44_4:
	s_or_b64 exec, exec, s[6:7]
	s_mov_b32 s5, 0
	v_cmp_eq_u32_e32 vcc, 0, v9
	s_waitcnt lgkmcnt(0)
	; wave barrier
	s_and_saveexec_b64 s[6:7], vcc
	s_cbranch_execz .LBB44_15
; %bb.5:
	scratch_load_dwordx2 v[2:3], off, off
	v_mbcnt_lo_u32_b32 v0, -1, 0
	v_mbcnt_hi_u32_b32 v9, -1, v0
	s_load_dwordx2 s[6:7], s[0:1], 0x38
	s_mul_i32 s0, s3, s14
	v_or_b32_e32 v1, s2, v8
	v_and_b32_e32 v0, 64, v9
	s_mul_i32 s4, s4, s18
	s_add_i32 s2, s0, s2
	v_cmp_gt_u32_e64 s[0:1], s10, v1
	v_xor_b32_e32 v1, 32, v9
	v_add_u32_e32 v14, 64, v0
	s_add_i32 s4, s2, s4
	v_cmp_lt_i32_e64 s[2:3], v1, v14
	v_cmp_gt_u32_e32 vcc, 2, v8
	s_nop 0
	v_cndmask_b32_e64 v0, v9, v1, s[2:3]
	v_lshlrev_b32_e32 v0, 2, v0
	v_xor_b32_e32 v1, 16, v9
	v_cmp_lt_i32_e64 s[2:3], v1, v14
	s_waitcnt vmcnt(0)
	ds_bpermute_b32 v4, v0, v2
	ds_bpermute_b32 v5, v0, v3
	v_cndmask_b32_e64 v1, v9, v1, s[2:3]
	v_lshlrev_b32_e32 v1, 2, v1
	s_waitcnt lgkmcnt(0)
	v_pk_add_f32 v[4:5], v[2:3], v[4:5]
	ds_bpermute_b32 v6, v1, v4
	ds_bpermute_b32 v7, v1, v5
	v_xor_b32_e32 v2, 8, v9
	v_cmp_lt_i32_e64 s[2:3], v2, v14
	v_xor_b32_e32 v3, 4, v9
	s_waitcnt lgkmcnt(0)
	v_pk_add_f32 v[4:5], v[4:5], v[6:7]
	v_cndmask_b32_e64 v2, v9, v2, s[2:3]
	v_lshlrev_b32_e32 v2, 2, v2
	ds_bpermute_b32 v6, v2, v4
	ds_bpermute_b32 v7, v2, v5
	v_cmp_lt_i32_e64 s[2:3], v3, v14
	s_waitcnt lgkmcnt(0)
	v_pk_add_f32 v[6:7], v[4:5], v[6:7]
	v_cndmask_b32_e64 v3, v9, v3, s[2:3]
	v_lshlrev_b32_e32 v3, 2, v3
	ds_bpermute_b32 v10, v3, v6
	ds_bpermute_b32 v11, v3, v7
	v_xor_b32_e32 v4, 2, v9
	v_cmp_lt_i32_e64 s[2:3], v4, v14
	v_xor_b32_e32 v5, 1, v9
	s_waitcnt lgkmcnt(0)
	v_pk_add_f32 v[10:11], v[6:7], v[10:11]
	v_cndmask_b32_e64 v4, v9, v4, s[2:3]
	v_lshlrev_b32_e32 v4, 2, v4
	ds_bpermute_b32 v12, v4, v10
	ds_bpermute_b32 v13, v4, v11
	v_cmp_lt_i32_e64 s[2:3], v5, v14
	s_waitcnt lgkmcnt(0)
	v_pk_add_f32 v[10:11], v[10:11], v[12:13]
	v_cndmask_b32_e64 v5, v9, v5, s[2:3]
	v_lshlrev_b32_e32 v6, 2, v5
	ds_bpermute_b32 v12, v6, v10
	ds_bpermute_b32 v13, v6, v11
	s_lshl_b64 s[2:3], s[4:5], 2
	s_add_u32 s2, s6, s2
	s_addc_u32 s3, s7, s3
	s_and_b64 s[0:1], vcc, s[0:1]
	s_waitcnt lgkmcnt(0)
	v_pk_add_f32 v[10:11], v[10:11], v[12:13]
	v_lshlrev_b32_e32 v5, 2, v8
	scratch_store_dwordx2 off, v[10:11], off
	s_and_saveexec_b64 s[4:5], s[0:1]
	s_cbranch_execz .LBB44_7
; %bb.6:
	scratch_load_dword v7, v5, off
	s_waitcnt vmcnt(0)
	global_store_dword v5, v7, s[2:3]
.LBB44_7:
	s_or_b64 exec, exec, s[4:5]
	scratch_load_dwordx2 v[10:11], off, off offset:8
	s_waitcnt vmcnt(0)
	ds_bpermute_b32 v12, v0, v10
	ds_bpermute_b32 v13, v0, v11
	s_waitcnt lgkmcnt(0)
	v_pk_add_f32 v[10:11], v[10:11], v[12:13]
	ds_bpermute_b32 v12, v1, v10
	ds_bpermute_b32 v13, v1, v11
	s_waitcnt lgkmcnt(0)
	v_pk_add_f32 v[10:11], v[10:11], v[12:13]
	ds_bpermute_b32 v12, v2, v10
	ds_bpermute_b32 v13, v2, v11
	s_waitcnt lgkmcnt(0)
	v_pk_add_f32 v[10:11], v[10:11], v[12:13]
	ds_bpermute_b32 v12, v3, v10
	ds_bpermute_b32 v13, v3, v11
	s_waitcnt lgkmcnt(0)
	v_pk_add_f32 v[10:11], v[10:11], v[12:13]
	ds_bpermute_b32 v12, v4, v10
	ds_bpermute_b32 v13, v4, v11
	s_waitcnt lgkmcnt(0)
	v_pk_add_f32 v[10:11], v[10:11], v[12:13]
	ds_bpermute_b32 v12, v6, v10
	ds_bpermute_b32 v13, v6, v11
	s_waitcnt lgkmcnt(0)
	v_pk_add_f32 v[10:11], v[10:11], v[12:13]
	scratch_store_dwordx2 off, v[10:11], off offset:8
	s_and_saveexec_b64 s[4:5], s[0:1]
	s_cbranch_execz .LBB44_9
; %bb.8:
	scratch_load_dword v7, v5, off offset:8
	v_add_u32_e32 v10, s10, v8
	v_mov_b32_e32 v11, 0
	v_lshl_add_u64 v[10:11], v[10:11], 2, s[2:3]
	s_waitcnt vmcnt(0)
	global_store_dword v[10:11], v7, off
.LBB44_9:
	s_or_b64 exec, exec, s[4:5]
	scratch_load_dwordx2 v[10:11], off, off offset:16
	s_waitcnt vmcnt(0)
	ds_bpermute_b32 v12, v0, v10
	ds_bpermute_b32 v13, v0, v11
	s_waitcnt lgkmcnt(0)
	v_pk_add_f32 v[10:11], v[10:11], v[12:13]
	ds_bpermute_b32 v12, v1, v10
	ds_bpermute_b32 v13, v1, v11
	s_waitcnt lgkmcnt(0)
	v_pk_add_f32 v[10:11], v[10:11], v[12:13]
	;; [unrolled: 4-line block ×6, first 2 shown]
	scratch_store_dwordx2 off, v[10:11], off offset:16
	s_and_saveexec_b64 s[4:5], s[0:1]
	s_cbranch_execz .LBB44_11
; %bb.10:
	scratch_load_dword v7, v5, off offset:16
	v_lshl_or_b32 v10, s10, 1, v8
	v_mov_b32_e32 v11, 0
	v_lshl_add_u64 v[10:11], v[10:11], 2, s[2:3]
	s_waitcnt vmcnt(0)
	global_store_dword v[10:11], v7, off
.LBB44_11:
	s_or_b64 exec, exec, s[4:5]
	scratch_load_dwordx2 v[10:11], off, off offset:24
	s_waitcnt vmcnt(0)
	ds_bpermute_b32 v12, v0, v10
	ds_bpermute_b32 v13, v0, v11
	s_waitcnt lgkmcnt(0)
	v_pk_add_f32 v[10:11], v[10:11], v[12:13]
	ds_bpermute_b32 v12, v1, v10
	ds_bpermute_b32 v13, v1, v11
	s_waitcnt lgkmcnt(0)
	v_pk_add_f32 v[10:11], v[10:11], v[12:13]
	;; [unrolled: 4-line block ×6, first 2 shown]
	scratch_store_dwordx2 off, v[10:11], off offset:24
	s_and_saveexec_b64 s[4:5], s[0:1]
	s_cbranch_execz .LBB44_13
; %bb.12:
	scratch_load_dword v7, v5, off offset:24
	v_mad_u64_u32 v[10:11], s[6:7], s10, 3, v[8:9]
	v_mov_b32_e32 v11, 0
	v_lshl_add_u64 v[10:11], v[10:11], 2, s[2:3]
	s_waitcnt vmcnt(0)
	global_store_dword v[10:11], v7, off
.LBB44_13:
	s_or_b64 exec, exec, s[4:5]
	scratch_load_dwordx2 v[10:11], off, off offset:32
	s_waitcnt vmcnt(0)
	ds_bpermute_b32 v12, v0, v10
	ds_bpermute_b32 v13, v0, v11
	s_waitcnt lgkmcnt(0)
	v_pk_add_f32 v[10:11], v[10:11], v[12:13]
	ds_bpermute_b32 v0, v1, v10
	ds_bpermute_b32 v1, v1, v11
	s_waitcnt lgkmcnt(0)
	v_pk_add_f32 v[0:1], v[10:11], v[0:1]
	;; [unrolled: 4-line block ×6, first 2 shown]
	scratch_store_dwordx2 off, v[0:1], off offset:32
	s_and_b64 exec, exec, s[0:1]
	s_cbranch_execz .LBB44_15
; %bb.14:
	scratch_load_dword v2, v5, off offset:32
	v_lshl_or_b32 v0, s10, 2, v8
	v_mov_b32_e32 v1, 0
	v_lshl_add_u64 v[0:1], v[0:1], 2, s[2:3]
	s_waitcnt vmcnt(0)
	global_store_dword v[0:1], v2, off
.LBB44_15:
	s_endpgm
	.section	.rodata,"a",@progbits
	.p2align	6, 0x0
	.amdhsa_kernel _ZL13mul_mat_vec_qIL9ggml_type6ELi5ELb0ELb0EEvPKvS2_PKi31ggml_cuda_mm_fusion_args_devicePfj15HIP_vector_typeIjLj3EEjjjS8_jjjS8_jjjj
		.amdhsa_group_segment_fixed_size 0
		.amdhsa_private_segment_fixed_size 48
		.amdhsa_kernarg_size 144
		.amdhsa_user_sgpr_count 2
		.amdhsa_user_sgpr_dispatch_ptr 0
		.amdhsa_user_sgpr_queue_ptr 0
		.amdhsa_user_sgpr_kernarg_segment_ptr 1
		.amdhsa_user_sgpr_dispatch_id 0
		.amdhsa_user_sgpr_kernarg_preload_length 0
		.amdhsa_user_sgpr_kernarg_preload_offset 0
		.amdhsa_user_sgpr_private_segment_size 0
		.amdhsa_uses_dynamic_stack 0
		.amdhsa_enable_private_segment 1
		.amdhsa_system_sgpr_workgroup_id_x 1
		.amdhsa_system_sgpr_workgroup_id_y 1
		.amdhsa_system_sgpr_workgroup_id_z 1
		.amdhsa_system_sgpr_workgroup_info 0
		.amdhsa_system_vgpr_workitem_id 1
		.amdhsa_next_free_vgpr 67
		.amdhsa_next_free_sgpr 28
		.amdhsa_accum_offset 68
		.amdhsa_reserve_vcc 1
		.amdhsa_float_round_mode_32 0
		.amdhsa_float_round_mode_16_64 0
		.amdhsa_float_denorm_mode_32 3
		.amdhsa_float_denorm_mode_16_64 3
		.amdhsa_dx10_clamp 1
		.amdhsa_ieee_mode 1
		.amdhsa_fp16_overflow 0
		.amdhsa_tg_split 0
		.amdhsa_exception_fp_ieee_invalid_op 0
		.amdhsa_exception_fp_denorm_src 0
		.amdhsa_exception_fp_ieee_div_zero 0
		.amdhsa_exception_fp_ieee_overflow 0
		.amdhsa_exception_fp_ieee_underflow 0
		.amdhsa_exception_fp_ieee_inexact 0
		.amdhsa_exception_int_div_zero 0
	.end_amdhsa_kernel
	.section	.text._ZL13mul_mat_vec_qIL9ggml_type6ELi5ELb0ELb0EEvPKvS2_PKi31ggml_cuda_mm_fusion_args_devicePfj15HIP_vector_typeIjLj3EEjjjS8_jjjS8_jjjj,"axG",@progbits,_ZL13mul_mat_vec_qIL9ggml_type6ELi5ELb0ELb0EEvPKvS2_PKi31ggml_cuda_mm_fusion_args_devicePfj15HIP_vector_typeIjLj3EEjjjS8_jjjS8_jjjj,comdat
.Lfunc_end44:
	.size	_ZL13mul_mat_vec_qIL9ggml_type6ELi5ELb0ELb0EEvPKvS2_PKi31ggml_cuda_mm_fusion_args_devicePfj15HIP_vector_typeIjLj3EEjjjS8_jjjS8_jjjj, .Lfunc_end44-_ZL13mul_mat_vec_qIL9ggml_type6ELi5ELb0ELb0EEvPKvS2_PKi31ggml_cuda_mm_fusion_args_devicePfj15HIP_vector_typeIjLj3EEjjjS8_jjjS8_jjjj
                                        ; -- End function
	.section	.AMDGPU.csdata,"",@progbits
; Kernel info:
; codeLenInByte = 3276
; NumSgprs: 34
; NumVgprs: 67
; NumAgprs: 0
; TotalNumVgprs: 67
; ScratchSize: 48
; MemoryBound: 0
; FloatMode: 240
; IeeeMode: 1
; LDSByteSize: 0 bytes/workgroup (compile time only)
; SGPRBlocks: 4
; VGPRBlocks: 8
; NumSGPRsForWavesPerEU: 34
; NumVGPRsForWavesPerEU: 67
; AccumOffset: 68
; Occupancy: 7
; WaveLimiterHint : 0
; COMPUTE_PGM_RSRC2:SCRATCH_EN: 1
; COMPUTE_PGM_RSRC2:USER_SGPR: 2
; COMPUTE_PGM_RSRC2:TRAP_HANDLER: 0
; COMPUTE_PGM_RSRC2:TGID_X_EN: 1
; COMPUTE_PGM_RSRC2:TGID_Y_EN: 1
; COMPUTE_PGM_RSRC2:TGID_Z_EN: 1
; COMPUTE_PGM_RSRC2:TIDIG_COMP_CNT: 1
; COMPUTE_PGM_RSRC3_GFX90A:ACCUM_OFFSET: 16
; COMPUTE_PGM_RSRC3_GFX90A:TG_SPLIT: 0
	.section	.text._ZL13mul_mat_vec_qIL9ggml_type6ELi6ELb0ELb0EEvPKvS2_PKi31ggml_cuda_mm_fusion_args_devicePfj15HIP_vector_typeIjLj3EEjjjS8_jjjS8_jjjj,"axG",@progbits,_ZL13mul_mat_vec_qIL9ggml_type6ELi6ELb0ELb0EEvPKvS2_PKi31ggml_cuda_mm_fusion_args_devicePfj15HIP_vector_typeIjLj3EEjjjS8_jjjS8_jjjj,comdat
	.globl	_ZL13mul_mat_vec_qIL9ggml_type6ELi6ELb0ELb0EEvPKvS2_PKi31ggml_cuda_mm_fusion_args_devicePfj15HIP_vector_typeIjLj3EEjjjS8_jjjS8_jjjj ; -- Begin function _ZL13mul_mat_vec_qIL9ggml_type6ELi6ELb0ELb0EEvPKvS2_PKi31ggml_cuda_mm_fusion_args_devicePfj15HIP_vector_typeIjLj3EEjjjS8_jjjS8_jjjj
	.p2align	8
	.type	_ZL13mul_mat_vec_qIL9ggml_type6ELi6ELb0ELb0EEvPKvS2_PKi31ggml_cuda_mm_fusion_args_devicePfj15HIP_vector_typeIjLj3EEjjjS8_jjjS8_jjjj,@function
_ZL13mul_mat_vec_qIL9ggml_type6ELi6ELb0ELb0EEvPKvS2_PKi31ggml_cuda_mm_fusion_args_devicePfj15HIP_vector_typeIjLj3EEjjjS8_jjjS8_jjjj: ; @_ZL13mul_mat_vec_qIL9ggml_type6ELi6ELb0ELb0EEvPKvS2_PKi31ggml_cuda_mm_fusion_args_devicePfj15HIP_vector_typeIjLj3EEjjjS8_jjjS8_jjjj
; %bb.0:
	v_bfe_u32 v13, v0, 10, 10
	v_lshlrev_b32_e32 v1, 6, v13
	v_and_b32_e32 v12, 0x3ff, v0
	s_mov_b32 s20, 0
	s_load_dword s5, s[0:1], 0x40
	s_load_dwordx4 s[8:11], s[0:1], 0x50
	s_load_dword s25, s[0:1], 0x60
	s_load_dwordx4 s[12:15], s[0:1], 0x68
	;; [unrolled: 2-line block ×3, first 2 shown]
	s_mov_b32 s21, s20
	v_add_u16_e32 v0, v1, v12
	s_waitcnt lgkmcnt(0)
	s_lshr_b32 s5, s5, 5
	s_mov_b32 s22, s20
	s_mov_b32 s23, s20
	v_mov_b64_e32 v[2:3], s[20:21]
	v_lshrrev_b16_e32 v24, 1, v0
	s_lshl_b32 s2, s2, 1
	v_mov_b64_e32 v[4:5], s[22:23]
	v_cmp_gt_u32_e32 vcc, s5, v24
	scratch_store_dwordx4 off, v[2:5], off offset:32
	scratch_store_dwordx4 off, v[2:5], off offset:16
	scratch_store_dwordx4 off, v[2:5], off
	s_and_saveexec_b64 s[6:7], vcc
	s_cbranch_execz .LBB45_4
; %bb.1:
	s_load_dwordx4 s[20:23], s[0:1], 0x0
	s_mul_i32 s17, s4, s17
	s_mul_hi_u32 s19, s17, 36
	s_mul_i32 s17, s17, 36
	s_mul_i32 s13, s3, s13
	s_waitcnt lgkmcnt(0)
	s_add_u32 s17, s22, s17
	s_addc_u32 s19, s23, s19
	s_mul_hi_u32 s23, s13, 36
	s_mul_i32 s13, s13, 36
	s_add_u32 s22, s17, s13
	s_mul_hi_u32 s11, s11, s3
	s_addc_u32 s23, s19, s23
	s_add_i32 s11, s3, s11
	v_and_b32_e32 v3, 1, v12
	s_lshr_b32 s11, s11, s25
	v_lshlrev_b32_e32 v14, 3, v3
	v_and_b32_e32 v3, v1, v12
	v_xor_b32_e32 v1, v1, v12
	s_mul_i32 s17, s11, s12
	s_mul_hi_u32 s11, s15, s4
	v_lshrrev_b16_e32 v1, 1, v1
	s_add_i32 s11, s4, s11
	v_add_u16_e32 v1, v3, v1
	s_lshr_b32 s11, s11, s24
	v_lshlrev_b32_e32 v0, 1, v12
	v_mad_u64_u32 v[16:17], s[12:13], v1, 36, s[22:23]
	s_mul_i32 s16, s11, s16
	v_and_b32_e32 v0, 2, v0
	s_add_i32 s13, s2, 1
	v_lshlrev_b32_e32 v2, 1, v0
	v_mov_b32_e32 v15, 0
	v_lshlrev_b32_e32 v25, 2, v0
	s_mul_i32 s25, s2, s8
	s_add_i32 s12, s16, s17
	s_mul_i32 s8, s8, s13
	v_or_b32_e32 v26, 4, v25
	s_lshl_b32 s11, s9, 1
	s_mul_i32 s15, s9, 3
	s_lshl_b32 s19, s9, 2
	s_mul_i32 s24, s9, 5
	s_add_i32 s8, s12, s8
	s_add_i32 s25, s12, s25
	s_mov_b64 s[12:13], 0
	s_mov_b32 s26, 0x1000706
	v_lshlrev_b32_e32 v18, 1, v2
	v_lshlrev_b32_e32 v20, 2, v0
	s_mov_b64 s[16:17], 0x480
	v_mov_b32_e32 v19, v15
	v_mov_b32_e32 v21, v15
	;; [unrolled: 1-line block ×14, first 2 shown]
.LBB45_2:                               ; =>This Inner Loop Header: Depth=1
	v_add_u32_e32 v27, s25, v24
	v_lshl_add_u64 v[22:23], v[16:17], 0, v[14:15]
	global_load_dwordx2 v[28:29], v[22:23], off offset:4
	global_load_dwordx2 v[30:31], v[22:23], off offset:20
	v_mad_i64_i32 v[22:23], s[28:29], v27, 22, s[20:21]
	global_load_dword v27, v[22:23], off
	global_load_ushort v43, v[22:23], off offset:4
	v_add_u32_e32 v32, s8, v24
	v_mad_i64_i32 v[32:33], s[28:29], v32, 22, s[20:21]
	v_lshl_add_u64 v[22:23], v[22:23], 0, v[18:19]
	v_lshl_add_u64 v[40:41], v[32:33], 0, v[18:19]
	global_load_dword v46, v[22:23], off offset:6
	global_load_dword v48, v[22:23], off offset:10
	global_load_dword v50, v[32:33], off
	global_load_ushort v52, v[32:33], off offset:4
	global_load_dword v57, v[40:41], off offset:6
	global_load_dword v58, v[40:41], off offset:10
	v_add_u32_e32 v34, s9, v24
	v_mad_u64_u32 v[34:35], s[28:29], v34, 36, s[22:23]
	v_add_u32_e32 v36, s11, v24
	v_add_u32_e32 v42, s19, v24
	v_mov_b32_e32 v44, 0
	v_mov_b32_e32 v45, 0
	v_mad_u64_u32 v[36:37], s[28:29], v36, 36, s[22:23]
	v_add_u32_e32 v38, s15, v24
	v_mad_u64_u32 v[38:39], s[28:29], v38, 36, s[22:23]
	v_mov_b32_e32 v47, 0
	v_mov_b32_e32 v49, 0
	;; [unrolled: 1-line block ×9, first 2 shown]
	s_waitcnt vmcnt(6)
	v_perm_b32 v22, v27, v43, s26
	v_ashrrev_i32_e32 v23, v25, v22
	s_waitcnt vmcnt(4)
	v_and_b32_e32 v40, 0xf0f0f0f, v48
	v_lshrrev_b32_e32 v41, 4, v48
	s_waitcnt vmcnt(2)
	v_perm_b32 v43, v50, v52, s26
	v_lshlrev_b32_e32 v48, 4, v23
	v_lshlrev_b32_e32 v52, 11, v23
	v_lshrrev_b32_e32 v59, 12, v23
	v_lshrrev_b32_e32 v60, 5, v23
	v_lshlrev_b32_e32 v61, 2, v23
	v_ashrrev_i32_e32 v22, v26, v22
	v_and_b32_e32 v32, 0xf0f0f0f, v46
	v_and_b32_e32 v48, 16, v48
	;; [unrolled: 1-line block ×6, first 2 shown]
	v_or3_b32 v32, v48, v32, v52
	v_lshlrev_b32_e32 v48, 4, v22
	v_lshlrev_b32_e32 v52, 11, v22
	v_or3_b32 v59, v60, v59, v61
	v_lshlrev_b32_e32 v60, 18, v22
	v_and_b32_e32 v48, 16, v48
	v_and_b32_e32 v52, 0x1000, v52
	v_and_b32_e32 v60, 0x100000, v60
	v_lshrrev_b32_e32 v61, 12, v22
	v_or3_b32 v48, v52, v48, v60
	v_lshrrev_b32_e32 v52, 5, v22
	v_lshlrev_b32_e32 v60, 2, v22
	v_and_b32_e32 v61, 16, v61
	v_and_b32_e32 v52, 0x1000, v52
	;; [unrolled: 1-line block ×3, first 2 shown]
	v_or3_b32 v52, v52, v61, v60
	v_lshlrev_b32_e32 v60, 18, v23
	v_lshlrev_b32_e32 v61, 25, v23
	v_and_b32_e32 v60, 0x100000, v60
	v_and_b32_e32 v61, 0x10000000, v61
	v_lshrrev_b32_e32 v33, 4, v46
	v_lshlrev_b32_e32 v23, 9, v23
	v_or3_b32 v60, v32, v60, v61
	v_lshlrev_b32_e32 v32, 25, v22
	v_lshlrev_b32_e32 v22, 9, v22
	v_and_b32_e32 v33, 0xf0f0f0f, v33
	v_and_b32_e32 v41, 0xf0f0f0f, v41
	v_ashrrev_i32_e32 v61, v25, v43
	v_and_b32_e32 v23, 0x10000000, v23
	v_and_b32_e32 v32, 0x10000000, v32
	v_and_b32_e32 v22, 0x10000000, v22
	v_or3_b32 v59, v59, v23, v33
	v_lshlrev_b32_e32 v23, 4, v61
	v_lshlrev_b32_e32 v33, 11, v61
	v_or3_b32 v48, v48, v32, v40
	v_lshrrev_b32_e32 v40, 12, v61
	v_or3_b32 v52, v52, v22, v41
	v_lshrrev_b32_e32 v22, 5, v61
	v_lshlrev_b32_e32 v41, 2, v61
	s_waitcnt vmcnt(1)
	v_and_b32_e32 v46, 0xf0f0f0f, v57
	v_ashrrev_i32_e32 v43, v26, v43
	v_and_b32_e32 v23, 16, v23
	v_and_b32_e32 v33, 0x1000, v33
	;; [unrolled: 1-line block ×5, first 2 shown]
	v_or3_b32 v23, v23, v46, v33
	v_lshlrev_b32_e32 v33, 4, v43
	v_lshlrev_b32_e32 v46, 11, v43
	v_or3_b32 v40, v22, v40, v41
	v_lshlrev_b32_e32 v22, 18, v43
	v_and_b32_e32 v33, 16, v33
	v_and_b32_e32 v46, 0x1000, v46
	;; [unrolled: 1-line block ×3, first 2 shown]
	v_lshrrev_b32_e32 v41, 12, v43
	v_or3_b32 v33, v46, v33, v22
	v_lshrrev_b32_e32 v22, 5, v43
	v_lshlrev_b32_e32 v46, 2, v43
	v_and_b32_e32 v41, 16, v41
	v_and_b32_e32 v22, 0x1000, v22
	;; [unrolled: 1-line block ×3, first 2 shown]
	v_lshlrev_b32_e32 v32, 18, v61
	v_or3_b32 v41, v22, v41, v46
	v_lshlrev_b32_e32 v22, 25, v61
	v_and_b32_e32 v32, 0x100000, v32
	v_and_b32_e32 v22, 0x10000000, v22
	v_or3_b32 v46, v23, v32, v22
	v_lshrrev_b32_e32 v32, 4, v57
	v_lshlrev_b32_e32 v61, 9, v61
	v_and_b32_e32 v32, 0xf0f0f0f, v32
	v_and_b32_e32 v61, 0x10000000, v61
	v_or3_b32 v61, v40, v61, v32
	v_lshlrev_b32_e32 v32, 25, v43
	v_lshl_add_u64 v[22:23], v[34:35], 0, v[20:21]
	s_waitcnt vmcnt(0)
	v_and_b32_e32 v57, 0xf0f0f0f, v58
	v_and_b32_e32 v32, 0x10000000, v32
	v_or3_b32 v57, v33, v32, v57
	global_load_dwordx2 v[32:33], v[22:23], off offset:20
	global_load_dword v62, v[36:37], off
	global_load_dword v63, v[34:35], off
	v_mad_u64_u32 v[34:35], s[28:29], v42, 36, s[22:23]
	v_lshrrev_b32_e32 v40, 4, v58
	v_lshlrev_b32_e32 v42, 9, v43
	v_and_b32_e32 v40, 0xf0f0f0f, v40
	v_and_b32_e32 v42, 0x10000000, v42
	v_dot4c_i32_i8_e32 v44, v60, v28
	v_dot4c_i32_i8_e32 v45, v46, v28
	v_or3_b32 v58, v41, v42, v40
	v_lshl_add_u64 v[40:41], v[34:35], 0, v[20:21]
	v_dot4c_i32_i8_e32 v44, v59, v30
	v_dot4c_i32_i8_e32 v45, v61, v30
	;; [unrolled: 1-line block ×4, first 2 shown]
	global_load_dwordx2 v[28:29], v[40:41], off offset:20
	global_load_dword v64, v[34:35], off
	global_load_dword v65, v[38:39], off
	v_lshl_add_u64 v[36:37], v[36:37], 0, v[20:21]
	global_load_dwordx2 v[22:23], v[22:23], off offset:4
	v_lshl_add_u64 v[34:35], v[38:39], 0, v[20:21]
	v_add_u32_e32 v30, s24, v24
	v_dot4c_i32_i8_e32 v44, v52, v31
	v_dot4c_i32_i8_e32 v45, v58, v31
	v_add_u32_e32 v24, 32, v24
	v_cmp_le_u32_e32 vcc, s5, v24
	s_or_b64 s[12:13], vcc, s[12:13]
	v_cvt_f32_i32_e32 v31, v45
	s_waitcnt vmcnt(0)
	v_dot4c_i32_i8_e32 v47, v60, v22
	v_dot4c_i32_i8_e32 v49, v46, v22
	;; [unrolled: 1-line block ×6, first 2 shown]
	global_load_dwordx2 v[22:23], v[36:37], off offset:4
	global_load_dwordx2 v[38:39], v[36:37], off offset:20
	v_dot4c_i32_i8_e32 v47, v52, v33
	v_dot4c_i32_i8_e32 v49, v58, v33
	s_waitcnt vmcnt(1)
	v_dot4c_i32_i8_e32 v51, v60, v22
	v_dot4c_i32_i8_e32 v53, v46, v22
	s_waitcnt vmcnt(0)
	v_dot4c_i32_i8_e32 v51, v59, v38
	v_dot4c_i32_i8_e32 v53, v61, v38
	;; [unrolled: 1-line block ×4, first 2 shown]
	global_load_dwordx2 v[22:23], v[34:35], off offset:4
	global_load_dwordx2 v[36:37], v[34:35], off offset:20
	v_dot4c_i32_i8_e32 v51, v52, v39
	v_dot4c_i32_i8_e32 v53, v58, v39
	s_waitcnt vmcnt(1)
	v_dot4c_i32_i8_e32 v54, v60, v22
	v_dot4c_i32_i8_e32 v55, v46, v22
	s_waitcnt vmcnt(0)
	v_dot4c_i32_i8_e32 v54, v59, v36
	v_dot4c_i32_i8_e32 v55, v61, v36
	;; [unrolled: 1-line block ×4, first 2 shown]
	global_load_dwordx2 v[22:23], v[40:41], off offset:4
	v_dot4c_i32_i8_e32 v54, v52, v37
	v_dot4c_i32_i8_e32 v55, v58, v37
	v_cvt_f32_f16_e32 v36, v64
	v_cvt_f32_i32_e32 v53, v53
	v_cvt_f32_i32_e32 v54, v54
	;; [unrolled: 1-line block ×3, first 2 shown]
	s_waitcnt vmcnt(0)
	v_dot4c_i32_i8_e32 v56, v60, v22
	v_dot4c_i32_i8_e32 v66, v46, v22
	;; [unrolled: 1-line block ×6, first 2 shown]
	v_mad_u64_u32 v[22:23], s[28:29], v30, 36, s[22:23]
	v_lshl_add_u64 v[34:35], v[22:23], 0, v[20:21]
	global_load_dwordx2 v[40:41], v[34:35], off offset:20
	global_load_dword v67, v[22:23], off
	global_load_dwordx2 v[42:43], v[34:35], off offset:4
	v_cvt_f32_i32_e32 v30, v44
	global_load_dword v23, v[16:17], off
	v_cvt_f32_f16_e32 v34, v27
	v_cvt_f32_f16_sdwa v27, v63 dst_sel:DWORD dst_unused:UNUSED_PAD src0_sel:WORD_1
	v_dot4c_i32_i8_e32 v56, v52, v29
	v_dot4c_i32_i8_e32 v66, v58, v29
	v_cvt_f32_f16_e32 v35, v50
	v_cvt_f32_f16_e32 v28, v63
	v_cvt_f32_i32_e32 v50, v47
	v_cvt_f32_i32_e32 v56, v56
	v_lshl_add_u64 v[16:17], v[16:17], 0, s[16:17]
	s_waitcnt vmcnt(2)
	v_cvt_f32_f16_sdwa v39, v67 dst_sel:DWORD dst_unused:UNUSED_PAD src0_sel:WORD_1
	s_waitcnt vmcnt(1)
	v_dot4c_i32_i8_e32 v68, v60, v42
	v_dot4c_i32_i8_e32 v68, v59, v40
	s_waitcnt vmcnt(0)
	v_cvt_f32_f16_e32 v22, v23
	v_cvt_f32_f16_sdwa v23, v23 dst_sel:DWORD dst_unused:UNUSED_PAD src0_sel:WORD_1
	v_mov_b32_e32 v59, 0
	v_dot4c_i32_i8_e32 v59, v46, v42
	v_dot4c_i32_i8_e32 v59, v61, v40
	;; [unrolled: 1-line block ×4, first 2 shown]
	v_mul_f32_e32 v32, 0x41000000, v23
	v_pk_fma_f32 v[22:23], v[22:23], v[30:31], v[32:33] op_sel_hi:[0,1,0] neg_lo:[0,0,1] neg_hi:[0,0,1]
	v_cvt_f32_f16_sdwa v31, v62 dst_sel:DWORD dst_unused:UNUSED_PAD src0_sel:WORD_1
	v_cvt_f32_f16_sdwa v43, v65 dst_sel:DWORD dst_unused:UNUSED_PAD src0_sel:WORD_1
	;; [unrolled: 1-line block ×3, first 2 shown]
	v_dot4c_i32_i8_e32 v68, v52, v41
	v_dot4c_i32_i8_e32 v59, v58, v41
	v_cvt_f32_f16_e32 v30, v62
	v_cvt_f32_f16_e32 v32, v65
	;; [unrolled: 1-line block ×3, first 2 shown]
	v_cvt_f32_i32_e32 v52, v51
	v_cvt_f32_i32_e32 v51, v49
	;; [unrolled: 1-line block ×5, first 2 shown]
	v_mul_f32_e32 v40, 0x41000000, v27
	v_mul_f32_e32 v42, 0x41000000, v31
	;; [unrolled: 1-line block ×5, first 2 shown]
	v_pk_fma_f32 v[28:29], v[28:29], v[50:51], v[40:41] op_sel_hi:[0,1,0] neg_lo:[0,0,1] neg_hi:[0,0,1]
	v_pk_fma_f32 v[30:31], v[30:31], v[52:53], v[42:43] op_sel_hi:[0,1,0] neg_lo:[0,0,1] neg_hi:[0,0,1]
	;; [unrolled: 1-line block ×5, first 2 shown]
	v_pk_fma_f32 v[8:9], v[22:23], v[34:35], v[8:9]
	v_pk_fma_f32 v[10:11], v[28:29], v[34:35], v[10:11]
	;; [unrolled: 1-line block ×6, first 2 shown]
	s_andn2_b64 exec, exec, s[12:13]
	s_cbranch_execnz .LBB45_2
; %bb.3:
	s_or_b64 exec, exec, s[12:13]
	scratch_store_dwordx4 off, v[8:11], off
	scratch_store_dwordx4 off, v[4:7], off offset:16
	scratch_store_dwordx4 off, v[0:3], off offset:32
.LBB45_4:
	s_or_b64 exec, exec, s[6:7]
	s_mov_b32 s5, 0
	v_cmp_eq_u32_e32 vcc, 0, v13
	s_waitcnt lgkmcnt(0)
	; wave barrier
	s_and_saveexec_b64 s[6:7], vcc
	s_cbranch_execz .LBB45_17
; %bb.5:
	scratch_load_dwordx2 v[2:3], off, off
	v_mbcnt_lo_u32_b32 v0, -1, 0
	v_mbcnt_hi_u32_b32 v13, -1, v0
	s_load_dwordx2 s[6:7], s[0:1], 0x38
	s_mul_i32 s0, s3, s14
	v_or_b32_e32 v1, s2, v12
	v_and_b32_e32 v0, 64, v13
	s_mul_i32 s4, s4, s18
	s_add_i32 s2, s0, s2
	v_cmp_gt_u32_e64 s[0:1], s10, v1
	v_xor_b32_e32 v1, 32, v13
	v_add_u32_e32 v14, 64, v0
	s_add_i32 s4, s2, s4
	v_cmp_lt_i32_e64 s[2:3], v1, v14
	v_cmp_gt_u32_e32 vcc, 2, v12
	s_nop 0
	v_cndmask_b32_e64 v0, v13, v1, s[2:3]
	v_lshlrev_b32_e32 v0, 2, v0
	v_xor_b32_e32 v1, 16, v13
	v_cmp_lt_i32_e64 s[2:3], v1, v14
	s_waitcnt vmcnt(0)
	ds_bpermute_b32 v4, v0, v2
	ds_bpermute_b32 v5, v0, v3
	v_cndmask_b32_e64 v1, v13, v1, s[2:3]
	v_lshlrev_b32_e32 v1, 2, v1
	s_waitcnt lgkmcnt(0)
	v_pk_add_f32 v[4:5], v[2:3], v[4:5]
	ds_bpermute_b32 v6, v1, v4
	ds_bpermute_b32 v7, v1, v5
	v_xor_b32_e32 v2, 8, v13
	v_cmp_lt_i32_e64 s[2:3], v2, v14
	v_xor_b32_e32 v3, 4, v13
	s_waitcnt lgkmcnt(0)
	v_pk_add_f32 v[4:5], v[4:5], v[6:7]
	v_cndmask_b32_e64 v2, v13, v2, s[2:3]
	v_lshlrev_b32_e32 v2, 2, v2
	ds_bpermute_b32 v6, v2, v4
	ds_bpermute_b32 v7, v2, v5
	v_cmp_lt_i32_e64 s[2:3], v3, v14
	s_waitcnt lgkmcnt(0)
	v_pk_add_f32 v[6:7], v[4:5], v[6:7]
	v_cndmask_b32_e64 v3, v13, v3, s[2:3]
	v_lshlrev_b32_e32 v3, 2, v3
	ds_bpermute_b32 v8, v3, v6
	ds_bpermute_b32 v9, v3, v7
	v_xor_b32_e32 v4, 2, v13
	v_cmp_lt_i32_e64 s[2:3], v4, v14
	v_xor_b32_e32 v5, 1, v13
	s_waitcnt lgkmcnt(0)
	v_pk_add_f32 v[8:9], v[6:7], v[8:9]
	v_cndmask_b32_e64 v4, v13, v4, s[2:3]
	v_lshlrev_b32_e32 v4, 2, v4
	ds_bpermute_b32 v10, v4, v8
	ds_bpermute_b32 v11, v4, v9
	v_cmp_lt_i32_e64 s[2:3], v5, v14
	s_waitcnt lgkmcnt(0)
	v_pk_add_f32 v[8:9], v[8:9], v[10:11]
	v_cndmask_b32_e64 v5, v13, v5, s[2:3]
	v_lshlrev_b32_e32 v6, 2, v5
	ds_bpermute_b32 v10, v6, v8
	ds_bpermute_b32 v11, v6, v9
	s_lshl_b64 s[2:3], s[4:5], 2
	s_add_u32 s2, s6, s2
	s_addc_u32 s3, s7, s3
	s_and_b64 s[0:1], vcc, s[0:1]
	s_waitcnt lgkmcnt(0)
	v_pk_add_f32 v[8:9], v[8:9], v[10:11]
	v_lshlrev_b32_e32 v5, 2, v12
	scratch_store_dwordx2 off, v[8:9], off
	s_and_saveexec_b64 s[4:5], s[0:1]
	s_cbranch_execz .LBB45_7
; %bb.6:
	scratch_load_dword v7, v5, off
	s_waitcnt vmcnt(0)
	global_store_dword v5, v7, s[2:3]
.LBB45_7:
	s_or_b64 exec, exec, s[4:5]
	scratch_load_dwordx2 v[8:9], off, off offset:8
	s_waitcnt vmcnt(0)
	ds_bpermute_b32 v10, v0, v8
	ds_bpermute_b32 v11, v0, v9
	s_waitcnt lgkmcnt(0)
	v_pk_add_f32 v[8:9], v[8:9], v[10:11]
	ds_bpermute_b32 v10, v1, v8
	ds_bpermute_b32 v11, v1, v9
	s_waitcnt lgkmcnt(0)
	v_pk_add_f32 v[8:9], v[8:9], v[10:11]
	;; [unrolled: 4-line block ×6, first 2 shown]
	scratch_store_dwordx2 off, v[8:9], off offset:8
	s_and_saveexec_b64 s[4:5], s[0:1]
	s_cbranch_execz .LBB45_9
; %bb.8:
	scratch_load_dword v7, v5, off offset:8
	v_add_u32_e32 v8, s10, v12
	v_mov_b32_e32 v9, 0
	v_lshl_add_u64 v[8:9], v[8:9], 2, s[2:3]
	s_waitcnt vmcnt(0)
	global_store_dword v[8:9], v7, off
.LBB45_9:
	s_or_b64 exec, exec, s[4:5]
	scratch_load_dwordx2 v[8:9], off, off offset:16
	s_waitcnt vmcnt(0)
	ds_bpermute_b32 v10, v0, v8
	ds_bpermute_b32 v11, v0, v9
	s_waitcnt lgkmcnt(0)
	v_pk_add_f32 v[8:9], v[8:9], v[10:11]
	ds_bpermute_b32 v10, v1, v8
	ds_bpermute_b32 v11, v1, v9
	s_waitcnt lgkmcnt(0)
	v_pk_add_f32 v[8:9], v[8:9], v[10:11]
	ds_bpermute_b32 v10, v2, v8
	ds_bpermute_b32 v11, v2, v9
	s_waitcnt lgkmcnt(0)
	v_pk_add_f32 v[8:9], v[8:9], v[10:11]
	ds_bpermute_b32 v10, v3, v8
	ds_bpermute_b32 v11, v3, v9
	s_waitcnt lgkmcnt(0)
	v_pk_add_f32 v[8:9], v[8:9], v[10:11]
	ds_bpermute_b32 v10, v4, v8
	ds_bpermute_b32 v11, v4, v9
	s_waitcnt lgkmcnt(0)
	v_pk_add_f32 v[8:9], v[8:9], v[10:11]
	ds_bpermute_b32 v10, v6, v8
	ds_bpermute_b32 v11, v6, v9
	s_waitcnt lgkmcnt(0)
	v_pk_add_f32 v[8:9], v[8:9], v[10:11]
	scratch_store_dwordx2 off, v[8:9], off offset:16
	s_and_saveexec_b64 s[4:5], s[0:1]
	s_cbranch_execz .LBB45_11
; %bb.10:
	scratch_load_dword v7, v5, off offset:16
	v_lshl_or_b32 v8, s10, 1, v12
	v_mov_b32_e32 v9, 0
	v_lshl_add_u64 v[8:9], v[8:9], 2, s[2:3]
	s_waitcnt vmcnt(0)
	global_store_dword v[8:9], v7, off
.LBB45_11:
	s_or_b64 exec, exec, s[4:5]
	scratch_load_dwordx2 v[8:9], off, off offset:24
	s_waitcnt vmcnt(0)
	ds_bpermute_b32 v10, v0, v8
	ds_bpermute_b32 v11, v0, v9
	s_waitcnt lgkmcnt(0)
	v_pk_add_f32 v[8:9], v[8:9], v[10:11]
	ds_bpermute_b32 v10, v1, v8
	ds_bpermute_b32 v11, v1, v9
	s_waitcnt lgkmcnt(0)
	v_pk_add_f32 v[8:9], v[8:9], v[10:11]
	;; [unrolled: 4-line block ×6, first 2 shown]
	scratch_store_dwordx2 off, v[8:9], off offset:24
	s_and_saveexec_b64 s[4:5], s[0:1]
	s_cbranch_execz .LBB45_13
; %bb.12:
	scratch_load_dword v7, v5, off offset:24
	v_mad_u64_u32 v[8:9], s[6:7], s10, 3, v[12:13]
	v_mov_b32_e32 v9, 0
	v_lshl_add_u64 v[8:9], v[8:9], 2, s[2:3]
	s_waitcnt vmcnt(0)
	global_store_dword v[8:9], v7, off
.LBB45_13:
	s_or_b64 exec, exec, s[4:5]
	scratch_load_dwordx2 v[8:9], off, off offset:32
	s_waitcnt vmcnt(0)
	ds_bpermute_b32 v10, v0, v8
	ds_bpermute_b32 v11, v0, v9
	s_waitcnt lgkmcnt(0)
	v_pk_add_f32 v[8:9], v[8:9], v[10:11]
	ds_bpermute_b32 v10, v1, v8
	ds_bpermute_b32 v11, v1, v9
	s_waitcnt lgkmcnt(0)
	v_pk_add_f32 v[8:9], v[8:9], v[10:11]
	ds_bpermute_b32 v10, v2, v8
	ds_bpermute_b32 v11, v2, v9
	s_waitcnt lgkmcnt(0)
	v_pk_add_f32 v[8:9], v[8:9], v[10:11]
	ds_bpermute_b32 v10, v3, v8
	ds_bpermute_b32 v11, v3, v9
	s_waitcnt lgkmcnt(0)
	v_pk_add_f32 v[8:9], v[8:9], v[10:11]
	ds_bpermute_b32 v10, v4, v8
	ds_bpermute_b32 v11, v4, v9
	s_waitcnt lgkmcnt(0)
	v_pk_add_f32 v[8:9], v[8:9], v[10:11]
	ds_bpermute_b32 v10, v6, v8
	ds_bpermute_b32 v11, v6, v9
	s_waitcnt lgkmcnt(0)
	v_pk_add_f32 v[8:9], v[8:9], v[10:11]
	scratch_store_dwordx2 off, v[8:9], off offset:32
	s_and_saveexec_b64 s[4:5], s[0:1]
	s_cbranch_execz .LBB45_15
; %bb.14:
	scratch_load_dword v7, v5, off offset:32
	v_lshl_or_b32 v8, s10, 2, v12
	v_mov_b32_e32 v9, 0
	v_lshl_add_u64 v[8:9], v[8:9], 2, s[2:3]
	s_waitcnt vmcnt(0)
	global_store_dword v[8:9], v7, off
.LBB45_15:
	s_or_b64 exec, exec, s[4:5]
	scratch_load_dwordx2 v[8:9], off, off offset:40
	s_waitcnt vmcnt(0)
	ds_bpermute_b32 v10, v0, v8
	ds_bpermute_b32 v11, v0, v9
	s_waitcnt lgkmcnt(0)
	v_pk_add_f32 v[8:9], v[8:9], v[10:11]
	ds_bpermute_b32 v0, v1, v8
	ds_bpermute_b32 v1, v1, v9
	s_waitcnt lgkmcnt(0)
	v_pk_add_f32 v[0:1], v[8:9], v[0:1]
	;; [unrolled: 4-line block ×6, first 2 shown]
	scratch_store_dwordx2 off, v[0:1], off offset:40
	s_and_b64 exec, exec, s[0:1]
	s_cbranch_execz .LBB45_17
; %bb.16:
	scratch_load_dword v2, v5, off offset:40
	v_mad_u64_u32 v[0:1], s[0:1], s10, 5, v[12:13]
	v_mov_b32_e32 v1, 0
	v_lshl_add_u64 v[0:1], v[0:1], 2, s[2:3]
	s_waitcnt vmcnt(0)
	global_store_dword v[0:1], v2, off
.LBB45_17:
	s_endpgm
	.section	.rodata,"a",@progbits
	.p2align	6, 0x0
	.amdhsa_kernel _ZL13mul_mat_vec_qIL9ggml_type6ELi6ELb0ELb0EEvPKvS2_PKi31ggml_cuda_mm_fusion_args_devicePfj15HIP_vector_typeIjLj3EEjjjS8_jjjS8_jjjj
		.amdhsa_group_segment_fixed_size 0
		.amdhsa_private_segment_fixed_size 64
		.amdhsa_kernarg_size 144
		.amdhsa_user_sgpr_count 2
		.amdhsa_user_sgpr_dispatch_ptr 0
		.amdhsa_user_sgpr_queue_ptr 0
		.amdhsa_user_sgpr_kernarg_segment_ptr 1
		.amdhsa_user_sgpr_dispatch_id 0
		.amdhsa_user_sgpr_kernarg_preload_length 0
		.amdhsa_user_sgpr_kernarg_preload_offset 0
		.amdhsa_user_sgpr_private_segment_size 0
		.amdhsa_uses_dynamic_stack 0
		.amdhsa_enable_private_segment 1
		.amdhsa_system_sgpr_workgroup_id_x 1
		.amdhsa_system_sgpr_workgroup_id_y 1
		.amdhsa_system_sgpr_workgroup_id_z 1
		.amdhsa_system_sgpr_workgroup_info 0
		.amdhsa_system_vgpr_workitem_id 1
		.amdhsa_next_free_vgpr 69
		.amdhsa_next_free_sgpr 30
		.amdhsa_accum_offset 72
		.amdhsa_reserve_vcc 1
		.amdhsa_float_round_mode_32 0
		.amdhsa_float_round_mode_16_64 0
		.amdhsa_float_denorm_mode_32 3
		.amdhsa_float_denorm_mode_16_64 3
		.amdhsa_dx10_clamp 1
		.amdhsa_ieee_mode 1
		.amdhsa_fp16_overflow 0
		.amdhsa_tg_split 0
		.amdhsa_exception_fp_ieee_invalid_op 0
		.amdhsa_exception_fp_denorm_src 0
		.amdhsa_exception_fp_ieee_div_zero 0
		.amdhsa_exception_fp_ieee_overflow 0
		.amdhsa_exception_fp_ieee_underflow 0
		.amdhsa_exception_fp_ieee_inexact 0
		.amdhsa_exception_int_div_zero 0
	.end_amdhsa_kernel
	.section	.text._ZL13mul_mat_vec_qIL9ggml_type6ELi6ELb0ELb0EEvPKvS2_PKi31ggml_cuda_mm_fusion_args_devicePfj15HIP_vector_typeIjLj3EEjjjS8_jjjS8_jjjj,"axG",@progbits,_ZL13mul_mat_vec_qIL9ggml_type6ELi6ELb0ELb0EEvPKvS2_PKi31ggml_cuda_mm_fusion_args_devicePfj15HIP_vector_typeIjLj3EEjjjS8_jjjS8_jjjj,comdat
.Lfunc_end45:
	.size	_ZL13mul_mat_vec_qIL9ggml_type6ELi6ELb0ELb0EEvPKvS2_PKi31ggml_cuda_mm_fusion_args_devicePfj15HIP_vector_typeIjLj3EEjjjS8_jjjS8_jjjj, .Lfunc_end45-_ZL13mul_mat_vec_qIL9ggml_type6ELi6ELb0ELb0EEvPKvS2_PKi31ggml_cuda_mm_fusion_args_devicePfj15HIP_vector_typeIjLj3EEjjjS8_jjjS8_jjjj
                                        ; -- End function
	.section	.AMDGPU.csdata,"",@progbits
; Kernel info:
; codeLenInByte = 3656
; NumSgprs: 36
; NumVgprs: 69
; NumAgprs: 0
; TotalNumVgprs: 69
; ScratchSize: 64
; MemoryBound: 0
; FloatMode: 240
; IeeeMode: 1
; LDSByteSize: 0 bytes/workgroup (compile time only)
; SGPRBlocks: 4
; VGPRBlocks: 8
; NumSGPRsForWavesPerEU: 36
; NumVGPRsForWavesPerEU: 69
; AccumOffset: 72
; Occupancy: 7
; WaveLimiterHint : 0
; COMPUTE_PGM_RSRC2:SCRATCH_EN: 1
; COMPUTE_PGM_RSRC2:USER_SGPR: 2
; COMPUTE_PGM_RSRC2:TRAP_HANDLER: 0
; COMPUTE_PGM_RSRC2:TGID_X_EN: 1
; COMPUTE_PGM_RSRC2:TGID_Y_EN: 1
; COMPUTE_PGM_RSRC2:TGID_Z_EN: 1
; COMPUTE_PGM_RSRC2:TIDIG_COMP_CNT: 1
; COMPUTE_PGM_RSRC3_GFX90A:ACCUM_OFFSET: 17
; COMPUTE_PGM_RSRC3_GFX90A:TG_SPLIT: 0
	.section	.text._ZL13mul_mat_vec_qIL9ggml_type6ELi7ELb0ELb0EEvPKvS2_PKi31ggml_cuda_mm_fusion_args_devicePfj15HIP_vector_typeIjLj3EEjjjS8_jjjS8_jjjj,"axG",@progbits,_ZL13mul_mat_vec_qIL9ggml_type6ELi7ELb0ELb0EEvPKvS2_PKi31ggml_cuda_mm_fusion_args_devicePfj15HIP_vector_typeIjLj3EEjjjS8_jjjS8_jjjj,comdat
	.globl	_ZL13mul_mat_vec_qIL9ggml_type6ELi7ELb0ELb0EEvPKvS2_PKi31ggml_cuda_mm_fusion_args_devicePfj15HIP_vector_typeIjLj3EEjjjS8_jjjS8_jjjj ; -- Begin function _ZL13mul_mat_vec_qIL9ggml_type6ELi7ELb0ELb0EEvPKvS2_PKi31ggml_cuda_mm_fusion_args_devicePfj15HIP_vector_typeIjLj3EEjjjS8_jjjS8_jjjj
	.p2align	8
	.type	_ZL13mul_mat_vec_qIL9ggml_type6ELi7ELb0ELb0EEvPKvS2_PKi31ggml_cuda_mm_fusion_args_devicePfj15HIP_vector_typeIjLj3EEjjjS8_jjjS8_jjjj,@function
_ZL13mul_mat_vec_qIL9ggml_type6ELi7ELb0ELb0EEvPKvS2_PKi31ggml_cuda_mm_fusion_args_devicePfj15HIP_vector_typeIjLj3EEjjjS8_jjjS8_jjjj: ; @_ZL13mul_mat_vec_qIL9ggml_type6ELi7ELb0ELb0EEvPKvS2_PKi31ggml_cuda_mm_fusion_args_devicePfj15HIP_vector_typeIjLj3EEjjjS8_jjjS8_jjjj
; %bb.0:
	v_bfe_u32 v13, v0, 10, 10
	v_lshlrev_b32_e32 v1, 6, v13
	v_and_b32_e32 v12, 0x3ff, v0
	s_mov_b32 s20, 0
	s_load_dword s5, s[0:1], 0x40
	s_load_dwordx4 s[8:11], s[0:1], 0x50
	s_load_dword s25, s[0:1], 0x60
	s_load_dwordx4 s[12:15], s[0:1], 0x68
	;; [unrolled: 2-line block ×3, first 2 shown]
	s_mov_b32 s21, s20
	v_add_u16_e32 v0, v1, v12
	s_waitcnt lgkmcnt(0)
	s_lshr_b32 s5, s5, 5
	v_mov_b32_e32 v15, 0
	s_mov_b32 s22, s20
	s_mov_b32 s23, s20
	v_mov_b64_e32 v[2:3], s[20:21]
	v_lshrrev_b16_e32 v26, 1, v0
	s_lshl_b32 s2, s2, 1
	v_mov_b32_e32 v14, v15
	v_mov_b64_e32 v[4:5], s[22:23]
	v_cmp_gt_u32_e32 vcc, s5, v26
	scratch_store_dwordx2 off, v[14:15], off offset:48
	scratch_store_dwordx4 off, v[2:5], off offset:32
	scratch_store_dwordx4 off, v[2:5], off offset:16
	scratch_store_dwordx4 off, v[2:5], off
	s_and_saveexec_b64 s[6:7], vcc
	s_cbranch_execz .LBB46_4
; %bb.1:
	s_load_dwordx4 s[20:23], s[0:1], 0x0
	s_mul_i32 s17, s4, s17
	s_mul_hi_u32 s19, s17, 36
	s_mul_i32 s17, s17, 36
	s_mul_i32 s13, s3, s13
	s_waitcnt lgkmcnt(0)
	s_add_u32 s17, s22, s17
	s_addc_u32 s19, s23, s19
	s_mul_hi_u32 s23, s13, 36
	s_mul_i32 s13, s13, 36
	s_add_u32 s22, s17, s13
	s_mul_hi_u32 s11, s11, s3
	s_addc_u32 s23, s19, s23
	s_add_i32 s11, s3, s11
	v_and_b32_e32 v3, 1, v12
	s_lshr_b32 s11, s11, s25
	v_lshlrev_b32_e32 v14, 3, v3
	v_and_b32_e32 v3, v1, v12
	v_xor_b32_e32 v1, v1, v12
	s_mul_i32 s17, s11, s12
	s_mul_hi_u32 s11, s15, s4
	v_lshrrev_b16_e32 v1, 1, v1
	s_add_i32 s11, s4, s11
	v_add_u16_e32 v1, v3, v1
	s_lshr_b32 s11, s11, s24
	v_lshlrev_b32_e32 v0, 1, v12
	v_mad_u64_u32 v[16:17], s[12:13], v1, 36, s[22:23]
	s_mul_i32 s16, s11, s16
	v_and_b32_e32 v0, 2, v0
	s_add_i32 s13, s2, 1
	v_lshlrev_b32_e32 v2, 1, v0
	v_lshlrev_b32_e32 v27, 2, v0
	s_mul_i32 s26, s2, s8
	s_add_i32 s12, s16, s17
	s_mul_i32 s8, s8, s13
	v_or_b32_e32 v28, 4, v27
	s_lshl_b32 s11, s9, 1
	s_mul_i32 s15, s9, 3
	s_lshl_b32 s19, s9, 2
	s_mul_i32 s24, s9, 5
	s_mul_i32 s25, s9, 6
	s_add_i32 s8, s12, s8
	s_add_i32 s26, s12, s26
	s_mov_b64 s[12:13], 0
	s_mov_b32 s27, 0x1000706
	v_lshlrev_b32_e32 v20, 1, v2
	v_lshlrev_b32_e32 v22, 2, v0
	s_mov_b64 s[16:17], 0x480
	v_mov_b32_e32 v21, v15
	v_mov_b32_e32 v23, v15
	;; [unrolled: 1-line block ×16, first 2 shown]
.LBB46_2:                               ; =>This Inner Loop Header: Depth=1
	v_add_u32_e32 v29, s26, v26
	v_mad_i64_i32 v[30:31], s[28:29], v29, 22, s[20:21]
	global_load_dword v40, v[16:17], off
	global_load_dword v29, v[30:31], off
	global_load_ushort v47, v[30:31], off offset:4
	v_add_u32_e32 v32, s8, v26
	v_mad_i64_i32 v[32:33], s[28:29], v32, 22, s[20:21]
	v_lshl_add_u64 v[30:31], v[30:31], 0, v[20:21]
	v_lshl_add_u64 v[34:35], v[32:33], 0, v[20:21]
	global_load_dword v50, v[30:31], off offset:6
	global_load_dword v52, v[30:31], off offset:10
	global_load_dword v56, v[32:33], off
	global_load_ushort v57, v[32:33], off offset:4
	global_load_dword v58, v[34:35], off offset:6
	global_load_dword v59, v[34:35], off offset:10
	v_lshl_add_u64 v[24:25], v[16:17], 0, v[14:15]
	v_mov_b32_e32 v41, 0
	v_mov_b32_e32 v42, 0
	v_add_u32_e32 v36, s9, v26
	v_add_u32_e32 v37, s11, v26
	v_mov_b32_e32 v43, 0
	v_mov_b32_e32 v44, 0
	v_add_u32_e32 v38, s15, v26
	v_add_u32_e32 v45, s24, v26
	;; [unrolled: 1-line block ×3, first 2 shown]
	v_mov_b32_e32 v48, 0
	v_mov_b32_e32 v49, 0
	v_add_u32_e32 v39, s19, v26
	v_mov_b32_e32 v51, 0
	v_mov_b32_e32 v53, 0
	;; [unrolled: 1-line block ×4, first 2 shown]
	v_add_u32_e32 v26, 32, v26
	v_cmp_le_u32_e32 vcc, s5, v26
	v_lshl_add_u64 v[16:17], v[16:17], 0, s[16:17]
	s_or_b64 s[12:13], vcc, s[12:13]
	s_waitcnt vmcnt(6)
	v_perm_b32 v30, v29, v47, s27
	v_ashrrev_i32_e32 v31, v27, v30
	s_waitcnt vmcnt(5)
	v_and_b32_e32 v32, 0xf0f0f0f, v50
	v_lshrrev_b32_e32 v33, 4, v50
	s_waitcnt vmcnt(4)
	v_and_b32_e32 v34, 0xf0f0f0f, v52
	v_lshrrev_b32_e32 v35, 4, v52
	s_waitcnt vmcnt(2)
	v_perm_b32 v47, v56, v57, s27
	v_lshlrev_b32_e32 v50, 4, v31
	v_lshlrev_b32_e32 v52, 11, v31
	v_lshrrev_b32_e32 v57, 12, v31
	v_lshrrev_b32_e32 v60, 5, v31
	v_lshlrev_b32_e32 v61, 2, v31
	v_ashrrev_i32_e32 v30, v28, v30
	v_and_b32_e32 v50, 16, v50
	v_and_b32_e32 v52, 0x1000, v52
	;; [unrolled: 1-line block ×5, first 2 shown]
	v_or3_b32 v32, v50, v32, v52
	v_lshlrev_b32_e32 v50, 4, v30
	v_lshlrev_b32_e32 v52, 11, v30
	v_or3_b32 v57, v60, v57, v61
	v_lshlrev_b32_e32 v60, 18, v30
	v_and_b32_e32 v50, 16, v50
	v_and_b32_e32 v52, 0x1000, v52
	;; [unrolled: 1-line block ×3, first 2 shown]
	v_lshrrev_b32_e32 v61, 12, v30
	v_or3_b32 v50, v52, v50, v60
	v_lshrrev_b32_e32 v52, 5, v30
	v_lshlrev_b32_e32 v60, 2, v30
	v_and_b32_e32 v61, 16, v61
	v_and_b32_e32 v52, 0x1000, v52
	v_and_b32_e32 v60, 0x100000, v60
	v_or3_b32 v52, v52, v61, v60
	v_lshlrev_b32_e32 v60, 18, v31
	v_lshlrev_b32_e32 v61, 25, v31
	v_and_b32_e32 v60, 0x100000, v60
	v_and_b32_e32 v61, 0x10000000, v61
	v_lshlrev_b32_e32 v31, 9, v31
	v_or3_b32 v60, v32, v60, v61
	v_and_b32_e32 v33, 0xf0f0f0f, v33
	v_lshlrev_b32_e32 v61, 25, v30
	v_lshlrev_b32_e32 v30, 9, v30
	v_and_b32_e32 v31, 0x10000000, v31
	v_and_b32_e32 v35, 0xf0f0f0f, v35
	v_or3_b32 v57, v57, v31, v33
	v_ashrrev_i32_e32 v62, v27, v47
	v_and_b32_e32 v31, 0x10000000, v61
	v_and_b32_e32 v30, 0x10000000, v30
	v_lshlrev_b32_e32 v33, 4, v62
	v_or3_b32 v50, v50, v31, v34
	v_lshlrev_b32_e32 v31, 11, v62
	v_lshrrev_b32_e32 v34, 12, v62
	v_or3_b32 v52, v52, v30, v35
	v_lshrrev_b32_e32 v30, 5, v62
	v_lshlrev_b32_e32 v35, 2, v62
	s_waitcnt vmcnt(1)
	v_and_b32_e32 v32, 0xf0f0f0f, v58
	v_ashrrev_i32_e32 v47, v28, v47
	v_and_b32_e32 v33, 16, v33
	v_and_b32_e32 v31, 0x1000, v31
	;; [unrolled: 1-line block ×5, first 2 shown]
	v_or3_b32 v31, v33, v32, v31
	v_lshlrev_b32_e32 v32, 4, v47
	v_lshlrev_b32_e32 v33, 11, v47
	v_or3_b32 v34, v30, v34, v35
	v_lshlrev_b32_e32 v30, 18, v47
	v_and_b32_e32 v32, 16, v32
	v_and_b32_e32 v33, 0x1000, v33
	;; [unrolled: 1-line block ×3, first 2 shown]
	v_lshrrev_b32_e32 v35, 12, v47
	v_or3_b32 v61, v33, v32, v30
	v_lshrrev_b32_e32 v30, 5, v47
	v_lshlrev_b32_e32 v32, 2, v47
	v_and_b32_e32 v33, 16, v35
	v_and_b32_e32 v30, 0x1000, v30
	;; [unrolled: 1-line block ×3, first 2 shown]
	v_or3_b32 v63, v30, v33, v32
	v_lshlrev_b32_e32 v30, 18, v62
	v_lshlrev_b32_e32 v32, 25, v62
	v_and_b32_e32 v30, 0x100000, v30
	v_and_b32_e32 v32, 0x10000000, v32
	v_or3_b32 v64, v31, v30, v32
	global_load_dwordx2 v[30:31], v[24:25], off offset:4
	global_load_dwordx2 v[32:33], v[24:25], off offset:20
	v_lshrrev_b32_e32 v24, 4, v58
	v_lshlrev_b32_e32 v25, 9, v62
	v_and_b32_e32 v24, 0xf0f0f0f, v24
	v_and_b32_e32 v25, 0x10000000, v25
	v_or3_b32 v58, v34, v25, v24
	v_lshlrev_b32_e32 v25, 25, v47
	s_waitcnt vmcnt(2)
	v_and_b32_e32 v24, 0xf0f0f0f, v59
	v_and_b32_e32 v25, 0x10000000, v25
	v_or3_b32 v61, v61, v25, v24
	v_mad_u64_u32 v[24:25], s[28:29], v36, 36, s[22:23]
	v_mad_u64_u32 v[34:35], s[28:29], v37, 36, s[22:23]
	v_lshrrev_b32_e32 v36, 4, v59
	v_lshlrev_b32_e32 v37, 9, v47
	v_and_b32_e32 v36, 0xf0f0f0f, v36
	v_and_b32_e32 v37, 0x10000000, v37
	v_or3_b32 v59, v63, v37, v36
	v_mad_u64_u32 v[36:37], s[28:29], v38, 36, s[22:23]
	v_mad_u64_u32 v[38:39], s[28:29], v39, 36, s[22:23]
	s_waitcnt vmcnt(1)
	v_dot4c_i32_i8_e32 v41, v60, v30
	v_dot4c_i32_i8_e32 v42, v64, v30
	s_waitcnt vmcnt(0)
	v_dot4c_i32_i8_e32 v41, v57, v32
	v_dot4c_i32_i8_e32 v42, v58, v32
	;; [unrolled: 1-line block ×4, first 2 shown]
	v_cvt_f32_f16_sdwa v31, v40 dst_sel:DWORD dst_unused:UNUSED_PAD src0_sel:WORD_1
	v_dot4c_i32_i8_e32 v41, v52, v33
	v_dot4c_i32_i8_e32 v42, v59, v33
	v_cvt_f32_f16_e32 v30, v40
	v_mul_f32_e32 v32, 0x41000000, v31
	v_cvt_f32_i32_e32 v40, v41
	v_cvt_f32_i32_e32 v41, v42
	v_pk_fma_f32 v[30:31], v[30:31], v[40:41], v[32:33] op_sel_hi:[0,1,0] neg_lo:[0,0,1] neg_hi:[0,0,1]
	v_lshl_add_u64 v[32:33], v[24:25], 0, v[22:23]
	global_load_dwordx2 v[40:41], v[32:33], off offset:20
	global_load_dword v62, v[34:35], off
	global_load_dword v42, v[24:25], off
	v_lshl_add_u64 v[34:35], v[34:35], 0, v[22:23]
	global_load_dwordx2 v[32:33], v[32:33], off offset:4
	v_mad_u64_u32 v[24:25], s[28:29], v45, 36, s[22:23]
	s_waitcnt vmcnt(0)
	v_dot4c_i32_i8_e32 v43, v60, v32
	v_dot4c_i32_i8_e32 v44, v64, v32
	;; [unrolled: 1-line block ×8, first 2 shown]
	v_cvt_f32_f16_sdwa v41, v42 dst_sel:DWORD dst_unused:UNUSED_PAD src0_sel:WORD_1
	v_cvt_f32_f16_e32 v40, v42
	v_cvt_f32_i32_e32 v42, v43
	v_cvt_f32_i32_e32 v43, v44
	v_mul_f32_e32 v44, 0x41000000, v41
	v_mad_u64_u32 v[32:33], s[28:29], v46, 36, s[22:23]
	v_pk_fma_f32 v[40:41], v[40:41], v[42:43], v[44:45] op_sel_hi:[0,1,0] neg_lo:[0,0,1] neg_hi:[0,0,1]
	global_load_dwordx2 v[44:45], v[34:35], off offset:4
	global_load_dwordx2 v[46:47], v[34:35], off offset:20
                                        ; kill: killed $vgpr34_vgpr35
	global_load_dword v63, v[36:37], off
	v_lshl_add_u64 v[42:43], v[36:37], 0, v[22:23]
	v_cvt_f32_f16_sdwa v37, v62 dst_sel:DWORD dst_unused:UNUSED_PAD src0_sel:WORD_1
	v_cvt_f32_f16_e32 v36, v62
	v_lshl_add_u64 v[34:35], v[38:39], 0, v[22:23]
	s_waitcnt vmcnt(2)
	v_dot4c_i32_i8_e32 v48, v60, v44
	v_dot4c_i32_i8_e32 v49, v64, v44
	s_waitcnt vmcnt(1)
	v_dot4c_i32_i8_e32 v48, v57, v46
	v_dot4c_i32_i8_e32 v49, v58, v46
	;; [unrolled: 1-line block ×6, first 2 shown]
	v_mul_f32_e32 v46, 0x41000000, v37
	s_nop 0
	v_cvt_f32_i32_e32 v44, v48
	v_cvt_f32_i32_e32 v45, v49
	v_pk_fma_f32 v[36:37], v[36:37], v[44:45], v[46:47] op_sel_hi:[0,1,0] neg_lo:[0,0,1] neg_hi:[0,0,1]
	global_load_dwordx2 v[44:45], v[42:43], off offset:4
	global_load_dwordx2 v[46:47], v[42:43], off offset:20
	;; [unrolled: 1-line block ×3, first 2 shown]
                                        ; kill: killed $vgpr42_vgpr43
	global_load_dword v62, v[38:39], off
	v_lshl_add_u64 v[38:39], v[24:25], 0, v[22:23]
	global_load_dwordx2 v[34:35], v[34:35], off offset:4
	s_waitcnt vmcnt(4)
	v_dot4c_i32_i8_e32 v51, v60, v44
	v_dot4c_i32_i8_e32 v53, v64, v44
	s_waitcnt vmcnt(3)
	v_dot4c_i32_i8_e32 v51, v57, v46
	v_dot4c_i32_i8_e32 v53, v58, v46
	global_load_dword v46, v[32:33], off
	v_lshl_add_u64 v[32:33], v[32:33], 0, v[22:23]
	s_waitcnt vmcnt(1)
	v_dot4c_i32_i8_e32 v54, v60, v34
	v_dot4c_i32_i8_e32 v55, v64, v34
	;; [unrolled: 1-line block ×8, first 2 shown]
	global_load_dwordx2 v[34:35], v[38:39], off offset:20
	global_load_dwordx2 v[42:43], v[38:39], off offset:4
	global_load_dword v48, v[24:25], off
	s_nop 0
	global_load_dwordx2 v[38:39], v[32:33], off offset:4
	global_load_dwordx2 v[44:45], v[32:33], off offset:20
	v_cvt_f32_f16_e32 v24, v29
	v_mov_b32_e32 v29, 0
	v_mov_b32_e32 v33, 0
	v_dot4c_i32_i8_e32 v51, v52, v47
	v_dot4c_i32_i8_e32 v53, v59, v47
	;; [unrolled: 1-line block ×4, first 2 shown]
	v_cvt_f32_f16_e32 v25, v56
	v_cvt_f32_f16_e32 v32, v63
	v_cvt_f32_i32_e32 v54, v54
	v_cvt_f32_i32_e32 v53, v53
	;; [unrolled: 1-line block ×3, first 2 shown]
	v_pk_fma_f32 v[8:9], v[30:31], v[24:25], v[8:9]
	v_pk_fma_f32 v[10:11], v[40:41], v[24:25], v[10:11]
	;; [unrolled: 1-line block ×3, first 2 shown]
	s_waitcnt vmcnt(5)
	v_cvt_f32_f16_sdwa v49, v46 dst_sel:DWORD dst_unused:UNUSED_PAD src0_sel:WORD_1
	s_waitcnt vmcnt(3)
	v_dot4c_i32_i8_e32 v29, v60, v42
	s_waitcnt vmcnt(1)
	v_dot4c_i32_i8_e32 v33, v60, v38
	v_dot4c_i32_i8_e32 v29, v57, v34
	s_waitcnt vmcnt(0)
	v_dot4c_i32_i8_e32 v33, v57, v44
	v_mov_b32_e32 v57, 0
	v_mov_b32_e32 v60, 0
	v_dot4c_i32_i8_e32 v57, v64, v42
	v_dot4c_i32_i8_e32 v60, v64, v38
	;; [unrolled: 1-line block ×8, first 2 shown]
	v_cvt_f32_f16_sdwa v43, v63 dst_sel:DWORD dst_unused:UNUSED_PAD src0_sel:WORD_1
	v_cvt_f32_f16_sdwa v39, v62 dst_sel:DWORD dst_unused:UNUSED_PAD src0_sel:WORD_1
	;; [unrolled: 1-line block ×3, first 2 shown]
	v_dot4c_i32_i8_e32 v29, v52, v35
	v_dot4c_i32_i8_e32 v57, v59, v35
	;; [unrolled: 1-line block ×4, first 2 shown]
	v_cvt_f32_f16_e32 v34, v62
	v_cvt_f32_f16_e32 v38, v48
	v_cvt_f32_f16_e32 v42, v46
	v_cvt_f32_i32_e32 v52, v51
	v_cvt_f32_i32_e32 v56, v29
	;; [unrolled: 1-line block ×5, first 2 shown]
	v_mul_f32_e32 v44, 0x41000000, v43
	v_mul_f32_e32 v46, 0x41000000, v39
	;; [unrolled: 1-line block ×4, first 2 shown]
	v_pk_fma_f32 v[32:33], v[32:33], v[52:53], v[44:45] op_sel_hi:[0,1,0] neg_lo:[0,0,1] neg_hi:[0,0,1]
	v_pk_fma_f32 v[34:35], v[34:35], v[54:55], v[46:47] op_sel_hi:[0,1,0] neg_lo:[0,0,1] neg_hi:[0,0,1]
	;; [unrolled: 1-line block ×4, first 2 shown]
	v_pk_fma_f32 v[6:7], v[32:33], v[24:25], v[6:7]
	v_pk_fma_f32 v[0:1], v[34:35], v[24:25], v[0:1]
	;; [unrolled: 1-line block ×4, first 2 shown]
	s_andn2_b64 exec, exec, s[12:13]
	s_cbranch_execnz .LBB46_2
; %bb.3:
	s_or_b64 exec, exec, s[12:13]
	scratch_store_dwordx4 off, v[8:11], off
	scratch_store_dwordx4 off, v[4:7], off offset:16
	scratch_store_dwordx4 off, v[0:3], off offset:32
	scratch_store_dwordx2 off, v[18:19], off offset:48
.LBB46_4:
	s_or_b64 exec, exec, s[6:7]
	s_mov_b32 s5, 0
	v_cmp_eq_u32_e32 vcc, 0, v13
	s_waitcnt lgkmcnt(0)
	; wave barrier
	s_and_saveexec_b64 s[6:7], vcc
	s_cbranch_execz .LBB46_19
; %bb.5:
	scratch_load_dwordx2 v[2:3], off, off
	v_mbcnt_lo_u32_b32 v0, -1, 0
	v_mbcnt_hi_u32_b32 v13, -1, v0
	s_load_dwordx2 s[6:7], s[0:1], 0x38
	s_mul_i32 s0, s3, s14
	v_or_b32_e32 v1, s2, v12
	v_and_b32_e32 v0, 64, v13
	s_mul_i32 s4, s4, s18
	s_add_i32 s2, s0, s2
	v_cmp_gt_u32_e64 s[0:1], s10, v1
	v_xor_b32_e32 v1, 32, v13
	v_add_u32_e32 v14, 64, v0
	s_add_i32 s4, s2, s4
	v_cmp_lt_i32_e64 s[2:3], v1, v14
	v_cmp_gt_u32_e32 vcc, 2, v12
	s_nop 0
	v_cndmask_b32_e64 v0, v13, v1, s[2:3]
	v_lshlrev_b32_e32 v0, 2, v0
	v_xor_b32_e32 v1, 16, v13
	v_cmp_lt_i32_e64 s[2:3], v1, v14
	s_waitcnt vmcnt(0)
	ds_bpermute_b32 v4, v0, v2
	ds_bpermute_b32 v5, v0, v3
	v_cndmask_b32_e64 v1, v13, v1, s[2:3]
	v_lshlrev_b32_e32 v1, 2, v1
	s_waitcnt lgkmcnt(0)
	v_pk_add_f32 v[4:5], v[2:3], v[4:5]
	ds_bpermute_b32 v6, v1, v4
	ds_bpermute_b32 v7, v1, v5
	v_xor_b32_e32 v2, 8, v13
	v_cmp_lt_i32_e64 s[2:3], v2, v14
	v_xor_b32_e32 v3, 4, v13
	s_waitcnt lgkmcnt(0)
	v_pk_add_f32 v[4:5], v[4:5], v[6:7]
	v_cndmask_b32_e64 v2, v13, v2, s[2:3]
	v_lshlrev_b32_e32 v2, 2, v2
	ds_bpermute_b32 v6, v2, v4
	ds_bpermute_b32 v7, v2, v5
	v_cmp_lt_i32_e64 s[2:3], v3, v14
	s_waitcnt lgkmcnt(0)
	v_pk_add_f32 v[6:7], v[4:5], v[6:7]
	v_cndmask_b32_e64 v3, v13, v3, s[2:3]
	v_lshlrev_b32_e32 v3, 2, v3
	ds_bpermute_b32 v8, v3, v6
	ds_bpermute_b32 v9, v3, v7
	v_xor_b32_e32 v4, 2, v13
	v_cmp_lt_i32_e64 s[2:3], v4, v14
	v_xor_b32_e32 v5, 1, v13
	s_waitcnt lgkmcnt(0)
	v_pk_add_f32 v[8:9], v[6:7], v[8:9]
	v_cndmask_b32_e64 v4, v13, v4, s[2:3]
	v_lshlrev_b32_e32 v4, 2, v4
	ds_bpermute_b32 v10, v4, v8
	ds_bpermute_b32 v11, v4, v9
	v_cmp_lt_i32_e64 s[2:3], v5, v14
	s_waitcnt lgkmcnt(0)
	v_pk_add_f32 v[8:9], v[8:9], v[10:11]
	v_cndmask_b32_e64 v5, v13, v5, s[2:3]
	v_lshlrev_b32_e32 v6, 2, v5
	ds_bpermute_b32 v10, v6, v8
	ds_bpermute_b32 v11, v6, v9
	s_lshl_b64 s[2:3], s[4:5], 2
	s_add_u32 s2, s6, s2
	s_addc_u32 s3, s7, s3
	s_and_b64 s[0:1], vcc, s[0:1]
	s_waitcnt lgkmcnt(0)
	v_pk_add_f32 v[8:9], v[8:9], v[10:11]
	v_lshlrev_b32_e32 v5, 2, v12
	scratch_store_dwordx2 off, v[8:9], off
	s_and_saveexec_b64 s[4:5], s[0:1]
	s_cbranch_execz .LBB46_7
; %bb.6:
	scratch_load_dword v7, v5, off
	s_waitcnt vmcnt(0)
	global_store_dword v5, v7, s[2:3]
.LBB46_7:
	s_or_b64 exec, exec, s[4:5]
	scratch_load_dwordx2 v[8:9], off, off offset:8
	s_waitcnt vmcnt(0)
	ds_bpermute_b32 v10, v0, v8
	ds_bpermute_b32 v11, v0, v9
	s_waitcnt lgkmcnt(0)
	v_pk_add_f32 v[8:9], v[8:9], v[10:11]
	ds_bpermute_b32 v10, v1, v8
	ds_bpermute_b32 v11, v1, v9
	s_waitcnt lgkmcnt(0)
	v_pk_add_f32 v[8:9], v[8:9], v[10:11]
	;; [unrolled: 4-line block ×6, first 2 shown]
	scratch_store_dwordx2 off, v[8:9], off offset:8
	s_and_saveexec_b64 s[4:5], s[0:1]
	s_cbranch_execz .LBB46_9
; %bb.8:
	scratch_load_dword v7, v5, off offset:8
	v_add_u32_e32 v8, s10, v12
	v_mov_b32_e32 v9, 0
	v_lshl_add_u64 v[8:9], v[8:9], 2, s[2:3]
	s_waitcnt vmcnt(0)
	global_store_dword v[8:9], v7, off
.LBB46_9:
	s_or_b64 exec, exec, s[4:5]
	scratch_load_dwordx2 v[8:9], off, off offset:16
	s_waitcnt vmcnt(0)
	ds_bpermute_b32 v10, v0, v8
	ds_bpermute_b32 v11, v0, v9
	s_waitcnt lgkmcnt(0)
	v_pk_add_f32 v[8:9], v[8:9], v[10:11]
	ds_bpermute_b32 v10, v1, v8
	ds_bpermute_b32 v11, v1, v9
	s_waitcnt lgkmcnt(0)
	v_pk_add_f32 v[8:9], v[8:9], v[10:11]
	;; [unrolled: 4-line block ×6, first 2 shown]
	scratch_store_dwordx2 off, v[8:9], off offset:16
	s_and_saveexec_b64 s[4:5], s[0:1]
	s_cbranch_execz .LBB46_11
; %bb.10:
	scratch_load_dword v7, v5, off offset:16
	v_lshl_or_b32 v8, s10, 1, v12
	v_mov_b32_e32 v9, 0
	v_lshl_add_u64 v[8:9], v[8:9], 2, s[2:3]
	s_waitcnt vmcnt(0)
	global_store_dword v[8:9], v7, off
.LBB46_11:
	s_or_b64 exec, exec, s[4:5]
	scratch_load_dwordx2 v[8:9], off, off offset:24
	s_waitcnt vmcnt(0)
	ds_bpermute_b32 v10, v0, v8
	ds_bpermute_b32 v11, v0, v9
	s_waitcnt lgkmcnt(0)
	v_pk_add_f32 v[8:9], v[8:9], v[10:11]
	ds_bpermute_b32 v10, v1, v8
	ds_bpermute_b32 v11, v1, v9
	s_waitcnt lgkmcnt(0)
	v_pk_add_f32 v[8:9], v[8:9], v[10:11]
	;; [unrolled: 4-line block ×6, first 2 shown]
	scratch_store_dwordx2 off, v[8:9], off offset:24
	s_and_saveexec_b64 s[4:5], s[0:1]
	s_cbranch_execz .LBB46_13
; %bb.12:
	scratch_load_dword v7, v5, off offset:24
	v_mad_u64_u32 v[8:9], s[6:7], s10, 3, v[12:13]
	v_mov_b32_e32 v9, 0
	v_lshl_add_u64 v[8:9], v[8:9], 2, s[2:3]
	s_waitcnt vmcnt(0)
	global_store_dword v[8:9], v7, off
.LBB46_13:
	s_or_b64 exec, exec, s[4:5]
	scratch_load_dwordx2 v[8:9], off, off offset:32
	s_waitcnt vmcnt(0)
	ds_bpermute_b32 v10, v0, v8
	ds_bpermute_b32 v11, v0, v9
	s_waitcnt lgkmcnt(0)
	v_pk_add_f32 v[8:9], v[8:9], v[10:11]
	ds_bpermute_b32 v10, v1, v8
	ds_bpermute_b32 v11, v1, v9
	s_waitcnt lgkmcnt(0)
	v_pk_add_f32 v[8:9], v[8:9], v[10:11]
	;; [unrolled: 4-line block ×6, first 2 shown]
	scratch_store_dwordx2 off, v[8:9], off offset:32
	s_and_saveexec_b64 s[4:5], s[0:1]
	s_cbranch_execz .LBB46_15
; %bb.14:
	scratch_load_dword v7, v5, off offset:32
	v_lshl_or_b32 v8, s10, 2, v12
	v_mov_b32_e32 v9, 0
	v_lshl_add_u64 v[8:9], v[8:9], 2, s[2:3]
	s_waitcnt vmcnt(0)
	global_store_dword v[8:9], v7, off
.LBB46_15:
	s_or_b64 exec, exec, s[4:5]
	scratch_load_dwordx2 v[8:9], off, off offset:40
	s_waitcnt vmcnt(0)
	ds_bpermute_b32 v10, v0, v8
	ds_bpermute_b32 v11, v0, v9
	s_waitcnt lgkmcnt(0)
	v_pk_add_f32 v[8:9], v[8:9], v[10:11]
	ds_bpermute_b32 v10, v1, v8
	ds_bpermute_b32 v11, v1, v9
	s_waitcnt lgkmcnt(0)
	v_pk_add_f32 v[8:9], v[8:9], v[10:11]
	;; [unrolled: 4-line block ×6, first 2 shown]
	scratch_store_dwordx2 off, v[8:9], off offset:40
	s_and_saveexec_b64 s[4:5], s[0:1]
	s_cbranch_execz .LBB46_17
; %bb.16:
	scratch_load_dword v7, v5, off offset:40
	v_mad_u64_u32 v[8:9], s[6:7], s10, 5, v[12:13]
	v_mov_b32_e32 v9, 0
	v_lshl_add_u64 v[8:9], v[8:9], 2, s[2:3]
	s_waitcnt vmcnt(0)
	global_store_dword v[8:9], v7, off
.LBB46_17:
	s_or_b64 exec, exec, s[4:5]
	scratch_load_dwordx2 v[8:9], off, off offset:48
	s_waitcnt vmcnt(0)
	ds_bpermute_b32 v10, v0, v8
	ds_bpermute_b32 v11, v0, v9
	s_waitcnt lgkmcnt(0)
	v_pk_add_f32 v[8:9], v[8:9], v[10:11]
	ds_bpermute_b32 v0, v1, v8
	ds_bpermute_b32 v1, v1, v9
	s_waitcnt lgkmcnt(0)
	v_pk_add_f32 v[0:1], v[8:9], v[0:1]
	;; [unrolled: 4-line block ×6, first 2 shown]
	scratch_store_dwordx2 off, v[0:1], off offset:48
	s_and_b64 exec, exec, s[0:1]
	s_cbranch_execz .LBB46_19
; %bb.18:
	scratch_load_dword v2, v5, off offset:48
	s_mul_i32 s0, s10, 6
	v_or_b32_e32 v0, s0, v12
	v_mov_b32_e32 v1, 0
	v_lshl_add_u64 v[0:1], v[0:1], 2, s[2:3]
	s_waitcnt vmcnt(0)
	global_store_dword v[0:1], v2, off
.LBB46_19:
	s_endpgm
	.section	.rodata,"a",@progbits
	.p2align	6, 0x0
	.amdhsa_kernel _ZL13mul_mat_vec_qIL9ggml_type6ELi7ELb0ELb0EEvPKvS2_PKi31ggml_cuda_mm_fusion_args_devicePfj15HIP_vector_typeIjLj3EEjjjS8_jjjS8_jjjj
		.amdhsa_group_segment_fixed_size 0
		.amdhsa_private_segment_fixed_size 64
		.amdhsa_kernarg_size 144
		.amdhsa_user_sgpr_count 2
		.amdhsa_user_sgpr_dispatch_ptr 0
		.amdhsa_user_sgpr_queue_ptr 0
		.amdhsa_user_sgpr_kernarg_segment_ptr 1
		.amdhsa_user_sgpr_dispatch_id 0
		.amdhsa_user_sgpr_kernarg_preload_length 0
		.amdhsa_user_sgpr_kernarg_preload_offset 0
		.amdhsa_user_sgpr_private_segment_size 0
		.amdhsa_uses_dynamic_stack 0
		.amdhsa_enable_private_segment 1
		.amdhsa_system_sgpr_workgroup_id_x 1
		.amdhsa_system_sgpr_workgroup_id_y 1
		.amdhsa_system_sgpr_workgroup_id_z 1
		.amdhsa_system_sgpr_workgroup_info 0
		.amdhsa_system_vgpr_workitem_id 1
		.amdhsa_next_free_vgpr 65
		.amdhsa_next_free_sgpr 30
		.amdhsa_accum_offset 68
		.amdhsa_reserve_vcc 1
		.amdhsa_float_round_mode_32 0
		.amdhsa_float_round_mode_16_64 0
		.amdhsa_float_denorm_mode_32 3
		.amdhsa_float_denorm_mode_16_64 3
		.amdhsa_dx10_clamp 1
		.amdhsa_ieee_mode 1
		.amdhsa_fp16_overflow 0
		.amdhsa_tg_split 0
		.amdhsa_exception_fp_ieee_invalid_op 0
		.amdhsa_exception_fp_denorm_src 0
		.amdhsa_exception_fp_ieee_div_zero 0
		.amdhsa_exception_fp_ieee_overflow 0
		.amdhsa_exception_fp_ieee_underflow 0
		.amdhsa_exception_fp_ieee_inexact 0
		.amdhsa_exception_int_div_zero 0
	.end_amdhsa_kernel
	.section	.text._ZL13mul_mat_vec_qIL9ggml_type6ELi7ELb0ELb0EEvPKvS2_PKi31ggml_cuda_mm_fusion_args_devicePfj15HIP_vector_typeIjLj3EEjjjS8_jjjS8_jjjj,"axG",@progbits,_ZL13mul_mat_vec_qIL9ggml_type6ELi7ELb0ELb0EEvPKvS2_PKi31ggml_cuda_mm_fusion_args_devicePfj15HIP_vector_typeIjLj3EEjjjS8_jjjS8_jjjj,comdat
.Lfunc_end46:
	.size	_ZL13mul_mat_vec_qIL9ggml_type6ELi7ELb0ELb0EEvPKvS2_PKi31ggml_cuda_mm_fusion_args_devicePfj15HIP_vector_typeIjLj3EEjjjS8_jjjS8_jjjj, .Lfunc_end46-_ZL13mul_mat_vec_qIL9ggml_type6ELi7ELb0ELb0EEvPKvS2_PKi31ggml_cuda_mm_fusion_args_devicePfj15HIP_vector_typeIjLj3EEjjjS8_jjjS8_jjjj
                                        ; -- End function
	.section	.AMDGPU.csdata,"",@progbits
; Kernel info:
; codeLenInByte = 4080
; NumSgprs: 36
; NumVgprs: 65
; NumAgprs: 0
; TotalNumVgprs: 65
; ScratchSize: 64
; MemoryBound: 0
; FloatMode: 240
; IeeeMode: 1
; LDSByteSize: 0 bytes/workgroup (compile time only)
; SGPRBlocks: 4
; VGPRBlocks: 8
; NumSGPRsForWavesPerEU: 36
; NumVGPRsForWavesPerEU: 65
; AccumOffset: 68
; Occupancy: 7
; WaveLimiterHint : 0
; COMPUTE_PGM_RSRC2:SCRATCH_EN: 1
; COMPUTE_PGM_RSRC2:USER_SGPR: 2
; COMPUTE_PGM_RSRC2:TRAP_HANDLER: 0
; COMPUTE_PGM_RSRC2:TGID_X_EN: 1
; COMPUTE_PGM_RSRC2:TGID_Y_EN: 1
; COMPUTE_PGM_RSRC2:TGID_Z_EN: 1
; COMPUTE_PGM_RSRC2:TIDIG_COMP_CNT: 1
; COMPUTE_PGM_RSRC3_GFX90A:ACCUM_OFFSET: 16
; COMPUTE_PGM_RSRC3_GFX90A:TG_SPLIT: 0
	.section	.text._ZL13mul_mat_vec_qIL9ggml_type6ELi8ELb0ELb0EEvPKvS2_PKi31ggml_cuda_mm_fusion_args_devicePfj15HIP_vector_typeIjLj3EEjjjS8_jjjS8_jjjj,"axG",@progbits,_ZL13mul_mat_vec_qIL9ggml_type6ELi8ELb0ELb0EEvPKvS2_PKi31ggml_cuda_mm_fusion_args_devicePfj15HIP_vector_typeIjLj3EEjjjS8_jjjS8_jjjj,comdat
	.globl	_ZL13mul_mat_vec_qIL9ggml_type6ELi8ELb0ELb0EEvPKvS2_PKi31ggml_cuda_mm_fusion_args_devicePfj15HIP_vector_typeIjLj3EEjjjS8_jjjS8_jjjj ; -- Begin function _ZL13mul_mat_vec_qIL9ggml_type6ELi8ELb0ELb0EEvPKvS2_PKi31ggml_cuda_mm_fusion_args_devicePfj15HIP_vector_typeIjLj3EEjjjS8_jjjS8_jjjj
	.p2align	8
	.type	_ZL13mul_mat_vec_qIL9ggml_type6ELi8ELb0ELb0EEvPKvS2_PKi31ggml_cuda_mm_fusion_args_devicePfj15HIP_vector_typeIjLj3EEjjjS8_jjjS8_jjjj,@function
_ZL13mul_mat_vec_qIL9ggml_type6ELi8ELb0ELb0EEvPKvS2_PKi31ggml_cuda_mm_fusion_args_devicePfj15HIP_vector_typeIjLj3EEjjjS8_jjjS8_jjjj: ; @_ZL13mul_mat_vec_qIL9ggml_type6ELi8ELb0ELb0EEvPKvS2_PKi31ggml_cuda_mm_fusion_args_devicePfj15HIP_vector_typeIjLj3EEjjjS8_jjjS8_jjjj
; %bb.0:
	v_bfe_u32 v17, v0, 10, 10
	v_lshlrev_b32_e32 v1, 6, v17
	v_and_b32_e32 v16, 0x3ff, v0
	s_mov_b32 s20, 0
	s_load_dword s5, s[0:1], 0x40
	s_load_dwordx4 s[8:11], s[0:1], 0x50
	s_load_dword s25, s[0:1], 0x60
	s_load_dwordx4 s[12:15], s[0:1], 0x68
	;; [unrolled: 2-line block ×3, first 2 shown]
	s_mov_b32 s21, s20
	v_add_u16_e32 v0, v1, v16
	s_waitcnt lgkmcnt(0)
	s_lshr_b32 s5, s5, 5
	s_mov_b32 s22, s20
	s_mov_b32 s23, s20
	v_mov_b64_e32 v[2:3], s[20:21]
	v_lshrrev_b16_e32 v28, 1, v0
	s_lshl_b32 s2, s2, 1
	v_mov_b64_e32 v[4:5], s[22:23]
	v_cmp_gt_u32_e32 vcc, s5, v28
	scratch_store_dwordx4 off, v[2:5], off offset:48
	scratch_store_dwordx4 off, v[2:5], off offset:32
	;; [unrolled: 1-line block ×3, first 2 shown]
	scratch_store_dwordx4 off, v[2:5], off
	s_and_saveexec_b64 s[6:7], vcc
	s_cbranch_execz .LBB47_4
; %bb.1:
	s_load_dwordx4 s[20:23], s[0:1], 0x0
	s_mul_i32 s17, s4, s17
	s_mul_hi_u32 s19, s17, 36
	s_mul_i32 s17, s17, 36
	s_mul_i32 s13, s3, s13
	s_waitcnt lgkmcnt(0)
	s_add_u32 s17, s22, s17
	s_addc_u32 s19, s23, s19
	s_mul_hi_u32 s23, s13, 36
	s_mul_i32 s13, s13, 36
	s_add_u32 s22, s17, s13
	s_mul_hi_u32 s11, s11, s3
	s_addc_u32 s23, s19, s23
	s_add_i32 s11, s3, s11
	v_and_b32_e32 v3, 1, v16
	s_lshr_b32 s11, s11, s25
	v_lshlrev_b32_e32 v18, 3, v3
	v_and_b32_e32 v3, v1, v16
	v_xor_b32_e32 v1, v1, v16
	s_mul_i32 s17, s11, s12
	s_mul_hi_u32 s11, s15, s4
	v_lshrrev_b16_e32 v1, 1, v1
	s_add_i32 s11, s4, s11
	v_add_u16_e32 v1, v3, v1
	s_lshr_b32 s11, s11, s24
	v_lshlrev_b32_e32 v0, 1, v16
	v_mad_u64_u32 v[20:21], s[12:13], v1, 36, s[22:23]
	s_mul_i32 s16, s11, s16
	v_and_b32_e32 v0, 2, v0
	s_add_i32 s13, s2, 1
	v_lshlrev_b32_e32 v2, 1, v0
	v_mov_b32_e32 v19, 0
	v_lshlrev_b32_e32 v29, 2, v0
	s_mul_i32 s27, s2, s8
	s_add_i32 s12, s16, s17
	s_mul_i32 s8, s8, s13
	v_or_b32_e32 v30, 4, v29
	s_lshl_b32 s11, s9, 1
	s_mul_i32 s15, s9, 3
	s_lshl_b32 s19, s9, 2
	s_mul_i32 s24, s9, 5
	s_mul_i32 s25, s9, 6
	;; [unrolled: 1-line block ×3, first 2 shown]
	s_add_i32 s8, s12, s8
	s_add_i32 s27, s12, s27
	s_mov_b64 s[12:13], 0
	s_mov_b32 s28, 0x1000706
	v_lshlrev_b32_e32 v22, 1, v2
	v_lshlrev_b32_e32 v24, 2, v0
	s_mov_b64 s[16:17], 0x480
	v_mov_b32_e32 v23, v19
	v_mov_b32_e32 v25, v19
	;; [unrolled: 1-line block ×18, first 2 shown]
.LBB47_2:                               ; =>This Inner Loop Header: Depth=1
	v_lshl_add_u64 v[26:27], v[20:21], 0, v[18:19]
	global_load_dwordx2 v[38:39], v[26:27], off offset:4
	global_load_dwordx2 v[40:41], v[26:27], off offset:20
	global_load_dword v32, v[20:21], off
	v_add_u32_e32 v31, s27, v28
	v_mov_b32_e32 v45, 0
	v_lshl_add_u64 v[20:21], v[20:21], 0, s[16:17]
	s_waitcnt vmcnt(0)
	v_cvt_f32_f16_sdwa v26, v32 dst_sel:DWORD dst_unused:UNUSED_PAD src0_sel:WORD_1
	v_cvt_f32_f16_e32 v42, v32
	v_mul_f32_e32 v44, 0x41000000, v26
	v_mad_i64_i32 v[26:27], s[30:31], v31, 22, s[20:21]
	global_load_dword v43, v[26:27], off
	global_load_ushort v31, v[26:27], off offset:4
	v_lshl_add_u64 v[26:27], v[26:27], 0, v[22:23]
	global_load_dword v32, v[26:27], off offset:6
	s_waitcnt vmcnt(1)
	v_perm_b32 v31, v43, v31, s28
	global_load_dword v26, v[26:27], off offset:10
	v_ashrrev_i32_e32 v33, v29, v31
	v_lshlrev_b32_e32 v34, 4, v33
	v_lshlrev_b32_e32 v35, 11, v33
	v_ashrrev_i32_e32 v27, v30, v31
	s_waitcnt vmcnt(1)
	v_and_b32_e32 v31, 0xf0f0f0f, v32
	v_and_b32_e32 v34, 16, v34
	v_and_b32_e32 v35, 0x1000, v35
	v_or3_b32 v31, v34, v31, v35
	v_lshlrev_b32_e32 v34, 18, v33
	v_lshlrev_b32_e32 v35, 25, v33
	v_and_b32_e32 v34, 0x100000, v34
	v_and_b32_e32 v35, 0x10000000, v35
	v_or3_b32 v31, v31, v34, v35
	v_lshrrev_b32_e32 v34, 12, v33
	v_lshrrev_b32_e32 v35, 5, v33
	v_lshlrev_b32_e32 v36, 2, v33
	v_lshrrev_b32_e32 v32, 4, v32
	v_and_b32_e32 v34, 16, v34
	v_and_b32_e32 v35, 0x1000, v35
	;; [unrolled: 1-line block ×3, first 2 shown]
	v_lshlrev_b32_e32 v33, 9, v33
	v_and_b32_e32 v32, 0xf0f0f0f, v32
	v_and_b32_e32 v33, 0x10000000, v33
	v_or3_b32 v34, v35, v34, v36
	v_or3_b32 v32, v34, v33, v32
	v_lshlrev_b32_e32 v34, 4, v27
	v_lshlrev_b32_e32 v35, 11, v27
	;; [unrolled: 1-line block ×3, first 2 shown]
	v_and_b32_e32 v34, 16, v34
	v_and_b32_e32 v35, 0x1000, v35
	;; [unrolled: 1-line block ×3, first 2 shown]
	v_lshlrev_b32_e32 v37, 25, v27
	v_and_b32_e32 v37, 0x10000000, v37
	v_or3_b32 v34, v35, v34, v36
	v_lshrrev_b32_e32 v35, 5, v27
	v_lshlrev_b32_e32 v36, 2, v27
	v_and_b32_e32 v35, 0x1000, v35
	v_and_b32_e32 v36, 0x100000, v36
	v_dot4c_i32_i8_e32 v45, v31, v38
	v_dot4c_i32_i8_e32 v45, v32, v40
	s_waitcnt vmcnt(0)
	v_and_b32_e32 v33, 0xf0f0f0f, v26
	v_or3_b32 v33, v34, v37, v33
	v_lshrrev_b32_e32 v34, 12, v27
	v_lshrrev_b32_e32 v26, 4, v26
	v_and_b32_e32 v34, 16, v34
	v_lshlrev_b32_e32 v27, 9, v27
	v_and_b32_e32 v26, 0xf0f0f0f, v26
	v_and_b32_e32 v27, 0x10000000, v27
	v_or3_b32 v34, v35, v34, v36
	v_or3_b32 v34, v34, v27, v26
	v_add_u32_e32 v26, s8, v28
	v_mad_i64_i32 v[26:27], s[30:31], v26, 22, s[20:21]
	global_load_dword v46, v[26:27], off
	global_load_ushort v35, v[26:27], off offset:4
	v_lshl_add_u64 v[26:27], v[26:27], 0, v[22:23]
	global_load_dword v36, v[26:27], off offset:6
	v_dot4c_i32_i8_e32 v45, v33, v39
	global_load_dword v26, v[26:27], off offset:10
	v_dot4c_i32_i8_e32 v45, v34, v41
	s_waitcnt vmcnt(2)
	v_perm_b32 v35, v46, v35, s28
	v_ashrrev_i32_e32 v37, v29, v35
	v_lshlrev_b32_e32 v47, 4, v37
	v_lshlrev_b32_e32 v48, 11, v37
	v_ashrrev_i32_e32 v27, v30, v35
	s_waitcnt vmcnt(1)
	v_and_b32_e32 v35, 0xf0f0f0f, v36
	v_and_b32_e32 v47, 16, v47
	;; [unrolled: 1-line block ×3, first 2 shown]
	v_or3_b32 v35, v47, v35, v48
	v_lshlrev_b32_e32 v47, 18, v37
	v_lshlrev_b32_e32 v48, 25, v37
	v_and_b32_e32 v47, 0x100000, v47
	v_and_b32_e32 v48, 0x10000000, v48
	v_or3_b32 v35, v35, v47, v48
	v_mov_b32_e32 v47, 0
	v_dot4c_i32_i8_e32 v47, v35, v38
	v_lshrrev_b32_e32 v38, 12, v37
	v_lshrrev_b32_e32 v48, 5, v37
	v_lshlrev_b32_e32 v49, 2, v37
	v_lshrrev_b32_e32 v36, 4, v36
	v_and_b32_e32 v38, 16, v38
	v_and_b32_e32 v48, 0x1000, v48
	;; [unrolled: 1-line block ×3, first 2 shown]
	v_lshlrev_b32_e32 v37, 9, v37
	v_and_b32_e32 v36, 0xf0f0f0f, v36
	v_and_b32_e32 v37, 0x10000000, v37
	v_or3_b32 v38, v48, v38, v49
	v_or3_b32 v36, v38, v37, v36
	v_dot4c_i32_i8_e32 v47, v36, v40
	v_lshlrev_b32_e32 v38, 4, v27
	v_lshlrev_b32_e32 v40, 11, v27
	;; [unrolled: 1-line block ×3, first 2 shown]
	v_and_b32_e32 v38, 16, v38
	v_and_b32_e32 v40, 0x1000, v40
	;; [unrolled: 1-line block ×3, first 2 shown]
	v_lshlrev_b32_e32 v49, 25, v27
	s_waitcnt vmcnt(0)
	v_and_b32_e32 v37, 0xf0f0f0f, v26
	v_and_b32_e32 v49, 0x10000000, v49
	v_or3_b32 v38, v40, v38, v48
	v_or3_b32 v37, v38, v49, v37
	v_dot4c_i32_i8_e32 v47, v37, v39
	v_lshrrev_b32_e32 v38, 12, v27
	v_lshrrev_b32_e32 v39, 5, v27
	v_lshlrev_b32_e32 v40, 2, v27
	v_lshrrev_b32_e32 v26, 4, v26
	v_and_b32_e32 v38, 16, v38
	v_and_b32_e32 v39, 0x1000, v39
	;; [unrolled: 1-line block ×3, first 2 shown]
	v_lshlrev_b32_e32 v27, 9, v27
	v_and_b32_e32 v26, 0xf0f0f0f, v26
	v_and_b32_e32 v27, 0x10000000, v27
	v_or3_b32 v38, v39, v38, v40
	v_or3_b32 v38, v38, v27, v26
	v_dot4c_i32_i8_e32 v47, v38, v41
	v_cvt_f32_i32_e32 v40, v45
	v_cvt_f32_f16_e32 v27, v46
	v_cvt_f32_f16_e32 v26, v43
	v_cvt_f32_i32_e32 v41, v47
	v_add_u32_e32 v39, s9, v28
	v_pk_fma_f32 v[40:41], v[42:43], v[40:41], v[44:45] op_sel_hi:[0,1,0] neg_lo:[0,0,1] neg_hi:[0,0,1]
	v_pk_fma_f32 v[12:13], v[40:41], v[26:27], v[12:13]
	v_mad_u64_u32 v[40:41], s[30:31], v39, 36, s[22:23]
	v_lshl_add_u64 v[42:43], v[40:41], 0, v[24:25]
	global_load_dwordx2 v[44:45], v[42:43], off offset:4
	global_load_dwordx2 v[46:47], v[42:43], off offset:20
	global_load_dword v39, v[40:41], off
	v_mov_b32_e32 v41, 0
	s_waitcnt vmcnt(2)
	v_dot4c_i32_i8_e32 v41, v35, v44
	s_waitcnt vmcnt(1)
	v_dot4c_i32_i8_e32 v41, v36, v46
	s_waitcnt vmcnt(0)
	v_cvt_f32_f16_e32 v40, v39
	v_cvt_f32_f16_sdwa v39, v39 dst_sel:DWORD dst_unused:UNUSED_PAD src0_sel:WORD_1
	v_dot4c_i32_i8_e32 v41, v37, v45
	v_dot4c_i32_i8_e32 v41, v38, v47
	v_mul_f32_e32 v42, 0x41000000, v39
	v_mov_b32_e32 v39, 0
	v_dot4c_i32_i8_e32 v39, v31, v44
	v_dot4c_i32_i8_e32 v39, v32, v46
	v_dot4c_i32_i8_e32 v39, v33, v45
	v_dot4c_i32_i8_e32 v39, v34, v47
	v_cvt_f32_i32_e32 v45, v41
	s_nop 1
	v_cvt_f32_i32_e32 v44, v39
	v_add_u32_e32 v39, s11, v28
	v_pk_fma_f32 v[40:41], v[40:41], v[44:45], v[42:43] op_sel_hi:[0,1,0] neg_lo:[0,0,1] neg_hi:[0,0,1]
	v_pk_fma_f32 v[14:15], v[40:41], v[26:27], v[14:15]
	v_mad_u64_u32 v[40:41], s[30:31], v39, 36, s[22:23]
	v_lshl_add_u64 v[42:43], v[40:41], 0, v[24:25]
	global_load_dwordx2 v[44:45], v[42:43], off offset:4
	global_load_dwordx2 v[46:47], v[42:43], off offset:20
	global_load_dword v39, v[40:41], off
	v_mov_b32_e32 v41, 0
	s_waitcnt vmcnt(2)
	v_dot4c_i32_i8_e32 v41, v35, v44
	s_waitcnt vmcnt(1)
	v_dot4c_i32_i8_e32 v41, v36, v46
	s_waitcnt vmcnt(0)
	v_cvt_f32_f16_e32 v40, v39
	v_cvt_f32_f16_sdwa v39, v39 dst_sel:DWORD dst_unused:UNUSED_PAD src0_sel:WORD_1
	v_dot4c_i32_i8_e32 v41, v37, v45
	v_dot4c_i32_i8_e32 v41, v38, v47
	v_mul_f32_e32 v42, 0x41000000, v39
	v_mov_b32_e32 v39, 0
	v_dot4c_i32_i8_e32 v39, v31, v44
	v_dot4c_i32_i8_e32 v39, v32, v46
	v_dot4c_i32_i8_e32 v39, v33, v45
	v_dot4c_i32_i8_e32 v39, v34, v47
	v_cvt_f32_i32_e32 v45, v41
	s_nop 1
	;; [unrolled: 27-line block ×6, first 2 shown]
	v_cvt_f32_i32_e32 v44, v39
	v_add_u32_e32 v39, s26, v28
	v_add_u32_e32 v28, 32, v28
	v_cmp_le_u32_e32 vcc, s5, v28
	v_pk_fma_f32 v[40:41], v[40:41], v[44:45], v[42:43] op_sel_hi:[0,1,0] neg_lo:[0,0,1] neg_hi:[0,0,1]
	v_pk_fma_f32 v[0:1], v[40:41], v[26:27], v[0:1]
	v_mad_u64_u32 v[40:41], s[30:31], v39, 36, s[22:23]
	v_lshl_add_u64 v[42:43], v[40:41], 0, v[24:25]
	global_load_dwordx2 v[44:45], v[42:43], off offset:4
	global_load_dwordx2 v[46:47], v[42:43], off offset:20
	global_load_dword v39, v[40:41], off
	s_or_b64 s[12:13], vcc, s[12:13]
	s_waitcnt vmcnt(0)
	v_cvt_f32_f16_e32 v40, v39
	v_cvt_f32_f16_sdwa v39, v39 dst_sel:DWORD dst_unused:UNUSED_PAD src0_sel:WORD_1
	v_mul_f32_e32 v42, 0x41000000, v39
	v_mov_b32_e32 v39, 0
	v_dot4c_i32_i8_e32 v39, v31, v44
	v_mov_b32_e32 v31, 0
	v_dot4c_i32_i8_e32 v31, v35, v44
	v_dot4c_i32_i8_e32 v39, v32, v46
	;; [unrolled: 1-line block ×7, first 2 shown]
	s_nop 1
	v_cvt_f32_i32_e32 v32, v39
	v_cvt_f32_i32_e32 v33, v31
	v_pk_fma_f32 v[32:33], v[40:41], v[32:33], v[42:43] op_sel_hi:[0,1,0] neg_lo:[0,0,1] neg_hi:[0,0,1]
	v_pk_fma_f32 v[2:3], v[32:33], v[26:27], v[2:3]
	s_andn2_b64 exec, exec, s[12:13]
	s_cbranch_execnz .LBB47_2
; %bb.3:
	s_or_b64 exec, exec, s[12:13]
	scratch_store_dwordx4 off, v[12:15], off
	scratch_store_dwordx4 off, v[8:11], off offset:16
	scratch_store_dwordx4 off, v[4:7], off offset:32
	;; [unrolled: 1-line block ×3, first 2 shown]
.LBB47_4:
	s_or_b64 exec, exec, s[6:7]
	s_mov_b32 s5, 0
	v_cmp_eq_u32_e32 vcc, 0, v17
	s_waitcnt lgkmcnt(0)
	; wave barrier
	s_and_saveexec_b64 s[6:7], vcc
	s_cbranch_execz .LBB47_21
; %bb.5:
	scratch_load_dwordx2 v[2:3], off, off
	v_mbcnt_lo_u32_b32 v0, -1, 0
	v_mbcnt_hi_u32_b32 v12, -1, v0
	s_load_dwordx2 s[6:7], s[0:1], 0x38
	s_mul_i32 s0, s3, s14
	v_or_b32_e32 v1, s2, v16
	v_and_b32_e32 v0, 64, v12
	s_mul_i32 s4, s4, s18
	s_add_i32 s2, s0, s2
	v_cmp_gt_u32_e64 s[0:1], s10, v1
	v_xor_b32_e32 v1, 32, v12
	v_add_u32_e32 v13, 64, v0
	s_add_i32 s4, s2, s4
	v_cmp_lt_i32_e64 s[2:3], v1, v13
	v_cmp_gt_u32_e32 vcc, 2, v16
	s_nop 0
	v_cndmask_b32_e64 v0, v12, v1, s[2:3]
	v_lshlrev_b32_e32 v0, 2, v0
	v_xor_b32_e32 v1, 16, v12
	v_cmp_lt_i32_e64 s[2:3], v1, v13
	s_waitcnt vmcnt(0)
	ds_bpermute_b32 v4, v0, v2
	ds_bpermute_b32 v5, v0, v3
	v_cndmask_b32_e64 v1, v12, v1, s[2:3]
	v_lshlrev_b32_e32 v1, 2, v1
	s_waitcnt lgkmcnt(0)
	v_pk_add_f32 v[4:5], v[2:3], v[4:5]
	ds_bpermute_b32 v6, v1, v4
	ds_bpermute_b32 v7, v1, v5
	v_xor_b32_e32 v2, 8, v12
	v_cmp_lt_i32_e64 s[2:3], v2, v13
	v_xor_b32_e32 v3, 4, v12
	s_waitcnt lgkmcnt(0)
	v_pk_add_f32 v[4:5], v[4:5], v[6:7]
	v_cndmask_b32_e64 v2, v12, v2, s[2:3]
	v_lshlrev_b32_e32 v2, 2, v2
	ds_bpermute_b32 v6, v2, v4
	ds_bpermute_b32 v7, v2, v5
	v_cmp_lt_i32_e64 s[2:3], v3, v13
	s_waitcnt lgkmcnt(0)
	v_pk_add_f32 v[6:7], v[4:5], v[6:7]
	v_cndmask_b32_e64 v3, v12, v3, s[2:3]
	v_lshlrev_b32_e32 v3, 2, v3
	ds_bpermute_b32 v8, v3, v6
	ds_bpermute_b32 v9, v3, v7
	v_xor_b32_e32 v4, 2, v12
	v_cmp_lt_i32_e64 s[2:3], v4, v13
	v_xor_b32_e32 v5, 1, v12
	s_waitcnt lgkmcnt(0)
	v_pk_add_f32 v[8:9], v[6:7], v[8:9]
	v_cndmask_b32_e64 v4, v12, v4, s[2:3]
	v_lshlrev_b32_e32 v4, 2, v4
	ds_bpermute_b32 v10, v4, v8
	ds_bpermute_b32 v11, v4, v9
	v_cmp_lt_i32_e64 s[2:3], v5, v13
	s_waitcnt lgkmcnt(0)
	v_pk_add_f32 v[8:9], v[8:9], v[10:11]
	v_cndmask_b32_e64 v5, v12, v5, s[2:3]
	v_lshlrev_b32_e32 v6, 2, v5
	ds_bpermute_b32 v10, v6, v8
	ds_bpermute_b32 v11, v6, v9
	s_lshl_b64 s[2:3], s[4:5], 2
	s_add_u32 s2, s6, s2
	s_addc_u32 s3, s7, s3
	s_and_b64 s[0:1], vcc, s[0:1]
	s_waitcnt lgkmcnt(0)
	v_pk_add_f32 v[8:9], v[8:9], v[10:11]
	v_lshlrev_b32_e32 v5, 2, v16
	scratch_store_dwordx2 off, v[8:9], off
	s_and_saveexec_b64 s[4:5], s[0:1]
	s_cbranch_execz .LBB47_7
; %bb.6:
	scratch_load_dword v7, v5, off
	s_waitcnt vmcnt(0)
	global_store_dword v5, v7, s[2:3]
.LBB47_7:
	s_or_b64 exec, exec, s[4:5]
	scratch_load_dwordx2 v[8:9], off, off offset:8
	s_waitcnt vmcnt(0)
	ds_bpermute_b32 v10, v0, v8
	ds_bpermute_b32 v11, v0, v9
	s_waitcnt lgkmcnt(0)
	v_pk_add_f32 v[8:9], v[8:9], v[10:11]
	ds_bpermute_b32 v10, v1, v8
	ds_bpermute_b32 v11, v1, v9
	s_waitcnt lgkmcnt(0)
	v_pk_add_f32 v[8:9], v[8:9], v[10:11]
	;; [unrolled: 4-line block ×6, first 2 shown]
	scratch_store_dwordx2 off, v[8:9], off offset:8
	s_and_saveexec_b64 s[4:5], s[0:1]
	s_cbranch_execz .LBB47_9
; %bb.8:
	scratch_load_dword v7, v5, off offset:8
	v_add_u32_e32 v8, s10, v16
	v_mov_b32_e32 v9, 0
	v_lshl_add_u64 v[8:9], v[8:9], 2, s[2:3]
	s_waitcnt vmcnt(0)
	global_store_dword v[8:9], v7, off
.LBB47_9:
	s_or_b64 exec, exec, s[4:5]
	scratch_load_dwordx2 v[8:9], off, off offset:16
	s_waitcnt vmcnt(0)
	ds_bpermute_b32 v10, v0, v8
	ds_bpermute_b32 v11, v0, v9
	s_waitcnt lgkmcnt(0)
	v_pk_add_f32 v[8:9], v[8:9], v[10:11]
	ds_bpermute_b32 v10, v1, v8
	ds_bpermute_b32 v11, v1, v9
	s_waitcnt lgkmcnt(0)
	v_pk_add_f32 v[8:9], v[8:9], v[10:11]
	;; [unrolled: 4-line block ×6, first 2 shown]
	scratch_store_dwordx2 off, v[8:9], off offset:16
	s_and_saveexec_b64 s[4:5], s[0:1]
	s_cbranch_execz .LBB47_11
; %bb.10:
	scratch_load_dword v7, v5, off offset:16
	v_lshl_or_b32 v8, s10, 1, v16
	v_mov_b32_e32 v9, 0
	v_lshl_add_u64 v[8:9], v[8:9], 2, s[2:3]
	s_waitcnt vmcnt(0)
	global_store_dword v[8:9], v7, off
.LBB47_11:
	s_or_b64 exec, exec, s[4:5]
	scratch_load_dwordx2 v[8:9], off, off offset:24
	s_waitcnt vmcnt(0)
	ds_bpermute_b32 v10, v0, v8
	ds_bpermute_b32 v11, v0, v9
	s_waitcnt lgkmcnt(0)
	v_pk_add_f32 v[8:9], v[8:9], v[10:11]
	ds_bpermute_b32 v10, v1, v8
	ds_bpermute_b32 v11, v1, v9
	s_waitcnt lgkmcnt(0)
	v_pk_add_f32 v[8:9], v[8:9], v[10:11]
	;; [unrolled: 4-line block ×6, first 2 shown]
	scratch_store_dwordx2 off, v[8:9], off offset:24
	s_and_saveexec_b64 s[4:5], s[0:1]
	s_cbranch_execz .LBB47_13
; %bb.12:
	scratch_load_dword v7, v5, off offset:24
	v_mad_u64_u32 v[8:9], s[6:7], s10, 3, v[16:17]
	v_mov_b32_e32 v9, 0
	v_lshl_add_u64 v[8:9], v[8:9], 2, s[2:3]
	s_waitcnt vmcnt(0)
	global_store_dword v[8:9], v7, off
.LBB47_13:
	s_or_b64 exec, exec, s[4:5]
	scratch_load_dwordx2 v[8:9], off, off offset:32
	s_waitcnt vmcnt(0)
	ds_bpermute_b32 v10, v0, v8
	ds_bpermute_b32 v11, v0, v9
	s_waitcnt lgkmcnt(0)
	v_pk_add_f32 v[8:9], v[8:9], v[10:11]
	ds_bpermute_b32 v10, v1, v8
	ds_bpermute_b32 v11, v1, v9
	s_waitcnt lgkmcnt(0)
	v_pk_add_f32 v[8:9], v[8:9], v[10:11]
	;; [unrolled: 4-line block ×6, first 2 shown]
	scratch_store_dwordx2 off, v[8:9], off offset:32
	s_and_saveexec_b64 s[4:5], s[0:1]
	s_cbranch_execz .LBB47_15
; %bb.14:
	scratch_load_dword v7, v5, off offset:32
	v_lshl_or_b32 v8, s10, 2, v16
	v_mov_b32_e32 v9, 0
	v_lshl_add_u64 v[8:9], v[8:9], 2, s[2:3]
	s_waitcnt vmcnt(0)
	global_store_dword v[8:9], v7, off
.LBB47_15:
	s_or_b64 exec, exec, s[4:5]
	scratch_load_dwordx2 v[8:9], off, off offset:40
	s_waitcnt vmcnt(0)
	ds_bpermute_b32 v10, v0, v8
	ds_bpermute_b32 v11, v0, v9
	s_waitcnt lgkmcnt(0)
	v_pk_add_f32 v[8:9], v[8:9], v[10:11]
	ds_bpermute_b32 v10, v1, v8
	ds_bpermute_b32 v11, v1, v9
	s_waitcnt lgkmcnt(0)
	v_pk_add_f32 v[8:9], v[8:9], v[10:11]
	;; [unrolled: 4-line block ×6, first 2 shown]
	scratch_store_dwordx2 off, v[8:9], off offset:40
	s_and_saveexec_b64 s[4:5], s[0:1]
	s_cbranch_execz .LBB47_17
; %bb.16:
	scratch_load_dword v7, v5, off offset:40
	v_mad_u64_u32 v[8:9], s[6:7], s10, 5, v[16:17]
	v_mov_b32_e32 v9, 0
	v_lshl_add_u64 v[8:9], v[8:9], 2, s[2:3]
	s_waitcnt vmcnt(0)
	global_store_dword v[8:9], v7, off
.LBB47_17:
	s_or_b64 exec, exec, s[4:5]
	scratch_load_dwordx2 v[8:9], off, off offset:48
	s_waitcnt vmcnt(0)
	ds_bpermute_b32 v10, v0, v8
	ds_bpermute_b32 v11, v0, v9
	s_waitcnt lgkmcnt(0)
	v_pk_add_f32 v[8:9], v[8:9], v[10:11]
	ds_bpermute_b32 v10, v1, v8
	ds_bpermute_b32 v11, v1, v9
	s_waitcnt lgkmcnt(0)
	v_pk_add_f32 v[8:9], v[8:9], v[10:11]
	;; [unrolled: 4-line block ×6, first 2 shown]
	scratch_store_dwordx2 off, v[8:9], off offset:48
	s_and_saveexec_b64 s[4:5], s[0:1]
	s_cbranch_execz .LBB47_19
; %bb.18:
	scratch_load_dword v7, v5, off offset:48
	s_mul_i32 s6, s10, 6
	v_or_b32_e32 v8, s6, v16
	v_mov_b32_e32 v9, 0
	v_lshl_add_u64 v[8:9], v[8:9], 2, s[2:3]
	s_waitcnt vmcnt(0)
	global_store_dword v[8:9], v7, off
.LBB47_19:
	s_or_b64 exec, exec, s[4:5]
	scratch_load_dwordx2 v[8:9], off, off offset:56
	s_waitcnt vmcnt(0)
	ds_bpermute_b32 v10, v0, v8
	ds_bpermute_b32 v11, v0, v9
	s_waitcnt lgkmcnt(0)
	v_pk_add_f32 v[8:9], v[8:9], v[10:11]
	ds_bpermute_b32 v0, v1, v8
	ds_bpermute_b32 v1, v1, v9
	s_waitcnt lgkmcnt(0)
	v_pk_add_f32 v[0:1], v[8:9], v[0:1]
	;; [unrolled: 4-line block ×6, first 2 shown]
	scratch_store_dwordx2 off, v[0:1], off offset:56
	s_and_b64 exec, exec, s[0:1]
	s_cbranch_execz .LBB47_21
; %bb.20:
	scratch_load_dword v2, v5, off offset:56
	v_mad_u64_u32 v[0:1], s[0:1], s10, 7, v[16:17]
	v_mov_b32_e32 v1, 0
	v_lshl_add_u64 v[0:1], v[0:1], 2, s[2:3]
	s_waitcnt vmcnt(0)
	global_store_dword v[0:1], v2, off
.LBB47_21:
	s_endpgm
	.section	.rodata,"a",@progbits
	.p2align	6, 0x0
	.amdhsa_kernel _ZL13mul_mat_vec_qIL9ggml_type6ELi8ELb0ELb0EEvPKvS2_PKi31ggml_cuda_mm_fusion_args_devicePfj15HIP_vector_typeIjLj3EEjjjS8_jjjS8_jjjj
		.amdhsa_group_segment_fixed_size 0
		.amdhsa_private_segment_fixed_size 80
		.amdhsa_kernarg_size 144
		.amdhsa_user_sgpr_count 2
		.amdhsa_user_sgpr_dispatch_ptr 0
		.amdhsa_user_sgpr_queue_ptr 0
		.amdhsa_user_sgpr_kernarg_segment_ptr 1
		.amdhsa_user_sgpr_dispatch_id 0
		.amdhsa_user_sgpr_kernarg_preload_length 0
		.amdhsa_user_sgpr_kernarg_preload_offset 0
		.amdhsa_user_sgpr_private_segment_size 0
		.amdhsa_uses_dynamic_stack 0
		.amdhsa_enable_private_segment 1
		.amdhsa_system_sgpr_workgroup_id_x 1
		.amdhsa_system_sgpr_workgroup_id_y 1
		.amdhsa_system_sgpr_workgroup_id_z 1
		.amdhsa_system_sgpr_workgroup_info 0
		.amdhsa_system_vgpr_workitem_id 1
		.amdhsa_next_free_vgpr 50
		.amdhsa_next_free_sgpr 32
		.amdhsa_accum_offset 52
		.amdhsa_reserve_vcc 1
		.amdhsa_float_round_mode_32 0
		.amdhsa_float_round_mode_16_64 0
		.amdhsa_float_denorm_mode_32 3
		.amdhsa_float_denorm_mode_16_64 3
		.amdhsa_dx10_clamp 1
		.amdhsa_ieee_mode 1
		.amdhsa_fp16_overflow 0
		.amdhsa_tg_split 0
		.amdhsa_exception_fp_ieee_invalid_op 0
		.amdhsa_exception_fp_denorm_src 0
		.amdhsa_exception_fp_ieee_div_zero 0
		.amdhsa_exception_fp_ieee_overflow 0
		.amdhsa_exception_fp_ieee_underflow 0
		.amdhsa_exception_fp_ieee_inexact 0
		.amdhsa_exception_int_div_zero 0
	.end_amdhsa_kernel
	.section	.text._ZL13mul_mat_vec_qIL9ggml_type6ELi8ELb0ELb0EEvPKvS2_PKi31ggml_cuda_mm_fusion_args_devicePfj15HIP_vector_typeIjLj3EEjjjS8_jjjS8_jjjj,"axG",@progbits,_ZL13mul_mat_vec_qIL9ggml_type6ELi8ELb0ELb0EEvPKvS2_PKi31ggml_cuda_mm_fusion_args_devicePfj15HIP_vector_typeIjLj3EEjjjS8_jjjS8_jjjj,comdat
.Lfunc_end47:
	.size	_ZL13mul_mat_vec_qIL9ggml_type6ELi8ELb0ELb0EEvPKvS2_PKi31ggml_cuda_mm_fusion_args_devicePfj15HIP_vector_typeIjLj3EEjjjS8_jjjS8_jjjj, .Lfunc_end47-_ZL13mul_mat_vec_qIL9ggml_type6ELi8ELb0ELb0EEvPKvS2_PKi31ggml_cuda_mm_fusion_args_devicePfj15HIP_vector_typeIjLj3EEjjjS8_jjjS8_jjjj
                                        ; -- End function
	.section	.AMDGPU.csdata,"",@progbits
; Kernel info:
; codeLenInByte = 4508
; NumSgprs: 38
; NumVgprs: 50
; NumAgprs: 0
; TotalNumVgprs: 50
; ScratchSize: 80
; MemoryBound: 0
; FloatMode: 240
; IeeeMode: 1
; LDSByteSize: 0 bytes/workgroup (compile time only)
; SGPRBlocks: 4
; VGPRBlocks: 6
; NumSGPRsForWavesPerEU: 38
; NumVGPRsForWavesPerEU: 50
; AccumOffset: 52
; Occupancy: 8
; WaveLimiterHint : 0
; COMPUTE_PGM_RSRC2:SCRATCH_EN: 1
; COMPUTE_PGM_RSRC2:USER_SGPR: 2
; COMPUTE_PGM_RSRC2:TRAP_HANDLER: 0
; COMPUTE_PGM_RSRC2:TGID_X_EN: 1
; COMPUTE_PGM_RSRC2:TGID_Y_EN: 1
; COMPUTE_PGM_RSRC2:TGID_Z_EN: 1
; COMPUTE_PGM_RSRC2:TIDIG_COMP_CNT: 1
; COMPUTE_PGM_RSRC3_GFX90A:ACCUM_OFFSET: 12
; COMPUTE_PGM_RSRC3_GFX90A:TG_SPLIT: 0
	.section	.text._ZL17mul_mat_vec_q_moeIL9ggml_type7ELi2EEvPKvS2_PKiPfj15HIP_vector_typeIjLj3EEjjjjjjjjj,"axG",@progbits,_ZL17mul_mat_vec_q_moeIL9ggml_type7ELi2EEvPKvS2_PKiPfj15HIP_vector_typeIjLj3EEjjjjjjjjj,comdat
	.globl	_ZL17mul_mat_vec_q_moeIL9ggml_type7ELi2EEvPKvS2_PKiPfj15HIP_vector_typeIjLj3EEjjjjjjjjj ; -- Begin function _ZL17mul_mat_vec_q_moeIL9ggml_type7ELi2EEvPKvS2_PKiPfj15HIP_vector_typeIjLj3EEjjjjjjjjj
	.p2align	8
	.type	_ZL17mul_mat_vec_q_moeIL9ggml_type7ELi2EEvPKvS2_PKiPfj15HIP_vector_typeIjLj3EEjjjjjjjjj,@function
_ZL17mul_mat_vec_q_moeIL9ggml_type7ELi2EEvPKvS2_PKiPfj15HIP_vector_typeIjLj3EEjjjjjjjjj: ; @_ZL17mul_mat_vec_q_moeIL9ggml_type7ELi2EEvPKvS2_PKiPfj15HIP_vector_typeIjLj3EEjjjjjjjjj
; %bb.0:
	s_load_dwordx8 s[4:11], s[0:1], 0x30
	v_bfe_u32 v8, v0, 10, 10
	s_waitcnt lgkmcnt(0)
	v_cmp_gt_u32_e32 vcc, s11, v8
	s_and_saveexec_b64 s[12:13], vcc
	s_cbranch_execz .LBB48_7
; %bb.1:
	s_load_dword s11, s[0:1], 0x20
	s_load_dword s20, s[0:1], 0x50
	s_load_dwordx8 s[12:19], s[0:1], 0x0
	v_and_b32_e32 v9, 0x3ff, v0
	v_lshrrev_b32_e32 v10, 1, v9
	s_waitcnt lgkmcnt(0)
	s_lshr_b32 s11, s11, 5
	s_lshl_b32 s2, s2, 1
	v_cmp_gt_u32_e32 vcc, s11, v10
	v_mov_b32_e32 v1, 0
	v_mov_b32_e32 v0, 0
	s_and_saveexec_b64 s[24:25], vcc
	s_cbranch_execz .LBB48_5
; %bb.2:
	v_mul_lo_u32 v2, v8, s20
	v_mov_b32_e32 v0, s16
	v_mov_b32_e32 v1, s17
	v_add_u32_e32 v2, s3, v2
	v_mov_b32_e32 v3, 0
	v_lshl_add_u64 v[0:1], v[2:3], 2, v[0:1]
	global_load_dword v1, v[0:1], off
	s_load_dwordx4 s[20:23], s[0:1], 0x24
	v_mul_lo_u32 v0, v8, s6
	v_lshlrev_b32_e32 v2, 1, v9
	v_lshrrev_b32_e32 v13, 1, v9
	v_and_b32_e32 v4, 2, v2
	s_waitcnt lgkmcnt(0)
	s_mul_hi_u32 s20, s20, s3
	s_add_i32 s20, s3, s20
	s_lshr_b32 s20, s20, s21
	s_mul_i32 s20, s20, s22
	s_sub_i32 s20, s3, s20
	s_mul_i32 s9, s20, s9
	s_mul_hi_u32 s20, s9, 36
	s_mul_i32 s9, s9, 36
	s_add_u32 s14, s14, s9
	v_mad_u64_u32 v[6:7], s[26:27], v0, 36, 0
	s_addc_u32 s15, s15, s20
	s_add_i32 s9, s2, 1
	s_mul_i32 s23, s2, s5
	v_and_b32_e32 v12, 1, v9
	v_lshlrev_b32_e32 v11, 2, v4
	v_mad_u64_u32 v[6:7], s[26:27], v13, 36, v[6:7]
	s_mul_i32 s5, s5, s9
	s_mov_b64 s[0:1], 0
	s_mov_b32 s6, 0.5
	s_mov_b64 s[16:17], 0x480
	v_mov_b32_e32 v5, v3
	v_mov_b32_e32 v0, v3
	v_lshlrev_b32_e32 v2, 3, v12
	v_lshlrev_b32_e32 v4, 2, v4
	v_or_b32_e32 v12, 4, v11
	v_lshl_add_u64 v[6:7], s[14:15], 0, v[6:7]
	s_waitcnt vmcnt(0)
	v_mul_lo_u32 v1, v1, s8
	v_add_u32_e32 v13, s5, v1
	v_add_u32_e32 v14, s23, v1
	v_mov_b32_e32 v1, v3
.LBB48_3:                               ; =>This Inner Loop Header: Depth=1
	v_lshl_add_u64 v[16:17], v[6:7], 0, v[2:3]
	v_add_u32_e32 v22, v14, v10
	global_load_dword v15, v[6:7], off
	global_load_dwordx2 v[18:19], v[16:17], off offset:4
	global_load_dwordx2 v[20:21], v[16:17], off offset:20
	v_mad_i64_i32 v[16:17], s[8:9], v22, 24, s[12:13]
	v_add_u32_e32 v23, v13, v10
	v_lshl_add_u64 v[24:25], v[16:17], 0, v[4:5]
	global_load_dwordx2 v[16:17], v[16:17], off
	v_mad_i64_i32 v[22:23], s[8:9], v23, 24, s[12:13]
	v_lshl_add_u64 v[26:27], v[22:23], 0, v[4:5]
	global_load_dwordx2 v[28:29], v[24:25], off offset:8
	global_load_dwordx2 v[30:31], v[22:23], off
	global_load_dwordx2 v[32:33], v[26:27], off offset:8
	v_mov_b32_e32 v34, 0
	v_mov_b32_e32 v35, 0
	v_add_u32_e32 v10, 32, v10
	v_cmp_le_u32_e32 vcc, s11, v10
	v_lshl_add_u64 v[6:7], v[6:7], 0, s[16:17]
	s_or_b64 s[0:1], vcc, s[0:1]
	s_waitcnt vmcnt(3)
	v_ashrrev_i32_e32 v22, v11, v17
	v_ashrrev_i32_e32 v17, v12, v17
	v_lshlrev_b32_e32 v24, 4, v22
	v_lshlrev_b32_e32 v25, 11, v22
	v_lshrrev_b32_e32 v36, 12, v22
	v_lshrrev_b32_e32 v37, 5, v22
	v_lshlrev_b32_e32 v38, 2, v22
	v_lshlrev_b32_e32 v40, 4, v17
	;; [unrolled: 1-line block ×5, first 2 shown]
	v_lshrrev_b32_e32 v44, 12, v17
	v_lshrrev_b32_e32 v45, 5, v17
	v_lshlrev_b32_e32 v46, 2, v17
	s_waitcnt vmcnt(1)
	v_ashrrev_i32_e32 v48, v11, v31
	v_pk_mul_f16 v16, v16, v15
	v_and_b32_e32 v23, 0xf0f0f0f, v28
	v_lshlrev_b32_e32 v26, 18, v22
	v_lshlrev_b32_e32 v27, 25, v22
	v_pk_mul_f16 v15, v30, v15
	v_and_b32_e32 v24, 16, v24
	v_and_b32_e32 v25, 0x1000, v25
	;; [unrolled: 1-line block ×12, first 2 shown]
	v_lshlrev_b32_e32 v46, 4, v48
	v_lshlrev_b32_e32 v51, 11, v48
	v_lshrrev_b32_e32 v28, 4, v28
	v_lshlrev_b32_e32 v22, 9, v22
	v_ashrrev_i32_e32 v31, v12, v31
	s_waitcnt vmcnt(0)
	v_and_b32_e32 v49, 0xf0f0f0f, v32
	v_and_b32_e32 v26, 0x100000, v26
	;; [unrolled: 1-line block ×3, first 2 shown]
	v_lshlrev_b32_e32 v52, 18, v48
	v_lshlrev_b32_e32 v53, 25, v48
	v_lshrrev_b32_e32 v54, 12, v48
	v_lshrrev_b32_e32 v55, 5, v48
	v_lshlrev_b32_e32 v56, 2, v48
	v_or3_b32 v23, v24, v23, v25
	v_or3_b32 v30, v36, v30, v37
	;; [unrolled: 1-line block ×3, first 2 shown]
	v_and_b32_e32 v40, 16, v46
	v_and_b32_e32 v41, 0x1000, v51
	v_and_b32_e32 v39, 0xf0f0f0f, v29
	v_lshrrev_b32_e32 v29, 4, v29
	v_lshlrev_b32_e32 v17, 9, v17
	v_lshrrev_b32_e32 v32, 4, v32
	v_and_b32_e32 v28, 0xf0f0f0f, v28
	v_and_b32_e32 v22, 0x10000000, v22
	v_lshlrev_b32_e32 v48, 9, v48
	v_lshlrev_b32_e32 v57, 4, v31
	;; [unrolled: 1-line block ×4, first 2 shown]
	v_lshrrev_b32_e32 v61, 12, v31
	v_lshrrev_b32_e32 v24, 5, v31
	v_lshlrev_b32_e32 v25, 2, v31
	v_or3_b32 v38, v44, v43, v45
	v_and_b32_e32 v43, 0x100000, v52
	v_and_b32_e32 v44, 0x10000000, v53
	;; [unrolled: 1-line block ×5, first 2 shown]
	v_or3_b32 v23, v23, v26, v27
	v_or3_b32 v27, v40, v49, v41
	v_and_b32_e32 v29, 0xf0f0f0f, v29
	v_and_b32_e32 v17, 0x10000000, v17
	;; [unrolled: 1-line block ×3, first 2 shown]
	v_lshlrev_b32_e32 v60, 25, v31
	v_and_b32_e32 v48, 0x10000000, v48
	v_and_b32_e32 v52, 16, v57
	;; [unrolled: 1-line block ×7, first 2 shown]
	v_or3_b32 v22, v30, v22, v28
	v_or3_b32 v28, v46, v45, v51
	v_dot4c_i32_i8_e32 v34, v23, v18
	v_or3_b32 v23, v27, v43, v44
	v_and_b32_e32 v50, 0xf0f0f0f, v33
	v_lshrrev_b32_e32 v33, 4, v33
	v_lshlrev_b32_e32 v31, 9, v31
	v_and_b32_e32 v55, 0x10000000, v60
	v_or3_b32 v26, v37, v42, v39
	v_or3_b32 v17, v38, v17, v29
	v_or3_b32 v29, v53, v52, v54
	v_or3_b32 v24, v24, v56, v25
	v_or3_b32 v25, v28, v48, v32
	v_dot4c_i32_i8_e32 v34, v22, v20
	v_dot4c_i32_i8_e32 v35, v23, v18
	v_and_b32_e32 v33, 0xf0f0f0f, v33
	v_and_b32_e32 v31, 0x10000000, v31
	v_or3_b32 v27, v29, v55, v50
	v_dot4c_i32_i8_e32 v34, v26, v19
	v_dot4c_i32_i8_e32 v35, v25, v20
	v_or3_b32 v24, v24, v31, v33
	v_dot4c_i32_i8_e32 v34, v17, v21
	v_dot4c_i32_i8_e32 v35, v27, v19
	v_cvt_f32_f16_e32 v47, v16
	v_dot4c_i32_i8_e32 v35, v24, v21
	v_cvt_f32_i32_e32 v17, v34
	v_cvt_f32_f16_e32 v36, v15
	v_mul_f32_e32 v17, v47, v17
	v_cvt_f32_i32_e32 v18, v35
	v_fma_mix_f32 v16, v16, s6, v17 op_sel:[1,0,0] op_sel_hi:[1,0,0]
	v_mul_f32_e32 v17, v36, v18
	v_fma_mix_f32 v15, v15, s6, v17 op_sel:[1,0,0] op_sel_hi:[1,0,0]
	v_add_f32_e32 v0, v0, v16
	v_add_f32_e32 v1, v1, v15
	s_andn2_b64 exec, exec, s[0:1]
	s_cbranch_execnz .LBB48_3
; %bb.4:
	s_or_b64 exec, exec, s[0:1]
.LBB48_5:
	s_or_b64 exec, exec, s[24:25]
	v_mbcnt_lo_u32_b32 v2, -1, 0
	v_mbcnt_hi_u32_b32 v4, -1, v2
	v_and_b32_e32 v2, 64, v4
	v_add_u32_e32 v5, 64, v2
	v_xor_b32_e32 v2, 32, v4
	v_cmp_lt_i32_e32 vcc, v2, v5
	v_xor_b32_e32 v6, 16, v4
	s_nop 0
	v_cndmask_b32_e32 v2, v4, v2, vcc
	v_lshlrev_b32_e32 v3, 2, v2
	ds_bpermute_b32 v2, v3, v0
	ds_bpermute_b32 v3, v3, v1
	v_cmp_lt_i32_e32 vcc, v6, v5
	s_waitcnt lgkmcnt(0)
	v_pk_add_f32 v[0:1], v[0:1], v[2:3]
	v_cndmask_b32_e32 v6, v4, v6, vcc
	v_lshlrev_b32_e32 v6, 2, v6
	ds_bpermute_b32 v2, v6, v0
	ds_bpermute_b32 v3, v6, v1
	v_xor_b32_e32 v6, 8, v4
	v_cmp_lt_i32_e32 vcc, v6, v5
	s_waitcnt lgkmcnt(0)
	v_pk_add_f32 v[0:1], v[0:1], v[2:3]
	v_cndmask_b32_e32 v6, v4, v6, vcc
	v_lshlrev_b32_e32 v6, 2, v6
	ds_bpermute_b32 v2, v6, v0
	ds_bpermute_b32 v3, v6, v1
	v_xor_b32_e32 v6, 4, v4
	;; [unrolled: 8-line block ×4, first 2 shown]
	v_cmp_lt_i32_e32 vcc, v6, v5
	s_waitcnt lgkmcnt(0)
	v_pk_add_f32 v[0:1], v[0:1], v[2:3]
	v_cndmask_b32_e32 v4, v4, v6, vcc
	v_lshlrev_b32_e32 v4, 2, v4
	ds_bpermute_b32 v2, v4, v0
	ds_bpermute_b32 v3, v4, v1
	v_add_u32_e32 v4, s2, v9
	v_cmp_gt_u32_e32 vcc, 2, v9
	v_cmp_gt_u32_e64 s[0:1], s4, v4
	s_and_b64 s[0:1], vcc, s[0:1]
	s_and_b64 exec, exec, s[0:1]
	s_cbranch_execz .LBB48_7
; %bb.6:
	v_cmp_eq_u32_e32 vcc, 1, v9
	s_mul_i32 s3, s3, s10
	v_mov_b32_e32 v4, s18
	s_waitcnt lgkmcnt(0)
	v_cndmask_b32_e32 v2, v2, v3, vcc
	v_cndmask_b32_e32 v0, v0, v1, vcc
	v_add_f32_e32 v2, v0, v2
	v_mul_lo_u32 v0, v8, s7
	v_or_b32_e32 v1, s2, v9
	v_mov_b32_e32 v5, s19
	v_add3_u32 v0, v1, v0, s3
	v_mov_b32_e32 v1, 0
	v_lshl_add_u64 v[0:1], v[0:1], 2, v[4:5]
	global_store_dword v[0:1], v2, off
.LBB48_7:
	s_endpgm
	.section	.rodata,"a",@progbits
	.p2align	6, 0x0
	.amdhsa_kernel _ZL17mul_mat_vec_q_moeIL9ggml_type7ELi2EEvPKvS2_PKiPfj15HIP_vector_typeIjLj3EEjjjjjjjjj
		.amdhsa_group_segment_fixed_size 0
		.amdhsa_private_segment_fixed_size 0
		.amdhsa_kernarg_size 84
		.amdhsa_user_sgpr_count 2
		.amdhsa_user_sgpr_dispatch_ptr 0
		.amdhsa_user_sgpr_queue_ptr 0
		.amdhsa_user_sgpr_kernarg_segment_ptr 1
		.amdhsa_user_sgpr_dispatch_id 0
		.amdhsa_user_sgpr_kernarg_preload_length 0
		.amdhsa_user_sgpr_kernarg_preload_offset 0
		.amdhsa_user_sgpr_private_segment_size 0
		.amdhsa_uses_dynamic_stack 0
		.amdhsa_enable_private_segment 0
		.amdhsa_system_sgpr_workgroup_id_x 1
		.amdhsa_system_sgpr_workgroup_id_y 1
		.amdhsa_system_sgpr_workgroup_id_z 0
		.amdhsa_system_sgpr_workgroup_info 0
		.amdhsa_system_vgpr_workitem_id 1
		.amdhsa_next_free_vgpr 62
		.amdhsa_next_free_sgpr 28
		.amdhsa_accum_offset 64
		.amdhsa_reserve_vcc 1
		.amdhsa_float_round_mode_32 0
		.amdhsa_float_round_mode_16_64 0
		.amdhsa_float_denorm_mode_32 3
		.amdhsa_float_denorm_mode_16_64 3
		.amdhsa_dx10_clamp 1
		.amdhsa_ieee_mode 1
		.amdhsa_fp16_overflow 0
		.amdhsa_tg_split 0
		.amdhsa_exception_fp_ieee_invalid_op 0
		.amdhsa_exception_fp_denorm_src 0
		.amdhsa_exception_fp_ieee_div_zero 0
		.amdhsa_exception_fp_ieee_overflow 0
		.amdhsa_exception_fp_ieee_underflow 0
		.amdhsa_exception_fp_ieee_inexact 0
		.amdhsa_exception_int_div_zero 0
	.end_amdhsa_kernel
	.section	.text._ZL17mul_mat_vec_q_moeIL9ggml_type7ELi2EEvPKvS2_PKiPfj15HIP_vector_typeIjLj3EEjjjjjjjjj,"axG",@progbits,_ZL17mul_mat_vec_q_moeIL9ggml_type7ELi2EEvPKvS2_PKiPfj15HIP_vector_typeIjLj3EEjjjjjjjjj,comdat
.Lfunc_end48:
	.size	_ZL17mul_mat_vec_q_moeIL9ggml_type7ELi2EEvPKvS2_PKiPfj15HIP_vector_typeIjLj3EEjjjjjjjjj, .Lfunc_end48-_ZL17mul_mat_vec_q_moeIL9ggml_type7ELi2EEvPKvS2_PKiPfj15HIP_vector_typeIjLj3EEjjjjjjjjj
                                        ; -- End function
	.section	.AMDGPU.csdata,"",@progbits
; Kernel info:
; codeLenInByte = 1532
; NumSgprs: 34
; NumVgprs: 62
; NumAgprs: 0
; TotalNumVgprs: 62
; ScratchSize: 0
; MemoryBound: 0
; FloatMode: 240
; IeeeMode: 1
; LDSByteSize: 0 bytes/workgroup (compile time only)
; SGPRBlocks: 4
; VGPRBlocks: 7
; NumSGPRsForWavesPerEU: 34
; NumVGPRsForWavesPerEU: 62
; AccumOffset: 64
; Occupancy: 8
; WaveLimiterHint : 1
; COMPUTE_PGM_RSRC2:SCRATCH_EN: 0
; COMPUTE_PGM_RSRC2:USER_SGPR: 2
; COMPUTE_PGM_RSRC2:TRAP_HANDLER: 0
; COMPUTE_PGM_RSRC2:TGID_X_EN: 1
; COMPUTE_PGM_RSRC2:TGID_Y_EN: 1
; COMPUTE_PGM_RSRC2:TGID_Z_EN: 0
; COMPUTE_PGM_RSRC2:TIDIG_COMP_CNT: 1
; COMPUTE_PGM_RSRC3_GFX90A:ACCUM_OFFSET: 15
; COMPUTE_PGM_RSRC3_GFX90A:TG_SPLIT: 0
	.section	.text._ZL13mul_mat_vec_qIL9ggml_type7ELi1ELb1ELb1EEvPKvS2_PKi31ggml_cuda_mm_fusion_args_devicePfj15HIP_vector_typeIjLj3EEjjjS8_jjjS8_jjjj,"axG",@progbits,_ZL13mul_mat_vec_qIL9ggml_type7ELi1ELb1ELb1EEvPKvS2_PKi31ggml_cuda_mm_fusion_args_devicePfj15HIP_vector_typeIjLj3EEjjjS8_jjjS8_jjjj,comdat
	.globl	_ZL13mul_mat_vec_qIL9ggml_type7ELi1ELb1ELb1EEvPKvS2_PKi31ggml_cuda_mm_fusion_args_devicePfj15HIP_vector_typeIjLj3EEjjjS8_jjjS8_jjjj ; -- Begin function _ZL13mul_mat_vec_qIL9ggml_type7ELi1ELb1ELb1EEvPKvS2_PKi31ggml_cuda_mm_fusion_args_devicePfj15HIP_vector_typeIjLj3EEjjjS8_jjjS8_jjjj
	.p2align	8
	.type	_ZL13mul_mat_vec_qIL9ggml_type7ELi1ELb1ELb1EEvPKvS2_PKi31ggml_cuda_mm_fusion_args_devicePfj15HIP_vector_typeIjLj3EEjjjS8_jjjS8_jjjj,@function
_ZL13mul_mat_vec_qIL9ggml_type7ELi1ELb1ELb1EEvPKvS2_PKi31ggml_cuda_mm_fusion_args_devicePfj15HIP_vector_typeIjLj3EEjjjS8_jjjS8_jjjj: ; @_ZL13mul_mat_vec_qIL9ggml_type7ELi1ELb1ELb1EEvPKvS2_PKi31ggml_cuda_mm_fusion_args_devicePfj15HIP_vector_typeIjLj3EEjjjS8_jjjS8_jjjj
; %bb.0:
	s_load_dwordx8 s[16:23], s[2:3], 0x0
	s_load_dwordx4 s[36:39], s[2:3], 0x20
	s_load_dwordx4 s[40:43], s[2:3], 0x40
	;; [unrolled: 1-line block ×3, first 2 shown]
	s_mov_b32 s14, s5
	s_waitcnt lgkmcnt(0)
	s_cmp_lg_u64 s[20:21], 0
	s_cselect_b64 s[8:9], -1, 0
	s_cmp_eq_u64 s[20:21], 0
	s_mov_b64 s[10:11], 0
	s_cbranch_scc1 .LBB49_5
; %bb.1:
	s_mov_b32 s15, 0
	s_lshl_b64 s[12:13], s[14:15], 2
	s_add_u32 s12, s20, s12
	s_addc_u32 s13, s21, s13
	s_load_dword s44, s[12:13], 0x0
	s_load_dword s33, s[2:3], 0x50
	;; [unrolled: 1-line block ×3, first 2 shown]
	s_andn2_b64 vcc, exec, s[10:11]
	s_cbranch_vccnz .LBB49_3
.LBB49_2:
	s_load_dwordx2 s[10:11], s[2:3], 0x5c
	s_waitcnt lgkmcnt(0)
	s_mul_hi_u32 s5, s10, s14
	s_add_i32 s5, s14, s5
	s_lshr_b32 s44, s5, s11
.LBB49_3:
	s_andn2_b64 vcc, exec, s[8:9]
	s_cbranch_vccnz .LBB49_6
; %bb.4:
	s_mul_hi_u32 s5, s41, s14
	s_add_i32 s5, s14, s5
	s_lshr_b32 s5, s5, s42
	s_mul_i32 s5, s5, s43
	s_sub_i32 s41, s14, s5
	s_waitcnt lgkmcnt(0)
	s_mov_b32 s15, s44
	s_branch .LBB49_7
.LBB49_5:
                                        ; implicit-def: $sgpr44
	s_load_dword s33, s[2:3], 0x50
	s_load_dword s45, s[2:3], 0x78
	s_branch .LBB49_2
.LBB49_6:
	s_mov_b32 s15, s14
	s_mov_b32 s41, s14
.LBB49_7:
	s_load_dword s7, s[2:3], 0x58
	s_load_dwordx4 s[28:31], s[2:3], 0x80
	s_lshl_b32 s20, s4, 1
	s_cmp_eq_u64 s[22:23], 0
	v_and_b32_e32 v18, 0x3ff, v0
	v_bfe_u32 v23, v0, 10, 10
	s_cselect_b64 s[8:9], -1, 0
	s_and_b64 vcc, exec, s[8:9]
	v_mov_b32_e32 v19, 0
	v_cmp_gt_u32_e64 s[4:5], 2, v18
	v_cmp_eq_u32_e64 s[10:11], 0, v23
	v_or_b32_e32 v1, s20, v18
	v_mov_b32_e32 v20, 0
	s_cbranch_vccnz .LBB49_11
; %bb.8:
	s_waitcnt lgkmcnt(0)
	v_cmp_gt_u32_e32 vcc, s7, v1
	s_and_b64 s[4:5], s[4:5], vcc
	s_mov_b32 s13, 0
	s_and_b64 s[10:11], s[4:5], s[10:11]
	v_mov_b32_e32 v20, 0
	s_and_saveexec_b64 s[4:5], s[10:11]
	s_cbranch_execz .LBB49_10
; %bb.9:
	s_mul_i32 s12, s6, s30
	s_lshl_b64 s[10:11], s[12:13], 2
	s_add_u32 s21, s22, s10
	s_mul_i32 s12, s15, s26
	s_addc_u32 s22, s23, s11
	s_lshl_b64 s[10:11], s[12:13], 2
	s_add_u32 s12, s21, s10
	s_addc_u32 s13, s22, s11
	s_ashr_i32 s21, s20, 31
	s_lshl_b64 s[10:11], s[20:21], 2
	s_add_u32 s10, s12, s10
	s_addc_u32 s11, s13, s11
	v_lshlrev_b32_e32 v2, 2, v18
	global_load_dword v20, v2, s[10:11]
.LBB49_10:
	s_or_b64 exec, exec, s[4:5]
.LBB49_11:
	s_cmp_lg_u64 s[36:37], 0
	s_cselect_b64 s[34:35], -1, 0
	s_cmp_eq_u64 s[36:37], 0
	s_cselect_b64 s[22:23], -1, 0
	s_cmp_lg_u64 s[38:39], 0
	s_cselect_b64 s[4:5], -1, 0
	s_and_b64 s[10:11], s[4:5], s[34:35]
	s_andn2_b64 vcc, exec, s[10:11]
	s_cbranch_vccnz .LBB49_15
; %bb.12:
	v_cmp_gt_u32_e32 vcc, 2, v18
	s_waitcnt lgkmcnt(0)
	v_cmp_gt_u32_e64 s[12:13], s7, v1
	v_cmp_eq_u32_e64 s[10:11], 0, v23
	s_and_b64 s[12:13], vcc, s[12:13]
	s_mov_b32 s43, 0
	s_and_b64 s[12:13], s[12:13], s[10:11]
	v_mov_b32_e32 v19, 0
	s_and_saveexec_b64 s[10:11], s[12:13]
	s_cbranch_execz .LBB49_14
; %bb.13:
	s_mul_i32 s42, s6, s30
	s_lshl_b64 s[12:13], s[42:43], 2
	s_add_u32 s21, s38, s12
	s_mul_i32 s42, s15, s26
	s_addc_u32 s31, s39, s13
	s_lshl_b64 s[12:13], s[42:43], 2
	s_add_u32 s15, s21, s12
	s_addc_u32 s31, s31, s13
	s_ashr_i32 s21, s20, 31
	s_lshl_b64 s[12:13], s[20:21], 2
	s_add_u32 s12, s15, s12
	s_addc_u32 s13, s31, s13
	v_lshlrev_b32_e32 v1, 2, v18
	global_load_dword v19, v1, s[12:13]
.LBB49_14:
	s_or_b64 exec, exec, s[10:11]
.LBB49_15:
	s_load_dwordx2 s[0:1], s[0:1], 0x4
	v_bfe_u32 v1, v0, 20, 10
	v_lshlrev_b32_e32 v0, 6, v23
	s_lshr_b32 s15, s40, 5
	v_mov_b32_e32 v28, 0
	s_waitcnt lgkmcnt(0)
	s_lshr_b32 s0, s0, 16
	v_mul_u32_u24_e32 v2, s1, v23
	s_mul_i32 s0, s0, s1
	v_mad_u32_u24 v2, s0, v18, v2
	v_add_lshl_u32 v1, v2, v1, 3
	v_add_u32_e32 v22, 0x800, v1
	v_add_u32_e32 v21, 0x400, v1
	v_add_u16_e32 v1, v0, v18
	v_lshrrev_b16_e32 v24, 1, v1
	v_cndmask_b32_e64 v1, 0, 1, s[34:35]
	v_cmp_gt_u32_e32 vcc, s15, v24
	v_cmp_ne_u32_e64 s[10:11], 1, v1
	v_mov_b32_e32 v25, 0
	v_mov_b32_e32 v27, 0
	;; [unrolled: 1-line block ×3, first 2 shown]
	ds_write2_b32 v22, v28, v28 offset1:1
	ds_write2_b32 v21, v28, v28 offset1:1
	s_and_saveexec_b64 s[0:1], vcc
	s_cbranch_execz .LBB49_23
; %bb.16:
	s_mul_hi_u32 s21, s27, s6
	s_add_i32 s21, s6, s21
	s_mul_i32 s12, s6, s29
	s_lshr_b32 s21, s21, s45
	s_mul_i32 s21, s21, s28
	s_mul_hi_u32 s28, s12, 36
	s_mul_i32 s12, s12, 36
	s_mul_i32 s13, s41, s25
	s_add_u32 s12, s18, s12
	s_mul_hi_u32 s27, s13, 36
	s_mul_i32 s13, s13, 36
	s_addc_u32 s18, s19, s28
	v_add_u32_e32 v4, v0, v18
	s_add_u32 s12, s12, s13
	v_lshrrev_b32_e32 v4, 1, v4
	s_addc_u32 s13, s18, s27
	v_lshlrev_b32_e32 v0, 1, v18
	v_mad_u64_u32 v[4:5], s[12:13], v4, 36, s[12:13]
	s_mul_i32 s24, s44, s24
	v_and_b32_e32 v0, 2, v0
	s_add_i32 s12, s20, 1
	v_mov_b32_e32 v1, 0
	v_lshlrev_b32_e32 v29, 2, v0
	s_mul_i32 s25, s20, s33
	v_and_b32_e32 v2, 1, v18
	s_add_i32 s24, s21, s24
	s_mul_i32 s33, s33, s12
	v_or_b32_e32 v30, 4, v29
	v_lshlrev_b32_e32 v2, 3, v2
	v_mov_b32_e32 v3, v1
	s_add_i32 s21, s24, s33
	s_add_i32 s24, s24, s25
	s_mov_b64 s[12:13], 0
	v_lshlrev_b32_e32 v0, 2, v0
	s_mov_b32 s25, 0.5
	s_mov_b64 s[18:19], 0x900
	v_mov_b32_e32 v26, v1
	v_mov_b32_e32 v25, v1
	;; [unrolled: 1-line block ×4, first 2 shown]
	s_branch .LBB49_18
.LBB49_17:                              ;   in Loop: Header=BB49_18 Depth=1
	s_waitcnt vmcnt(1)
	v_ashrrev_i32_e32 v32, v29, v15
	v_lshlrev_b32_e32 v34, 4, v32
	v_lshlrev_b32_e32 v35, 11, v32
	s_waitcnt vmcnt(0)
	v_and_b32_e32 v33, 0xf0f0f0f, v16
	v_and_b32_e32 v34, 16, v34
	;; [unrolled: 1-line block ×3, first 2 shown]
	v_or3_b32 v33, v34, v33, v35
	v_lshlrev_b32_e32 v34, 18, v32
	v_lshlrev_b32_e32 v35, 25, v32
	v_and_b32_e32 v34, 0x100000, v34
	v_and_b32_e32 v35, 0x10000000, v35
	v_or3_b32 v33, v33, v34, v35
	v_mov_b32_e32 v34, 0
	v_dot4c_i32_i8_e32 v34, v33, v10
	v_lshrrev_b32_e32 v33, 12, v32
	v_lshrrev_b32_e32 v35, 5, v32
	v_lshlrev_b32_e32 v36, 2, v32
	v_lshrrev_b32_e32 v16, 4, v16
	v_and_b32_e32 v33, 16, v33
	v_and_b32_e32 v35, 0x1000, v35
	;; [unrolled: 1-line block ×3, first 2 shown]
	v_lshlrev_b32_e32 v32, 9, v32
	v_ashrrev_i32_e32 v15, v30, v15
	v_and_b32_e32 v16, 0xf0f0f0f, v16
	v_and_b32_e32 v32, 0x10000000, v32
	v_or3_b32 v33, v35, v33, v36
	v_or3_b32 v16, v33, v32, v16
	v_lshlrev_b32_e32 v32, 4, v15
	v_lshlrev_b32_e32 v33, 11, v15
	;; [unrolled: 1-line block ×3, first 2 shown]
	v_and_b32_e32 v32, 16, v32
	v_and_b32_e32 v33, 0x1000, v33
	;; [unrolled: 1-line block ×3, first 2 shown]
	v_lshlrev_b32_e32 v36, 25, v15
	v_dot4c_i32_i8_e32 v34, v16, v6
	v_and_b32_e32 v16, 0xf0f0f0f, v17
	v_and_b32_e32 v36, 0x10000000, v36
	v_or3_b32 v32, v33, v32, v35
	v_or3_b32 v16, v32, v36, v16
	v_dot4c_i32_i8_e32 v34, v16, v11
	v_lshrrev_b32_e32 v16, 4, v17
	v_lshrrev_b32_e32 v17, 12, v15
	;; [unrolled: 1-line block ×3, first 2 shown]
	v_lshlrev_b32_e32 v33, 2, v15
	v_and_b32_e32 v17, 16, v17
	v_and_b32_e32 v32, 0x1000, v32
	;; [unrolled: 1-line block ×3, first 2 shown]
	v_lshlrev_b32_e32 v15, 9, v15
	v_and_b32_e32 v16, 0xf0f0f0f, v16
	v_and_b32_e32 v15, 0x10000000, v15
	v_or3_b32 v17, v32, v17, v33
	v_or3_b32 v15, v17, v15, v16
	v_dot4c_i32_i8_e32 v34, v15, v7
	v_ashrrev_i32_e32 v17, v29, v9
	v_lshlrev_b32_e32 v33, 4, v17
	v_and_b32_e32 v32, 0xf0f0f0f, v12
	v_cvt_f32_i32_e32 v16, v34
	v_lshlrev_b32_e32 v34, 11, v17
	v_and_b32_e32 v33, 16, v33
	v_and_b32_e32 v34, 0x1000, v34
	v_or3_b32 v32, v33, v32, v34
	v_lshlrev_b32_e32 v33, 18, v17
	v_lshlrev_b32_e32 v34, 25, v17
	v_and_b32_e32 v33, 0x100000, v33
	v_and_b32_e32 v34, 0x10000000, v34
	v_or3_b32 v32, v32, v33, v34
	v_mov_b32_e32 v33, 0
	v_dot4c_i32_i8_e32 v33, v32, v10
	v_lshrrev_b32_e32 v10, 4, v12
	v_lshrrev_b32_e32 v12, 12, v17
	;; [unrolled: 1-line block ×3, first 2 shown]
	v_lshlrev_b32_e32 v34, 2, v17
	v_and_b32_e32 v12, 16, v12
	v_and_b32_e32 v32, 0x1000, v32
	;; [unrolled: 1-line block ×3, first 2 shown]
	v_lshlrev_b32_e32 v17, 9, v17
	v_and_b32_e32 v10, 0xf0f0f0f, v10
	v_and_b32_e32 v17, 0x10000000, v17
	v_or3_b32 v12, v32, v12, v34
	v_ashrrev_i32_e32 v9, v30, v9
	v_or3_b32 v10, v12, v17, v10
	v_dot4c_i32_i8_e32 v33, v10, v6
	v_lshlrev_b32_e32 v10, 4, v9
	v_lshlrev_b32_e32 v12, 11, v9
	v_lshlrev_b32_e32 v17, 18, v9
	v_and_b32_e32 v10, 16, v10
	v_and_b32_e32 v12, 0x1000, v12
	v_and_b32_e32 v17, 0x100000, v17
	v_lshlrev_b32_e32 v32, 25, v9
	v_and_b32_e32 v6, 0xf0f0f0f, v13
	v_and_b32_e32 v32, 0x10000000, v32
	v_or3_b32 v10, v12, v10, v17
	v_or3_b32 v6, v10, v32, v6
	v_dot4c_i32_i8_e32 v33, v6, v11
	v_lshrrev_b32_e32 v10, 12, v9
	v_lshrrev_b32_e32 v11, 5, v9
	v_lshlrev_b32_e32 v12, 2, v9
	v_lshrrev_b32_e32 v6, 4, v13
	v_and_b32_e32 v10, 16, v10
	v_and_b32_e32 v11, 0x1000, v11
	;; [unrolled: 1-line block ×3, first 2 shown]
	v_lshlrev_b32_e32 v9, 9, v9
	v_and_b32_e32 v6, 0xf0f0f0f, v6
	v_and_b32_e32 v9, 0x10000000, v9
	v_or3_b32 v10, v11, v10, v12
	v_or3_b32 v6, v10, v9, v6
	v_pk_mul_f16 v14, v14, v31
	v_dot4c_i32_i8_e32 v33, v6, v7
	v_pk_mul_f16 v6, v8, v31
	v_cvt_f32_f16_e32 v15, v14
	v_cvt_f32_f16_e32 v7, v6
	v_cvt_f32_i32_e32 v8, v33
	v_add_u32_e32 v24, 64, v24
	v_mul_f32_e32 v9, v15, v16
	v_fma_mix_f32 v9, v14, s25, v9 op_sel:[1,0,0] op_sel_hi:[1,0,0]
	v_mul_f32_e32 v7, v7, v8
	v_fma_mix_f32 v6, v6, s25, v7 op_sel:[1,0,0] op_sel_hi:[1,0,0]
	v_cmp_le_u32_e32 vcc, s15, v24
	v_add_f32_e32 v25, v25, v9
	v_add_f32_e32 v28, v28, v6
	s_or_b64 s[12:13], vcc, s[12:13]
	v_lshl_add_u64 v[4:5], v[4:5], 0, s[18:19]
	s_andn2_b64 exec, exec, s[12:13]
	s_cbranch_execz .LBB49_22
.LBB49_18:                              ; =>This Inner Loop Header: Depth=1
	v_lshl_add_u64 v[8:9], v[4:5], 0, v[2:3]
	v_add_u32_e32 v14, s24, v24
	global_load_dwordx2 v[10:11], v[8:9], off offset:4
	global_load_dwordx2 v[6:7], v[8:9], off offset:20
	global_load_dword v31, v[4:5], off
	v_mad_i64_i32 v[16:17], s[28:29], v14, 24, s[16:17]
	v_lshl_add_u64 v[32:33], v[16:17], 0, v[0:1]
	global_load_dwordx2 v[8:9], v[16:17], off
	global_load_dwordx2 v[12:13], v[32:33], off offset:8
	s_and_b64 vcc, exec, s[10:11]
	s_cbranch_vccnz .LBB49_20
; %bb.19:                               ;   in Loop: Header=BB49_18 Depth=1
	v_mad_i64_i32 v[14:15], s[28:29], v14, 24, s[36:37]
	global_load_dwordx2 v[16:17], v[14:15], off
	v_lshl_add_u64 v[14:15], v[14:15], 0, v[0:1]
	global_load_dwordx2 v[14:15], v[14:15], off offset:8
	v_mov_b32_e32 v32, 0
	s_waitcnt vmcnt(1)
	v_ashrrev_i32_e32 v33, v29, v17
	v_lshlrev_b32_e32 v35, 4, v33
	v_lshlrev_b32_e32 v36, 11, v33
	v_ashrrev_i32_e32 v17, v30, v17
	s_waitcnt vmcnt(0)
	v_and_b32_e32 v34, 0xf0f0f0f, v14
	v_lshlrev_b32_e32 v37, 18, v33
	v_lshlrev_b32_e32 v38, 25, v33
	v_lshrrev_b32_e32 v39, 12, v33
	v_lshrrev_b32_e32 v40, 5, v33
	v_lshlrev_b32_e32 v41, 2, v33
	v_and_b32_e32 v35, 16, v35
	v_and_b32_e32 v36, 0x1000, v36
	v_lshrrev_b32_e32 v14, 4, v14
	v_lshlrev_b32_e32 v33, 9, v33
	v_lshlrev_b32_e32 v43, 4, v17
	;; [unrolled: 1-line block ×3, first 2 shown]
	v_and_b32_e32 v37, 0x100000, v37
	v_and_b32_e32 v38, 0x10000000, v38
	;; [unrolled: 1-line block ×5, first 2 shown]
	v_or3_b32 v34, v35, v34, v36
	v_and_b32_e32 v42, 0xf0f0f0f, v15
	v_lshlrev_b32_e32 v45, 18, v17
	v_lshlrev_b32_e32 v46, 25, v17
	v_lshrrev_b32_e32 v47, 12, v17
	v_lshrrev_b32_e32 v48, 5, v17
	v_lshlrev_b32_e32 v49, 2, v17
	v_and_b32_e32 v14, 0xf0f0f0f, v14
	v_and_b32_e32 v33, 0x10000000, v33
	;; [unrolled: 1-line block ×4, first 2 shown]
	v_or3_b32 v35, v40, v39, v41
	v_or3_b32 v34, v34, v37, v38
	v_lshrrev_b32_e32 v15, 4, v15
	v_lshlrev_b32_e32 v17, 9, v17
	v_and_b32_e32 v45, 0x100000, v45
	v_and_b32_e32 v46, 0x10000000, v46
	;; [unrolled: 1-line block ×5, first 2 shown]
	v_or3_b32 v36, v43, v42, v44
	v_or3_b32 v14, v35, v33, v14
	v_dot4c_i32_i8_e32 v32, v34, v10
	v_and_b32_e32 v15, 0xf0f0f0f, v15
	v_and_b32_e32 v17, 0x10000000, v17
	v_or3_b32 v39, v48, v47, v49
	v_or3_b32 v33, v36, v45, v46
	v_dot4c_i32_i8_e32 v32, v14, v6
	v_or3_b32 v15, v39, v17, v15
	v_dot4c_i32_i8_e32 v32, v33, v11
	v_pk_mul_f16 v16, v31, v16
	v_dot4c_i32_i8_e32 v32, v15, v7
	v_cvt_f32_f16_e32 v14, v16
	s_nop 1
	v_cvt_f32_i32_e32 v15, v32
	v_mul_f32_e32 v14, v14, v15
	v_fma_mix_f32 v14, v16, s25, v14 op_sel:[1,0,0] op_sel_hi:[1,0,0]
	s_nop 0
	v_add_f32_e32 v27, v27, v14
.LBB49_20:                              ;   in Loop: Header=BB49_18 Depth=1
	v_add_u32_e32 v32, s21, v24
	v_mad_i64_i32 v[34:35], s[28:29], v32, 24, s[16:17]
	v_lshl_add_u64 v[36:37], v[34:35], 0, v[0:1]
	global_load_dwordx2 v[14:15], v[34:35], off
	global_load_dwordx2 v[16:17], v[36:37], off offset:8
	s_and_b64 vcc, exec, s[10:11]
	s_cbranch_vccnz .LBB49_17
; %bb.21:                               ;   in Loop: Header=BB49_18 Depth=1
	v_mad_i64_i32 v[32:33], s[28:29], v32, 24, s[36:37]
	global_load_dwordx2 v[34:35], v[32:33], off
	v_lshl_add_u64 v[32:33], v[32:33], 0, v[0:1]
	global_load_dwordx2 v[32:33], v[32:33], off offset:8
	v_mov_b32_e32 v36, v1
	s_waitcnt vmcnt(1)
	v_ashrrev_i32_e32 v37, v29, v35
	v_lshlrev_b32_e32 v39, 4, v37
	v_lshlrev_b32_e32 v40, 11, v37
	v_ashrrev_i32_e32 v35, v30, v35
	s_waitcnt vmcnt(0)
	v_and_b32_e32 v38, 0xf0f0f0f, v32
	v_lshlrev_b32_e32 v41, 18, v37
	v_lshlrev_b32_e32 v42, 25, v37
	v_lshrrev_b32_e32 v43, 12, v37
	v_lshrrev_b32_e32 v44, 5, v37
	v_lshlrev_b32_e32 v45, 2, v37
	v_and_b32_e32 v39, 16, v39
	v_and_b32_e32 v40, 0x1000, v40
	v_lshrrev_b32_e32 v32, 4, v32
	v_lshlrev_b32_e32 v37, 9, v37
	v_lshlrev_b32_e32 v47, 4, v35
	;; [unrolled: 1-line block ×3, first 2 shown]
	v_and_b32_e32 v41, 0x100000, v41
	v_and_b32_e32 v42, 0x10000000, v42
	;; [unrolled: 1-line block ×5, first 2 shown]
	v_or3_b32 v38, v39, v38, v40
	v_and_b32_e32 v46, 0xf0f0f0f, v33
	v_lshlrev_b32_e32 v49, 18, v35
	v_lshlrev_b32_e32 v50, 25, v35
	v_lshrrev_b32_e32 v51, 12, v35
	v_lshrrev_b32_e32 v52, 5, v35
	v_lshlrev_b32_e32 v53, 2, v35
	v_and_b32_e32 v32, 0xf0f0f0f, v32
	v_and_b32_e32 v37, 0x10000000, v37
	;; [unrolled: 1-line block ×4, first 2 shown]
	v_or3_b32 v39, v44, v43, v45
	v_or3_b32 v38, v38, v41, v42
	v_lshrrev_b32_e32 v33, 4, v33
	v_lshlrev_b32_e32 v35, 9, v35
	v_and_b32_e32 v49, 0x100000, v49
	v_and_b32_e32 v50, 0x10000000, v50
	;; [unrolled: 1-line block ×5, first 2 shown]
	v_or3_b32 v40, v47, v46, v48
	v_or3_b32 v32, v39, v37, v32
	v_dot4c_i32_i8_e32 v36, v38, v10
	v_and_b32_e32 v33, 0xf0f0f0f, v33
	v_and_b32_e32 v35, 0x10000000, v35
	v_or3_b32 v43, v52, v51, v53
	v_or3_b32 v37, v40, v49, v50
	v_dot4c_i32_i8_e32 v36, v32, v6
	v_or3_b32 v33, v43, v35, v33
	v_dot4c_i32_i8_e32 v36, v37, v11
	v_pk_mul_f16 v34, v31, v34
	v_dot4c_i32_i8_e32 v36, v33, v7
	v_cvt_f32_f16_e32 v32, v34
	s_nop 1
	v_cvt_f32_i32_e32 v33, v36
	v_mul_f32_e32 v32, v32, v33
	v_fma_mix_f32 v32, v34, s25, v32 op_sel:[1,0,0] op_sel_hi:[1,0,0]
	s_nop 0
	v_add_f32_e32 v26, v26, v32
	s_branch .LBB49_17
.LBB49_22:
	s_or_b64 exec, exec, s[12:13]
	ds_write2_b32 v22, v28, v25 offset1:1
	ds_write2_b32 v21, v27, v26 offset1:1
.LBB49_23:
	s_or_b64 exec, exec, s[0:1]
	s_load_dword s15, s[2:3], 0x30
	v_cmp_eq_u32_e64 s[0:1], 0, v23
	v_cmp_ne_u32_e32 vcc, 0, v23
	v_lshlrev_b32_e32 v0, 2, v18
	s_and_saveexec_b64 s[12:13], vcc
	s_cbranch_execz .LBB49_28
; %bb.24:
	v_add_u32_e32 v1, -1, v23
	v_lshl_or_b32 v1, v1, 9, v0
	s_mov_b64 s[16:17], -1
	s_and_b64 vcc, exec, s[22:23]
	ds_write_b32 v1, v28
	s_cbranch_vccz .LBB49_26
; %bb.25:
	ds_write_b32 v1, v25 offset:256
	s_mov_b64 s[16:17], 0
.LBB49_26:
	s_andn2_b64 vcc, exec, s[16:17]
	s_cbranch_vccnz .LBB49_28
; %bb.27:
	ds_write_b32 v1, v25 offset:256
	ds_write2st64_b32 v1, v27, v26 offset0:2 offset1:3
.LBB49_28:
	s_or_b64 exec, exec, s[12:13]
	s_waitcnt lgkmcnt(0)
	s_barrier
	s_and_saveexec_b64 s[12:13], s[0:1]
	s_cbranch_execz .LBB49_61
; %bb.29:
	ds_read_b32 v2, v0
	ds_read_b32 v3, v22
	s_and_b64 vcc, exec, s[10:11]
	s_cbranch_vccnz .LBB49_31
; %bb.30:
	ds_read_b32 v1, v0 offset:512
	ds_read_b32 v4, v21
	s_waitcnt lgkmcnt(0)
	v_add_f32_e32 v1, v1, v4
	ds_write_b32 v21, v1
.LBB49_31:
	v_mbcnt_lo_u32_b32 v1, -1, 0
	v_mbcnt_hi_u32_b32 v6, -1, v1
	v_and_b32_e32 v1, 64, v6
	v_add_u32_e32 v7, 64, v1
	v_xor_b32_e32 v1, 32, v6
	v_cmp_lt_i32_e32 vcc, v1, v7
	s_waitcnt lgkmcnt(0)
	v_add_f32_e32 v3, v2, v3
	v_xor_b32_e32 v2, 16, v6
	v_cndmask_b32_e32 v1, v6, v1, vcc
	v_lshlrev_b32_e32 v1, 2, v1
	ds_bpermute_b32 v4, v1, v3
	v_cmp_lt_i32_e32 vcc, v2, v7
	v_xor_b32_e32 v10, 1, v6
	s_waitcnt lgkmcnt(0)
	v_add_f32_e32 v4, v3, v4
	v_cndmask_b32_e32 v2, v6, v2, vcc
	v_lshlrev_b32_e32 v2, 2, v2
	ds_bpermute_b32 v5, v2, v4
	v_xor_b32_e32 v3, 8, v6
	v_cmp_lt_i32_e32 vcc, v3, v7
	s_waitcnt lgkmcnt(0)
	v_add_f32_e32 v5, v4, v5
	v_cndmask_b32_e32 v3, v6, v3, vcc
	v_lshlrev_b32_e32 v3, 2, v3
	ds_bpermute_b32 v8, v3, v5
	v_xor_b32_e32 v4, 4, v6
	v_cmp_lt_i32_e32 vcc, v4, v7
	;; [unrolled: 7-line block ×3, first 2 shown]
	s_waitcnt lgkmcnt(0)
	v_add_f32_e32 v8, v8, v9
	v_cndmask_b32_e32 v5, v6, v5, vcc
	v_lshlrev_b32_e32 v5, 2, v5
	ds_bpermute_b32 v9, v5, v8
	v_cmp_lt_i32_e32 vcc, v10, v7
	s_waitcnt lgkmcnt(0)
	v_add_f32_e32 v7, v8, v9
	v_cndmask_b32_e32 v6, v6, v10, vcc
	v_lshlrev_b32_e32 v6, 2, v6
	ds_bpermute_b32 v8, v6, v7
	s_and_b64 vcc, exec, s[10:11]
	s_waitcnt lgkmcnt(0)
	v_add_f32_e32 v7, v7, v8
	ds_write_b32 v22, v7
	s_cbranch_vccnz .LBB49_33
; %bb.32:
	ds_read_b32 v7, v21
	s_waitcnt lgkmcnt(0)
	ds_bpermute_b32 v8, v1, v7
	s_waitcnt lgkmcnt(0)
	v_add_f32_e32 v7, v7, v8
	ds_bpermute_b32 v8, v2, v7
	s_waitcnt lgkmcnt(0)
	v_add_f32_e32 v7, v7, v8
	;; [unrolled: 3-line block ×6, first 2 shown]
	ds_write_b32 v21, v7
.LBB49_33:
	ds_read_b32 v7, v0 offset:256
	ds_read_b32 v8, v22 offset:4
	s_and_b64 vcc, exec, s[10:11]
	s_cbranch_vccnz .LBB49_35
; %bb.34:
	ds_read_b32 v9, v0 offset:768
	ds_read_b32 v10, v21 offset:4
	s_waitcnt lgkmcnt(0)
	v_add_f32_e32 v9, v9, v10
	ds_write_b32 v21, v9 offset:4
.LBB49_35:
	s_waitcnt lgkmcnt(0)
	v_add_f32_e32 v7, v7, v8
	ds_bpermute_b32 v8, v1, v7
	s_and_b64 vcc, exec, s[10:11]
	s_waitcnt lgkmcnt(0)
	v_add_f32_e32 v7, v7, v8
	ds_bpermute_b32 v8, v2, v7
	s_waitcnt lgkmcnt(0)
	v_add_f32_e32 v7, v7, v8
	ds_bpermute_b32 v8, v3, v7
	;; [unrolled: 3-line block ×5, first 2 shown]
	s_waitcnt lgkmcnt(0)
	v_add_f32_e32 v7, v7, v8
	ds_write_b32 v22, v7 offset:4
	s_cbranch_vccnz .LBB49_37
; %bb.36:
	ds_read_b32 v7, v21 offset:4
	s_waitcnt lgkmcnt(0)
	ds_bpermute_b32 v1, v1, v7
	s_waitcnt lgkmcnt(0)
	v_add_f32_e32 v1, v7, v1
	ds_bpermute_b32 v2, v2, v1
	s_waitcnt lgkmcnt(0)
	v_add_f32_e32 v1, v1, v2
	;; [unrolled: 3-line block ×6, first 2 shown]
	ds_write_b32 v21, v1 offset:4
.LBB49_37:
	v_add_u32_e32 v1, s20, v18
	v_cmp_gt_u32_e32 vcc, 2, v18
	v_cmp_gt_u32_e64 s[0:1], s7, v1
	s_and_b64 s[0:1], vcc, s[0:1]
	s_and_b64 exec, exec, s[0:1]
	s_cbranch_execz .LBB49_61
; %bb.38:
	v_lshl_add_u32 v1, v18, 2, v22
	ds_read_b32 v1, v1
	s_and_b64 vcc, exec, s[10:11]
	s_waitcnt vmcnt(0) lgkmcnt(0)
	v_add_f32_e32 v2, v20, v1
	v_cndmask_b32_e64 v1, v2, v1, s[8:9]
	s_cbranch_vccnz .LBB49_60
; %bb.39:
	v_lshl_add_u32 v2, v18, 2, v21
	ds_read_b32 v2, v2
	s_cmp_lt_i32 s15, 2
	s_mov_b64 s[0:1], 0
	s_waitcnt lgkmcnt(0)
	v_add_f32_e32 v3, v19, v2
	v_cndmask_b32_e64 v2, v2, v3, s[4:5]
	s_cbranch_scc1 .LBB49_43
; %bb.40:
	s_cmp_gt_i32 s15, 2
	s_cbranch_scc0 .LBB49_44
; %bb.41:
	s_cmp_eq_u32 s15, 3
	s_cbranch_scc0 .LBB49_45
; %bb.42:
	v_max_f32_e32 v3, v2, v2
	v_min_f32_e32 v3, 0x40e00000, v3
	v_mul_f32_e32 v5, 0xbfd9db23, v3
	s_mov_b32 s4, 0x3fb8aa3b
	v_mul_f32_e32 v4, 0x3fb8aa3b, v5
	v_fma_f32 v6, v5, s4, -v4
	v_rndne_f32_e32 v7, v4
	v_fmamk_f32 v6, v5, 0x32a5705f, v6
	v_sub_f32_e32 v4, v4, v7
	v_add_f32_e32 v4, v4, v6
	v_exp_f32_e32 v6, v4
	v_cvt_i32_f32_e32 v7, v7
	s_mov_b32 s4, 0xc2ce8ed0
	v_max_f32_e32 v4, v1, v1
	v_cmp_ngt_f32_e32 vcc, s4, v5
	v_ldexp_f32 v6, v6, v7
	s_mov_b32 s4, 0x42b17218
	v_min_f32_e32 v4, 0x40e00000, v4
	v_cndmask_b32_e32 v6, 0, v6, vcc
	v_mov_b32_e32 v7, 0x7f800000
	v_cmp_nlt_f32_e32 vcc, s4, v5
	v_max_f32_e32 v4, 0xc0e00000, v4
	s_nop 0
	v_cndmask_b32_e32 v5, v7, v6, vcc
	v_pk_add_f32 v[4:5], v[4:5], 1.0 op_sel_hi:[1,0]
	s_nop 0
	v_div_scale_f32 v6, s[4:5], v5, v5, v3
	v_rcp_f32_e32 v7, v6
	s_mov_b64 s[4:5], 0
	v_fma_f32 v8, -v6, v7, 1.0
	v_fmac_f32_e32 v7, v8, v7
	v_div_scale_f32 v8, vcc, v3, v5, v3
	v_mul_f32_e32 v9, v8, v7
	v_fma_f32 v10, -v6, v9, v8
	v_fmac_f32_e32 v9, v10, v7
	v_fma_f32 v6, -v6, v9, v8
	v_div_fmas_f32 v6, v6, v7, v9
	v_div_fixup_f32 v3, v6, v5, v3
	v_mul_f32_e32 v3, v4, v3
	s_branch .LBB49_46
.LBB49_43:
                                        ; implicit-def: $vgpr3
	s_mov_b64 s[4:5], 0
	s_cbranch_execnz .LBB49_50
	s_branch .LBB49_51
.LBB49_44:
	s_mov_b64 s[8:9], -1
	s_mov_b64 s[4:5], 0
                                        ; implicit-def: $vgpr3
	s_branch .LBB49_47
.LBB49_45:
	s_mov_b64 s[4:5], -1
                                        ; implicit-def: $vgpr3
.LBB49_46:
	s_mov_b64 s[8:9], 0
.LBB49_47:
	s_and_b64 vcc, exec, s[8:9]
	s_cbranch_vccz .LBB49_49
; %bb.48:
	v_mul_f32_e32 v3, 0xbfb8aa3b, v2
	s_mov_b32 s7, 0xbfb8aa3b
	v_rndne_f32_e32 v4, v3
	v_sub_f32_e32 v5, v3, v4
	v_fma_f32 v3, v2, s7, -v3
	v_fmamk_f32 v3, v2, 0xb2a5705f, v3
	v_add_f32_e32 v3, v5, v3
	v_exp_f32_e32 v3, v3
	v_cvt_i32_f32_e32 v4, v4
	s_mov_b32 s7, 0x42ce8ed0
	v_cmp_nlt_f32_e32 vcc, s7, v2
	s_mov_b32 s7, 0xc2b17218
	v_ldexp_f32 v3, v3, v4
	v_cndmask_b32_e32 v3, 0, v3, vcc
	v_mov_b32_e32 v4, 0x7f800000
	v_cmp_ngt_f32_e32 vcc, s7, v2
	s_nop 1
	v_cndmask_b32_e32 v3, v4, v3, vcc
	v_add_f32_e32 v3, 1.0, v3
	v_div_scale_f32 v4, s[8:9], v3, v3, v2
	v_rcp_f32_e32 v5, v4
	s_nop 0
	v_fma_f32 v6, -v4, v5, 1.0
	v_fmac_f32_e32 v5, v6, v5
	v_div_scale_f32 v6, vcc, v2, v3, v2
	v_mul_f32_e32 v7, v6, v5
	v_fma_f32 v8, -v4, v7, v6
	v_fmac_f32_e32 v7, v8, v5
	v_fma_f32 v4, -v4, v7, v6
	v_div_fmas_f32 v4, v4, v5, v7
	v_div_fixup_f32 v3, v4, v3, v2
	v_mul_f32_e32 v3, v1, v3
.LBB49_49:
	s_branch .LBB49_51
.LBB49_50:
	s_cmp_lg_u32 s15, 1
	s_mov_b64 s[0:1], -1
	s_cselect_b64 s[4:5], -1, 0
                                        ; implicit-def: $vgpr3
.LBB49_51:
	s_andn2_b64 vcc, exec, s[4:5]
	s_cbranch_vccz .LBB49_53
; %bb.52:
	s_andn2_b64 vcc, exec, s[0:1]
	s_cbranch_vccz .LBB49_54
	s_branch .LBB49_59
.LBB49_53:
	v_mul_f32_e32 v3, v1, v2
	s_cbranch_execnz .LBB49_59
.LBB49_54:
	v_mul_f32_e32 v4, 0x3d372713, v2
	v_mul_f32_e32 v3, 0x3f4c422a, v2
	v_fma_f32 v4, v2, v4, 1.0
	v_mul_f32_e32 v3, v3, v4
	s_mov_b32 s0, 0x3f200000
	v_cmp_nlt_f32_e64 s[0:1], |v3|, s0
                                        ; implicit-def: $vgpr4
	s_and_saveexec_b64 s[4:5], s[0:1]
	s_xor_b64 s[0:1], exec, s[4:5]
	s_cbranch_execz .LBB49_56
; %bb.55:
	v_add_f32_e64 v4, |v3|, |v3|
	v_mul_f32_e32 v5, 0x3fb8aa3b, v4
	s_mov_b32 s4, 0x3fb8aa3b
	v_rndne_f32_e32 v6, v5
	v_sub_f32_e32 v7, v5, v6
	v_fma_f32 v5, v4, s4, -v5
	v_fmamk_f32 v5, v4, 0x32a5705f, v5
	v_add_f32_e32 v5, v7, v5
	v_exp_f32_e32 v5, v5
	v_cvt_i32_f32_e32 v6, v6
	s_mov_b32 s4, 0xc2ce8ed0
	v_cmp_ngt_f32_e32 vcc, s4, v4
	s_mov_b32 s4, 0x42b17218
	v_ldexp_f32 v5, v5, v6
	v_cndmask_b32_e32 v5, 0, v5, vcc
	v_mov_b32_e32 v6, 0x7f800000
	v_cmp_nlt_f32_e32 vcc, s4, v4
	s_nop 1
	v_cndmask_b32_e32 v4, v6, v5, vcc
	v_add_f32_e32 v4, 1.0, v4
	v_rcp_f32_e32 v4, v4
	s_nop 0
	v_fma_f32 v4, v4, -2.0, 1.0
.LBB49_56:
	s_andn2_saveexec_b64 s[0:1], s[0:1]
; %bb.57:
	v_mul_f32_e32 v4, v3, v3
	v_mov_b32_e32 v5, 0x3ca908c9
	v_fmac_f32_e32 v5, 0xbbbac73d, v4
	v_fmaak_f32 v5, v4, v5, 0xbd5c1c4e
	v_fmaak_f32 v5, v4, v5, 0x3e088382
	;; [unrolled: 1-line block ×3, first 2 shown]
	v_mul_f32_e64 v5, |v3|, v5
	v_fma_f32 v4, v4, v5, |v3|
; %bb.58:
	s_or_b64 exec, exec, s[0:1]
	s_brev_b32 s0, -2
	v_bfi_b32 v3, s0, v4, v3
	v_mul_f32_e32 v2, 0.5, v2
	v_add_f32_e32 v3, 1.0, v3
	v_mul_f32_e32 v2, v2, v3
	v_mul_f32_e32 v3, v1, v2
.LBB49_59:
	v_mov_b32_e32 v1, v3
.LBB49_60:
	s_load_dwordx2 s[0:1], s[2:3], 0x38
	s_mul_i32 s4, s14, s26
	s_mul_i32 s6, s6, s30
	s_add_i32 s2, s4, s20
	s_add_i32 s2, s2, s6
	s_mov_b32 s3, 0
	s_lshl_b64 s[2:3], s[2:3], 2
	s_waitcnt lgkmcnt(0)
	s_add_u32 s0, s0, s2
	s_addc_u32 s1, s1, s3
	global_store_dword v0, v1, s[0:1]
.LBB49_61:
	s_endpgm
	.section	.rodata,"a",@progbits
	.p2align	6, 0x0
	.amdhsa_kernel _ZL13mul_mat_vec_qIL9ggml_type7ELi1ELb1ELb1EEvPKvS2_PKi31ggml_cuda_mm_fusion_args_devicePfj15HIP_vector_typeIjLj3EEjjjS8_jjjS8_jjjj
		.amdhsa_group_segment_fixed_size 3072
		.amdhsa_private_segment_fixed_size 0
		.amdhsa_kernarg_size 144
		.amdhsa_user_sgpr_count 4
		.amdhsa_user_sgpr_dispatch_ptr 1
		.amdhsa_user_sgpr_queue_ptr 0
		.amdhsa_user_sgpr_kernarg_segment_ptr 1
		.amdhsa_user_sgpr_dispatch_id 0
		.amdhsa_user_sgpr_kernarg_preload_length 0
		.amdhsa_user_sgpr_kernarg_preload_offset 0
		.amdhsa_user_sgpr_private_segment_size 0
		.amdhsa_uses_dynamic_stack 0
		.amdhsa_enable_private_segment 0
		.amdhsa_system_sgpr_workgroup_id_x 1
		.amdhsa_system_sgpr_workgroup_id_y 1
		.amdhsa_system_sgpr_workgroup_id_z 1
		.amdhsa_system_sgpr_workgroup_info 0
		.amdhsa_system_vgpr_workitem_id 2
		.amdhsa_next_free_vgpr 54
		.amdhsa_next_free_sgpr 46
		.amdhsa_accum_offset 56
		.amdhsa_reserve_vcc 1
		.amdhsa_float_round_mode_32 0
		.amdhsa_float_round_mode_16_64 0
		.amdhsa_float_denorm_mode_32 3
		.amdhsa_float_denorm_mode_16_64 3
		.amdhsa_dx10_clamp 1
		.amdhsa_ieee_mode 1
		.amdhsa_fp16_overflow 0
		.amdhsa_tg_split 0
		.amdhsa_exception_fp_ieee_invalid_op 0
		.amdhsa_exception_fp_denorm_src 0
		.amdhsa_exception_fp_ieee_div_zero 0
		.amdhsa_exception_fp_ieee_overflow 0
		.amdhsa_exception_fp_ieee_underflow 0
		.amdhsa_exception_fp_ieee_inexact 0
		.amdhsa_exception_int_div_zero 0
	.end_amdhsa_kernel
	.section	.text._ZL13mul_mat_vec_qIL9ggml_type7ELi1ELb1ELb1EEvPKvS2_PKi31ggml_cuda_mm_fusion_args_devicePfj15HIP_vector_typeIjLj3EEjjjS8_jjjS8_jjjj,"axG",@progbits,_ZL13mul_mat_vec_qIL9ggml_type7ELi1ELb1ELb1EEvPKvS2_PKi31ggml_cuda_mm_fusion_args_devicePfj15HIP_vector_typeIjLj3EEjjjS8_jjjS8_jjjj,comdat
.Lfunc_end49:
	.size	_ZL13mul_mat_vec_qIL9ggml_type7ELi1ELb1ELb1EEvPKvS2_PKi31ggml_cuda_mm_fusion_args_devicePfj15HIP_vector_typeIjLj3EEjjjS8_jjjS8_jjjj, .Lfunc_end49-_ZL13mul_mat_vec_qIL9ggml_type7ELi1ELb1ELb1EEvPKvS2_PKi31ggml_cuda_mm_fusion_args_devicePfj15HIP_vector_typeIjLj3EEjjjS8_jjjS8_jjjj
                                        ; -- End function
	.section	.AMDGPU.csdata,"",@progbits
; Kernel info:
; codeLenInByte = 4284
; NumSgprs: 52
; NumVgprs: 54
; NumAgprs: 0
; TotalNumVgprs: 54
; ScratchSize: 0
; MemoryBound: 0
; FloatMode: 240
; IeeeMode: 1
; LDSByteSize: 3072 bytes/workgroup (compile time only)
; SGPRBlocks: 6
; VGPRBlocks: 6
; NumSGPRsForWavesPerEU: 52
; NumVGPRsForWavesPerEU: 54
; AccumOffset: 56
; Occupancy: 8
; WaveLimiterHint : 0
; COMPUTE_PGM_RSRC2:SCRATCH_EN: 0
; COMPUTE_PGM_RSRC2:USER_SGPR: 4
; COMPUTE_PGM_RSRC2:TRAP_HANDLER: 0
; COMPUTE_PGM_RSRC2:TGID_X_EN: 1
; COMPUTE_PGM_RSRC2:TGID_Y_EN: 1
; COMPUTE_PGM_RSRC2:TGID_Z_EN: 1
; COMPUTE_PGM_RSRC2:TIDIG_COMP_CNT: 2
; COMPUTE_PGM_RSRC3_GFX90A:ACCUM_OFFSET: 13
; COMPUTE_PGM_RSRC3_GFX90A:TG_SPLIT: 0
	.section	.text._ZL13mul_mat_vec_qIL9ggml_type7ELi1ELb0ELb1EEvPKvS2_PKi31ggml_cuda_mm_fusion_args_devicePfj15HIP_vector_typeIjLj3EEjjjS8_jjjS8_jjjj,"axG",@progbits,_ZL13mul_mat_vec_qIL9ggml_type7ELi1ELb0ELb1EEvPKvS2_PKi31ggml_cuda_mm_fusion_args_devicePfj15HIP_vector_typeIjLj3EEjjjS8_jjjS8_jjjj,comdat
	.globl	_ZL13mul_mat_vec_qIL9ggml_type7ELi1ELb0ELb1EEvPKvS2_PKi31ggml_cuda_mm_fusion_args_devicePfj15HIP_vector_typeIjLj3EEjjjS8_jjjS8_jjjj ; -- Begin function _ZL13mul_mat_vec_qIL9ggml_type7ELi1ELb0ELb1EEvPKvS2_PKi31ggml_cuda_mm_fusion_args_devicePfj15HIP_vector_typeIjLj3EEjjjS8_jjjS8_jjjj
	.p2align	8
	.type	_ZL13mul_mat_vec_qIL9ggml_type7ELi1ELb0ELb1EEvPKvS2_PKi31ggml_cuda_mm_fusion_args_devicePfj15HIP_vector_typeIjLj3EEjjjS8_jjjS8_jjjj,@function
_ZL13mul_mat_vec_qIL9ggml_type7ELi1ELb0ELb1EEvPKvS2_PKi31ggml_cuda_mm_fusion_args_devicePfj15HIP_vector_typeIjLj3EEjjjS8_jjjS8_jjjj: ; @_ZL13mul_mat_vec_qIL9ggml_type7ELi1ELb0ELb1EEvPKvS2_PKi31ggml_cuda_mm_fusion_args_devicePfj15HIP_vector_typeIjLj3EEjjjS8_jjjS8_jjjj
; %bb.0:
	s_load_dwordx2 s[8:9], s[2:3], 0x10
	s_load_dwordx4 s[16:19], s[2:3], 0x40
	s_mov_b32 s20, s5
	s_mov_b64 s[14:15], 0
	s_waitcnt lgkmcnt(0)
	s_cmp_lg_u64 s[8:9], 0
	s_cselect_b64 s[12:13], -1, 0
	s_cmp_eq_u64 s[8:9], 0
	s_cbranch_scc1 .LBB50_5
; %bb.1:
	s_mov_b32 s21, 0
	s_lshl_b64 s[10:11], s[20:21], 2
	s_add_u32 s8, s8, s10
	s_addc_u32 s9, s9, s11
	s_load_dword s21, s[8:9], 0x0
	s_nop 0
	s_load_dwordx4 s[8:11], s[2:3], 0x68
	s_load_dword s5, s[2:3], 0x50
	s_andn2_b64 vcc, exec, s[14:15]
	s_cbranch_vccnz .LBB50_3
.LBB50_2:
	s_load_dwordx2 s[14:15], s[2:3], 0x5c
	s_waitcnt lgkmcnt(0)
	s_mul_hi_u32 s7, s14, s20
	s_add_i32 s7, s20, s7
	s_lshr_b32 s21, s7, s15
.LBB50_3:
	s_load_dword s22, s[2:3], 0x78
	s_andn2_b64 vcc, exec, s[12:13]
	s_cbranch_vccnz .LBB50_6
; %bb.4:
	s_mul_hi_u32 s7, s17, s20
	s_add_i32 s7, s20, s7
	s_lshr_b32 s7, s7, s18
	s_mul_i32 s7, s7, s19
	s_sub_i32 s23, s20, s7
	s_branch .LBB50_7
.LBB50_5:
                                        ; implicit-def: $sgpr21
	s_load_dwordx4 s[8:11], s[2:3], 0x68
	s_load_dword s5, s[2:3], 0x50
	s_branch .LBB50_2
.LBB50_6:
	s_mov_b32 s23, s20
.LBB50_7:
	s_load_dwordx2 s[18:19], s[0:1], 0x4
	s_load_dwordx4 s[12:15], s[2:3], 0x80
	v_bfe_u32 v8, v0, 10, 10
	v_and_b32_e32 v7, 0x3ff, v0
	v_bfe_u32 v0, v0, 20, 10
	s_waitcnt lgkmcnt(0)
	s_lshr_b32 s0, s18, 16
	v_mul_u32_u24_e32 v1, s19, v8
	s_mul_i32 s0, s0, s19
	v_mad_u32_u24 v1, s0, v7, v1
	v_add_lshl_u32 v1, v1, v0, 3
	v_lshlrev_b32_e32 v0, 6, v8
	v_mov_b32_e32 v10, 0
	v_add_u32_e32 v6, 0x200, v1
	ds_write2_b32 v1, v10, v10 offset0:128 offset1:129
	v_add_u16_e32 v1, v0, v7
	s_lshr_b32 s15, s16, 5
	v_lshrrev_b16_e32 v9, 1, v1
	s_lshl_b32 s7, s4, 1
	v_cmp_gt_u32_e32 vcc, s15, v9
	v_mov_b32_e32 v13, 0
	s_and_saveexec_b64 s[0:1], vcc
	s_cbranch_execz .LBB50_11
; %bb.8:
	s_load_dwordx4 s[16:19], s[2:3], 0x0
	s_mul_i32 s4, s6, s13
	s_mul_i32 s13, s21, s8
	s_mul_hi_u32 s8, s11, s6
	s_add_i32 s8, s6, s8
	s_lshr_b32 s8, s8, s22
	s_mul_i32 s11, s8, s12
	s_mul_hi_u32 s8, s4, 36
	s_mul_i32 s4, s4, 36
	s_mul_i32 s9, s23, s9
	s_waitcnt lgkmcnt(0)
	s_add_u32 s4, s18, s4
	s_mul_hi_u32 s21, s9, 36
	s_mul_i32 s9, s9, 36
	s_addc_u32 s18, s19, s8
	v_add_u32_e32 v2, v0, v7
	s_add_u32 s8, s4, s9
	v_lshrrev_b32_e32 v2, 1, v2
	s_addc_u32 s9, s18, s21
	v_lshlrev_b32_e32 v0, 1, v7
	v_mad_u64_u32 v[2:3], s[8:9], v2, 36, s[8:9]
	v_and_b32_e32 v4, 2, v0
	s_add_i32 s8, s7, 1
	v_mov_b32_e32 v1, 0
	v_lshlrev_b32_e32 v11, 2, v4
	s_mul_i32 s12, s7, s5
	v_and_b32_e32 v0, 1, v7
	s_add_i32 s4, s11, s13
	s_mul_i32 s5, s5, s8
	v_or_b32_e32 v12, 4, v11
	v_lshlrev_b32_e32 v0, 3, v0
	s_add_i32 s11, s4, s5
	s_add_i32 s12, s4, s12
	s_mov_b64 s[4:5], 0
	v_lshlrev_b32_e32 v4, 2, v4
	v_mov_b32_e32 v5, v1
	s_mov_b32 s13, 0.5
	s_mov_b64 s[8:9], 0x900
	v_mov_b32_e32 v13, v1
	v_mov_b32_e32 v10, v1
.LBB50_9:                               ; =>This Inner Loop Header: Depth=1
	v_lshl_add_u64 v[14:15], v[2:3], 0, v[0:1]
	v_add_u32_e32 v20, s12, v9
	global_load_dword v32, v[2:3], off
	global_load_dwordx2 v[16:17], v[14:15], off offset:4
	global_load_dwordx2 v[18:19], v[14:15], off offset:20
	v_mad_i64_i32 v[14:15], s[18:19], v20, 24, s[16:17]
	v_add_u32_e32 v21, s11, v9
	v_lshl_add_u64 v[22:23], v[14:15], 0, v[4:5]
	global_load_dwordx2 v[14:15], v[14:15], off
	v_mad_i64_i32 v[20:21], s[18:19], v21, 24, s[16:17]
	v_lshl_add_u64 v[24:25], v[20:21], 0, v[4:5]
	global_load_dwordx2 v[26:27], v[22:23], off offset:8
	global_load_dwordx2 v[28:29], v[20:21], off
	global_load_dwordx2 v[30:31], v[24:25], off offset:8
	v_mov_b32_e32 v33, 0
	v_mov_b32_e32 v34, 0
	v_add_u32_e32 v9, 64, v9
	v_cmp_le_u32_e32 vcc, s15, v9
	v_lshl_add_u64 v[2:3], v[2:3], 0, s[8:9]
	s_or_b64 s[4:5], vcc, s[4:5]
	s_waitcnt vmcnt(3)
	v_ashrrev_i32_e32 v20, v11, v15
	v_ashrrev_i32_e32 v15, v12, v15
	v_lshlrev_b32_e32 v22, 4, v20
	v_lshlrev_b32_e32 v23, 11, v20
	v_lshrrev_b32_e32 v35, 12, v20
	v_lshrrev_b32_e32 v36, 5, v20
	v_lshlrev_b32_e32 v37, 2, v20
	v_lshlrev_b32_e32 v39, 4, v15
	;; [unrolled: 1-line block ×5, first 2 shown]
	v_lshrrev_b32_e32 v43, 12, v15
	v_lshrrev_b32_e32 v44, 5, v15
	v_lshlrev_b32_e32 v45, 2, v15
	s_waitcnt vmcnt(1)
	v_ashrrev_i32_e32 v47, v11, v29
	v_pk_mul_f16 v14, v14, v32
	v_and_b32_e32 v21, 0xf0f0f0f, v26
	v_lshlrev_b32_e32 v24, 18, v20
	v_lshlrev_b32_e32 v25, 25, v20
	v_pk_mul_f16 v28, v28, v32
	v_and_b32_e32 v22, 16, v22
	v_and_b32_e32 v23, 0x1000, v23
	v_and_b32_e32 v32, 16, v35
	v_and_b32_e32 v35, 0x1000, v36
	v_and_b32_e32 v36, 0x100000, v37
	v_and_b32_e32 v37, 16, v39
	v_and_b32_e32 v39, 0x1000, v40
	v_and_b32_e32 v40, 0x100000, v41
	v_and_b32_e32 v41, 0x10000000, v42
	v_and_b32_e32 v42, 16, v43
	v_and_b32_e32 v43, 0x1000, v44
	v_and_b32_e32 v44, 0x100000, v45
	v_lshlrev_b32_e32 v45, 4, v47
	v_lshlrev_b32_e32 v50, 11, v47
	v_lshrrev_b32_e32 v26, 4, v26
	v_lshlrev_b32_e32 v20, 9, v20
	v_ashrrev_i32_e32 v29, v12, v29
	s_waitcnt vmcnt(0)
	v_and_b32_e32 v48, 0xf0f0f0f, v30
	v_and_b32_e32 v24, 0x100000, v24
	;; [unrolled: 1-line block ×3, first 2 shown]
	v_lshlrev_b32_e32 v51, 18, v47
	v_lshlrev_b32_e32 v52, 25, v47
	v_lshrrev_b32_e32 v53, 12, v47
	v_lshrrev_b32_e32 v54, 5, v47
	v_lshlrev_b32_e32 v55, 2, v47
	v_or3_b32 v21, v22, v21, v23
	v_or3_b32 v23, v35, v32, v36
	;; [unrolled: 1-line block ×3, first 2 shown]
	v_and_b32_e32 v36, 16, v45
	v_and_b32_e32 v37, 0x1000, v50
	v_lshrrev_b32_e32 v30, 4, v30
	v_and_b32_e32 v26, 0xf0f0f0f, v26
	v_and_b32_e32 v20, 0x10000000, v20
	v_lshlrev_b32_e32 v47, 9, v47
	v_lshlrev_b32_e32 v56, 4, v29
	;; [unrolled: 1-line block ×4, first 2 shown]
	v_or3_b32 v35, v43, v42, v44
	v_and_b32_e32 v39, 0x100000, v51
	v_and_b32_e32 v40, 0x10000000, v52
	;; [unrolled: 1-line block ×5, first 2 shown]
	v_or3_b32 v21, v21, v24, v25
	v_or3_b32 v24, v36, v48, v37
	v_and_b32_e32 v38, 0xf0f0f0f, v27
	v_lshrrev_b32_e32 v27, 4, v27
	v_lshlrev_b32_e32 v15, 9, v15
	v_and_b32_e32 v30, 0xf0f0f0f, v30
	v_lshlrev_b32_e32 v59, 25, v29
	v_lshrrev_b32_e32 v60, 12, v29
	v_lshrrev_b32_e32 v61, 5, v29
	v_lshlrev_b32_e32 v62, 2, v29
	v_and_b32_e32 v45, 0x10000000, v47
	v_and_b32_e32 v47, 16, v56
	;; [unrolled: 1-line block ×4, first 2 shown]
	v_or3_b32 v20, v23, v20, v26
	v_or3_b32 v25, v43, v42, v44
	v_dot4c_i32_i8_e32 v33, v21, v16
	v_or3_b32 v21, v24, v39, v40
	v_and_b32_e32 v49, 0xf0f0f0f, v31
	v_lshrrev_b32_e32 v31, 4, v31
	v_and_b32_e32 v27, 0xf0f0f0f, v27
	v_and_b32_e32 v15, 0x10000000, v15
	v_lshlrev_b32_e32 v29, 9, v29
	v_and_b32_e32 v52, 0x10000000, v59
	v_and_b32_e32 v53, 16, v60
	v_and_b32_e32 v54, 0x1000, v61
	v_and_b32_e32 v55, 0x100000, v62
	v_or3_b32 v23, v32, v41, v38
	v_or3_b32 v26, v50, v47, v51
	;; [unrolled: 1-line block ×3, first 2 shown]
	v_dot4c_i32_i8_e32 v33, v20, v18
	v_dot4c_i32_i8_e32 v34, v21, v16
	v_and_b32_e32 v31, 0xf0f0f0f, v31
	v_and_b32_e32 v29, 0x10000000, v29
	v_or3_b32 v15, v35, v15, v27
	v_or3_b32 v27, v54, v53, v55
	;; [unrolled: 1-line block ×3, first 2 shown]
	v_dot4c_i32_i8_e32 v33, v23, v17
	v_dot4c_i32_i8_e32 v34, v24, v18
	v_or3_b32 v26, v27, v29, v31
	v_dot4c_i32_i8_e32 v33, v15, v19
	v_dot4c_i32_i8_e32 v34, v25, v17
	v_cvt_f32_f16_e32 v46, v14
	v_dot4c_i32_i8_e32 v34, v26, v19
	v_cvt_f32_i32_e32 v15, v33
	v_cvt_f32_f16_e32 v22, v28
	v_mul_f32_e32 v15, v46, v15
	v_cvt_f32_i32_e32 v16, v34
	v_fma_mix_f32 v14, v14, s13, v15 op_sel:[1,0,0] op_sel_hi:[1,0,0]
	v_mul_f32_e32 v15, v22, v16
	v_add_f32_e32 v10, v10, v14
	v_fma_mix_f32 v14, v28, s13, v15 op_sel:[1,0,0] op_sel_hi:[1,0,0]
	s_nop 0
	v_add_f32_e32 v13, v13, v14
	s_andn2_b64 exec, exec, s[4:5]
	s_cbranch_execnz .LBB50_9
; %bb.10:
	s_or_b64 exec, exec, s[4:5]
	ds_write2_b32 v6, v10, v13 offset1:1
.LBB50_11:
	s_or_b64 exec, exec, s[0:1]
	v_cmp_eq_u32_e32 vcc, 0, v8
	v_cmp_ne_u32_e64 s[0:1], 0, v8
	v_lshlrev_b32_e32 v0, 2, v7
	s_and_saveexec_b64 s[4:5], s[0:1]
	s_cbranch_execz .LBB50_13
; %bb.12:
	v_lshl_or_b32 v1, v8, 9, v0
	v_add_u32_e32 v1, 0xfffffe00, v1
	ds_write2st64_b32 v1, v10, v13 offset1:1
.LBB50_13:
	s_or_b64 exec, exec, s[4:5]
	s_waitcnt lgkmcnt(0)
	s_barrier
	s_and_saveexec_b64 s[0:1], vcc
	s_cbranch_execz .LBB50_16
; %bb.14:
	v_mbcnt_lo_u32_b32 v1, -1, 0
	v_mbcnt_hi_u32_b32 v1, -1, v1
	v_and_b32_e32 v2, 64, v1
	v_add_u32_e32 v8, 64, v2
	ds_read2st64_b32 v[2:3], v0 offset1:1
	ds_read2_b32 v[4:5], v6 offset1:1
	v_xor_b32_e32 v9, 32, v1
	v_cmp_lt_i32_e32 vcc, v9, v8
	s_load_dword s0, s[2:3], 0x58
	s_mov_b32 s5, 0
	v_cndmask_b32_e32 v9, v1, v9, vcc
	v_lshlrev_b32_e32 v9, 2, v9
	s_waitcnt lgkmcnt(0)
	v_pk_add_f32 v[2:3], v[2:3], v[4:5]
	ds_bpermute_b32 v4, v9, v2
	ds_bpermute_b32 v5, v9, v3
	v_xor_b32_e32 v9, 16, v1
	v_cmp_lt_i32_e32 vcc, v9, v8
	s_waitcnt lgkmcnt(0)
	v_pk_add_f32 v[2:3], v[2:3], v[4:5]
	v_cndmask_b32_e32 v9, v1, v9, vcc
	v_lshlrev_b32_e32 v9, 2, v9
	ds_bpermute_b32 v4, v9, v2
	ds_bpermute_b32 v5, v9, v3
	v_xor_b32_e32 v9, 8, v1
	v_cmp_lt_i32_e32 vcc, v9, v8
	s_waitcnt lgkmcnt(0)
	v_pk_add_f32 v[2:3], v[2:3], v[4:5]
	v_cndmask_b32_e32 v9, v1, v9, vcc
	v_lshlrev_b32_e32 v9, 2, v9
	;; [unrolled: 8-line block ×5, first 2 shown]
	ds_bpermute_b32 v4, v1, v2
	ds_bpermute_b32 v5, v1, v3
	v_or_b32_e32 v1, s7, v7
	v_cmp_gt_u32_e32 vcc, 2, v7
	v_cmp_gt_u32_e64 s[0:1], s0, v1
	s_and_b64 s[0:1], vcc, s[0:1]
	s_waitcnt lgkmcnt(0)
	v_pk_add_f32 v[2:3], v[2:3], v[4:5]
	ds_write2_b32 v6, v2, v3 offset1:1
	s_and_b64 exec, exec, s[0:1]
	s_cbranch_execz .LBB50_16
; %bb.15:
	s_load_dwordx2 s[0:1], s[2:3], 0x38
	s_mul_i32 s2, s20, s10
	v_add_u32_e32 v1, v6, v0
	s_add_i32 s2, s2, s7
	s_mul_i32 s6, s6, s14
	ds_read_b32 v1, v1
	s_add_i32 s4, s2, s6
	s_lshl_b64 s[2:3], s[4:5], 2
	s_waitcnt lgkmcnt(0)
	s_add_u32 s0, s0, s2
	s_addc_u32 s1, s1, s3
	global_store_dword v0, v1, s[0:1]
.LBB50_16:
	s_endpgm
	.section	.rodata,"a",@progbits
	.p2align	6, 0x0
	.amdhsa_kernel _ZL13mul_mat_vec_qIL9ggml_type7ELi1ELb0ELb1EEvPKvS2_PKi31ggml_cuda_mm_fusion_args_devicePfj15HIP_vector_typeIjLj3EEjjjS8_jjjS8_jjjj
		.amdhsa_group_segment_fixed_size 1536
		.amdhsa_private_segment_fixed_size 0
		.amdhsa_kernarg_size 144
		.amdhsa_user_sgpr_count 4
		.amdhsa_user_sgpr_dispatch_ptr 1
		.amdhsa_user_sgpr_queue_ptr 0
		.amdhsa_user_sgpr_kernarg_segment_ptr 1
		.amdhsa_user_sgpr_dispatch_id 0
		.amdhsa_user_sgpr_kernarg_preload_length 0
		.amdhsa_user_sgpr_kernarg_preload_offset 0
		.amdhsa_user_sgpr_private_segment_size 0
		.amdhsa_uses_dynamic_stack 0
		.amdhsa_enable_private_segment 0
		.amdhsa_system_sgpr_workgroup_id_x 1
		.amdhsa_system_sgpr_workgroup_id_y 1
		.amdhsa_system_sgpr_workgroup_id_z 1
		.amdhsa_system_sgpr_workgroup_info 0
		.amdhsa_system_vgpr_workitem_id 2
		.amdhsa_next_free_vgpr 63
		.amdhsa_next_free_sgpr 24
		.amdhsa_accum_offset 64
		.amdhsa_reserve_vcc 1
		.amdhsa_float_round_mode_32 0
		.amdhsa_float_round_mode_16_64 0
		.amdhsa_float_denorm_mode_32 3
		.amdhsa_float_denorm_mode_16_64 3
		.amdhsa_dx10_clamp 1
		.amdhsa_ieee_mode 1
		.amdhsa_fp16_overflow 0
		.amdhsa_tg_split 0
		.amdhsa_exception_fp_ieee_invalid_op 0
		.amdhsa_exception_fp_denorm_src 0
		.amdhsa_exception_fp_ieee_div_zero 0
		.amdhsa_exception_fp_ieee_overflow 0
		.amdhsa_exception_fp_ieee_underflow 0
		.amdhsa_exception_fp_ieee_inexact 0
		.amdhsa_exception_int_div_zero 0
	.end_amdhsa_kernel
	.section	.text._ZL13mul_mat_vec_qIL9ggml_type7ELi1ELb0ELb1EEvPKvS2_PKi31ggml_cuda_mm_fusion_args_devicePfj15HIP_vector_typeIjLj3EEjjjS8_jjjS8_jjjj,"axG",@progbits,_ZL13mul_mat_vec_qIL9ggml_type7ELi1ELb0ELb1EEvPKvS2_PKi31ggml_cuda_mm_fusion_args_devicePfj15HIP_vector_typeIjLj3EEjjjS8_jjjS8_jjjj,comdat
.Lfunc_end50:
	.size	_ZL13mul_mat_vec_qIL9ggml_type7ELi1ELb0ELb1EEvPKvS2_PKi31ggml_cuda_mm_fusion_args_devicePfj15HIP_vector_typeIjLj3EEjjjS8_jjjS8_jjjj, .Lfunc_end50-_ZL13mul_mat_vec_qIL9ggml_type7ELi1ELb0ELb1EEvPKvS2_PKi31ggml_cuda_mm_fusion_args_devicePfj15HIP_vector_typeIjLj3EEjjjS8_jjjS8_jjjj
                                        ; -- End function
	.section	.AMDGPU.csdata,"",@progbits
; Kernel info:
; codeLenInByte = 1824
; NumSgprs: 30
; NumVgprs: 63
; NumAgprs: 0
; TotalNumVgprs: 63
; ScratchSize: 0
; MemoryBound: 0
; FloatMode: 240
; IeeeMode: 1
; LDSByteSize: 1536 bytes/workgroup (compile time only)
; SGPRBlocks: 3
; VGPRBlocks: 7
; NumSGPRsForWavesPerEU: 30
; NumVGPRsForWavesPerEU: 63
; AccumOffset: 64
; Occupancy: 8
; WaveLimiterHint : 0
; COMPUTE_PGM_RSRC2:SCRATCH_EN: 0
; COMPUTE_PGM_RSRC2:USER_SGPR: 4
; COMPUTE_PGM_RSRC2:TRAP_HANDLER: 0
; COMPUTE_PGM_RSRC2:TGID_X_EN: 1
; COMPUTE_PGM_RSRC2:TGID_Y_EN: 1
; COMPUTE_PGM_RSRC2:TGID_Z_EN: 1
; COMPUTE_PGM_RSRC2:TIDIG_COMP_CNT: 2
; COMPUTE_PGM_RSRC3_GFX90A:ACCUM_OFFSET: 15
; COMPUTE_PGM_RSRC3_GFX90A:TG_SPLIT: 0
	.section	.text._ZL13mul_mat_vec_qIL9ggml_type7ELi1ELb1ELb0EEvPKvS2_PKi31ggml_cuda_mm_fusion_args_devicePfj15HIP_vector_typeIjLj3EEjjjS8_jjjS8_jjjj,"axG",@progbits,_ZL13mul_mat_vec_qIL9ggml_type7ELi1ELb1ELb0EEvPKvS2_PKi31ggml_cuda_mm_fusion_args_devicePfj15HIP_vector_typeIjLj3EEjjjS8_jjjS8_jjjj,comdat
	.globl	_ZL13mul_mat_vec_qIL9ggml_type7ELi1ELb1ELb0EEvPKvS2_PKi31ggml_cuda_mm_fusion_args_devicePfj15HIP_vector_typeIjLj3EEjjjS8_jjjS8_jjjj ; -- Begin function _ZL13mul_mat_vec_qIL9ggml_type7ELi1ELb1ELb0EEvPKvS2_PKi31ggml_cuda_mm_fusion_args_devicePfj15HIP_vector_typeIjLj3EEjjjS8_jjjS8_jjjj
	.p2align	8
	.type	_ZL13mul_mat_vec_qIL9ggml_type7ELi1ELb1ELb0EEvPKvS2_PKi31ggml_cuda_mm_fusion_args_devicePfj15HIP_vector_typeIjLj3EEjjjS8_jjjS8_jjjj,@function
_ZL13mul_mat_vec_qIL9ggml_type7ELi1ELb1ELb0EEvPKvS2_PKi31ggml_cuda_mm_fusion_args_devicePfj15HIP_vector_typeIjLj3EEjjjS8_jjjS8_jjjj: ; @_ZL13mul_mat_vec_qIL9ggml_type7ELi1ELb1ELb0EEvPKvS2_PKi31ggml_cuda_mm_fusion_args_devicePfj15HIP_vector_typeIjLj3EEjjjS8_jjjS8_jjjj
; %bb.0:
	s_load_dwordx8 s[16:23], s[0:1], 0x0
	s_load_dwordx4 s[36:39], s[0:1], 0x20
	s_load_dwordx4 s[8:11], s[0:1], 0x40
	;; [unrolled: 1-line block ×3, first 2 shown]
	s_mov_b32 s14, s3
	s_waitcnt lgkmcnt(0)
	s_cmp_lg_u64 s[20:21], 0
	s_cselect_b64 s[6:7], -1, 0
	s_cmp_eq_u64 s[20:21], 0
	s_mov_b64 s[12:13], 0
	s_cbranch_scc1 .LBB51_5
; %bb.1:
	s_mov_b32 s15, 0
	s_lshl_b64 s[28:29], s[14:15], 2
	s_add_u32 s20, s20, s28
	s_addc_u32 s21, s21, s29
	s_load_dword s5, s[20:21], 0x0
	s_load_dword s15, s[0:1], 0x50
	;; [unrolled: 1-line block ×3, first 2 shown]
	s_andn2_b64 vcc, exec, s[12:13]
	s_cbranch_vccnz .LBB51_3
.LBB51_2:
	s_load_dwordx2 s[12:13], s[0:1], 0x5c
	s_waitcnt lgkmcnt(0)
	s_mul_hi_u32 s3, s12, s14
	s_add_i32 s3, s14, s3
	s_lshr_b32 s5, s3, s13
.LBB51_3:
	s_andn2_b64 vcc, exec, s[6:7]
	s_cbranch_vccnz .LBB51_6
; %bb.4:
	s_mul_hi_u32 s3, s9, s14
	s_add_i32 s3, s14, s3
	s_lshr_b32 s3, s3, s10
	s_mul_i32 s3, s3, s11
	s_sub_i32 s34, s14, s3
	s_waitcnt lgkmcnt(0)
	s_mov_b32 s3, s5
	s_branch .LBB51_7
.LBB51_5:
                                        ; implicit-def: $sgpr5
	s_load_dword s15, s[0:1], 0x50
	s_load_dword s33, s[0:1], 0x78
	s_branch .LBB51_2
.LBB51_6:
	s_mov_b32 s3, s14
	s_mov_b32 s34, s14
.LBB51_7:
	s_load_dwordx4 s[28:31], s[0:1], 0x80
	v_bfe_u32 v18, v0, 10, 10
	v_and_b32_e32 v15, 0x3ff, v0
	s_cmp_lg_u64 s[22:23], 0
	v_or_b32_e32 v0, v18, v15
	s_cselect_b64 s[12:13], -1, 0
	v_cmp_eq_u32_e32 vcc, 0, v0
	s_mov_b32 s21, 0
	s_and_b64 s[40:41], vcc, s[12:13]
	v_mov_b32_e32 v16, 0
	s_mul_i32 s10, s3, s26
	v_lshlrev_b32_e32 v14, 2, v15
	v_mov_b32_e32 v17, 0
	s_and_saveexec_b64 s[6:7], s[40:41]
	s_cbranch_execz .LBB51_9
; %bb.8:
	s_waitcnt lgkmcnt(0)
	s_mul_i32 s20, s4, s30
	s_lshl_b64 s[40:41], s[20:21], 2
	s_add_u32 s3, s22, s40
	s_mov_b32 s11, s21
	s_addc_u32 s9, s23, s41
	s_lshl_b64 s[20:21], s[10:11], 2
	s_add_u32 s11, s3, s20
	s_addc_u32 s9, s9, s21
	s_ashr_i32 s3, s2, 31
	s_lshl_b64 s[20:21], s[2:3], 2
	s_add_u32 s20, s11, s20
	s_addc_u32 s21, s9, s21
	global_load_dword v17, v14, s[20:21]
.LBB51_9:
	s_or_b64 exec, exec, s[6:7]
	s_cmp_lg_u64 s[36:37], 0
	s_cselect_b64 s[20:21], -1, 0
	s_cmp_lg_u64 s[38:39], 0
	s_cselect_b64 s[6:7], -1, 0
	s_and_b64 s[22:23], s[6:7], s[20:21]
	s_and_b64 s[40:41], vcc, s[22:23]
	s_and_saveexec_b64 s[22:23], s[40:41]
	s_cbranch_execz .LBB51_11
; %bb.10:
	s_waitcnt lgkmcnt(0)
	s_mul_i32 s40, s4, s30
	s_mov_b32 s41, 0
	s_lshl_b64 s[42:43], s[40:41], 2
	s_add_u32 s3, s38, s42
	s_mov_b32 s11, s41
	s_addc_u32 s9, s39, s43
	s_lshl_b64 s[10:11], s[10:11], 2
	s_add_u32 s31, s3, s10
	s_addc_u32 s9, s9, s11
	s_ashr_i32 s3, s2, 31
	s_lshl_b64 s[10:11], s[2:3], 2
	s_add_u32 s10, s31, s10
	s_addc_u32 s11, s9, s11
	global_load_dword v16, v14, s[10:11]
.LBB51_11:
	s_or_b64 exec, exec, s[22:23]
	v_lshlrev_b32_e32 v0, 6, v18
	v_xor_b32_e32 v2, v0, v15
	v_and_b32_e32 v1, v0, v15
	v_lshrrev_b16_e32 v2, 1, v2
	s_lshr_b32 s3, s8, 5
	v_add_u16_e32 v21, v1, v2
	v_cndmask_b32_e64 v1, 0, 1, s[20:21]
	v_cmp_gt_u32_e32 vcc, s3, v21
	v_mov_b32_e32 v20, 0
	v_cmp_ne_u32_e64 s[8:9], 1, v1
	v_mov_b32_e32 v19, 0
	s_and_saveexec_b64 s[10:11], vcc
	s_cbranch_execz .LBB51_17
; %bb.12:
	s_mul_hi_u32 s22, s27, s4
	s_add_i32 s22, s4, s22
	s_waitcnt lgkmcnt(0)
	s_lshr_b32 s22, s22, s33
	s_mul_i32 s5, s5, s24
	s_mul_i32 s22, s22, s28
	;; [unrolled: 1-line block ×4, first 2 shown]
	s_add_i32 s5, s22, s5
	s_add_i32 s5, s5, s15
	s_mul_hi_u32 s22, s20, 36
	s_mul_i32 s20, s20, 36
	s_mul_i32 s21, s34, s25
	s_add_u32 s18, s18, s20
	s_mul_hi_u32 s15, s21, 36
	s_mul_i32 s21, s21, 36
	s_addc_u32 s19, s19, s22
	v_add_u32_e32 v2, v0, v15
	v_lshlrev_b32_e32 v0, 1, v15
	s_add_u32 s18, s18, s21
	v_and_b32_e32 v4, 2, v0
	v_lshrrev_b32_e32 v2, 1, v2
	s_addc_u32 s19, s19, s15
	v_mov_b32_e32 v1, 0
	v_lshlrev_b32_e32 v22, 2, v4
	v_and_b32_e32 v0, 1, v15
	v_mad_u64_u32 v[2:3], s[18:19], v2, 36, s[18:19]
	v_or_b32_e32 v23, 4, v22
	v_lshlrev_b32_e32 v0, 3, v0
	s_mov_b64 s[18:19], 0
	v_lshlrev_b32_e32 v4, 2, v4
	v_mov_b32_e32 v5, v1
	s_mov_b32 s15, 0.5
	s_mov_b64 s[20:21], 0x900
	v_mov_b32_e32 v20, v1
	v_mov_b32_e32 v19, v1
	s_branch .LBB51_14
.LBB51_13:                              ;   in Loop: Header=BB51_14 Depth=1
	s_waitcnt vmcnt(4)
	v_ashrrev_i32_e32 v25, v22, v7
	v_lshlrev_b32_e32 v27, 4, v25
	v_lshlrev_b32_e32 v28, 11, v25
	s_waitcnt vmcnt(3)
	v_and_b32_e32 v26, 0xf0f0f0f, v10
	v_and_b32_e32 v27, 16, v27
	v_and_b32_e32 v28, 0x1000, v28
	v_or3_b32 v26, v27, v26, v28
	v_lshlrev_b32_e32 v27, 18, v25
	v_lshlrev_b32_e32 v28, 25, v25
	v_and_b32_e32 v27, 0x100000, v27
	v_and_b32_e32 v28, 0x10000000, v28
	v_or3_b32 v26, v26, v27, v28
	v_mov_b32_e32 v27, 0
	s_waitcnt vmcnt(2)
	v_dot4c_i32_i8_e32 v27, v26, v12
	v_lshrrev_b32_e32 v12, 12, v25
	v_lshrrev_b32_e32 v26, 5, v25
	v_lshlrev_b32_e32 v28, 2, v25
	v_lshrrev_b32_e32 v10, 4, v10
	v_and_b32_e32 v12, 16, v12
	v_and_b32_e32 v26, 0x1000, v26
	v_and_b32_e32 v28, 0x100000, v28
	v_lshlrev_b32_e32 v25, 9, v25
	v_and_b32_e32 v10, 0xf0f0f0f, v10
	v_and_b32_e32 v25, 0x10000000, v25
	v_or3_b32 v12, v26, v12, v28
	v_ashrrev_i32_e32 v7, v23, v7
	v_or3_b32 v10, v12, v25, v10
	s_waitcnt vmcnt(1)
	v_dot4c_i32_i8_e32 v27, v10, v8
	v_lshlrev_b32_e32 v10, 4, v7
	v_lshlrev_b32_e32 v12, 11, v7
	;; [unrolled: 1-line block ×3, first 2 shown]
	v_and_b32_e32 v10, 16, v10
	v_and_b32_e32 v12, 0x1000, v12
	;; [unrolled: 1-line block ×3, first 2 shown]
	v_lshlrev_b32_e32 v26, 25, v7
	v_and_b32_e32 v8, 0xf0f0f0f, v11
	v_and_b32_e32 v26, 0x10000000, v26
	v_or3_b32 v10, v12, v10, v25
	v_or3_b32 v8, v10, v26, v8
	v_dot4c_i32_i8_e32 v27, v8, v13
	v_lshrrev_b32_e32 v8, 4, v11
	v_lshrrev_b32_e32 v10, 12, v7
	;; [unrolled: 1-line block ×3, first 2 shown]
	v_lshlrev_b32_e32 v12, 2, v7
	v_and_b32_e32 v10, 16, v10
	v_and_b32_e32 v11, 0x1000, v11
	;; [unrolled: 1-line block ×3, first 2 shown]
	v_lshlrev_b32_e32 v7, 9, v7
	v_and_b32_e32 v8, 0xf0f0f0f, v8
	v_and_b32_e32 v7, 0x10000000, v7
	v_or3_b32 v10, v11, v10, v12
	v_or3_b32 v7, v10, v7, v8
	v_dot4c_i32_i8_e32 v27, v7, v9
	s_waitcnt vmcnt(0)
	v_pk_mul_f16 v6, v6, v24
	v_add_u32_e32 v21, 64, v21
	v_cvt_f32_f16_e32 v7, v6
	v_cvt_f32_i32_e32 v8, v27
	v_cmp_le_u32_e32 vcc, s3, v21
	s_or_b64 s[18:19], vcc, s[18:19]
	v_lshl_add_u64 v[2:3], v[2:3], 0, s[20:21]
	v_mul_f32_e32 v7, v7, v8
	v_fma_mix_f32 v6, v6, s15, v7 op_sel:[1,0,0] op_sel_hi:[1,0,0]
	s_nop 0
	v_add_f32_e32 v20, v20, v6
	s_andn2_b64 exec, exec, s[18:19]
	s_cbranch_execz .LBB51_16
.LBB51_14:                              ; =>This Inner Loop Header: Depth=1
	v_add_u32_e32 v25, s5, v21
	v_mad_i64_i32 v[8:9], s[22:23], v25, 24, s[16:17]
	v_lshl_add_u64 v[12:13], v[8:9], 0, v[4:5]
	v_lshl_add_u64 v[26:27], v[2:3], 0, v[0:1]
	global_load_dwordx2 v[6:7], v[8:9], off
	global_load_dwordx2 v[10:11], v[12:13], off offset:8
	s_nop 0
	global_load_dwordx2 v[12:13], v[26:27], off offset:4
	global_load_dwordx2 v[8:9], v[26:27], off offset:20
	global_load_dword v24, v[2:3], off
	s_and_b64 vcc, exec, s[8:9]
	s_cbranch_vccnz .LBB51_13
; %bb.15:                               ;   in Loop: Header=BB51_14 Depth=1
	v_mad_i64_i32 v[26:27], s[22:23], v25, 24, s[36:37]
	global_load_dwordx2 v[28:29], v[26:27], off
	v_lshl_add_u64 v[26:27], v[26:27], 0, v[4:5]
	global_load_dwordx2 v[26:27], v[26:27], off offset:8
	v_mov_b32_e32 v25, 0
	s_waitcnt vmcnt(1)
	v_ashrrev_i32_e32 v30, v22, v29
	v_lshlrev_b32_e32 v32, 4, v30
	v_lshlrev_b32_e32 v33, 11, v30
	v_ashrrev_i32_e32 v29, v23, v29
	s_waitcnt vmcnt(0)
	v_and_b32_e32 v31, 0xf0f0f0f, v26
	v_lshlrev_b32_e32 v34, 18, v30
	v_lshlrev_b32_e32 v35, 25, v30
	v_lshrrev_b32_e32 v36, 12, v30
	v_lshrrev_b32_e32 v37, 5, v30
	v_lshlrev_b32_e32 v38, 2, v30
	v_and_b32_e32 v32, 16, v32
	v_and_b32_e32 v33, 0x1000, v33
	v_lshrrev_b32_e32 v26, 4, v26
	v_lshlrev_b32_e32 v30, 9, v30
	v_lshlrev_b32_e32 v40, 4, v29
	;; [unrolled: 1-line block ×3, first 2 shown]
	v_and_b32_e32 v34, 0x100000, v34
	v_and_b32_e32 v35, 0x10000000, v35
	;; [unrolled: 1-line block ×5, first 2 shown]
	v_or3_b32 v31, v32, v31, v33
	v_and_b32_e32 v39, 0xf0f0f0f, v27
	v_lshlrev_b32_e32 v42, 18, v29
	v_lshlrev_b32_e32 v43, 25, v29
	v_lshrrev_b32_e32 v44, 12, v29
	v_lshrrev_b32_e32 v45, 5, v29
	v_lshlrev_b32_e32 v46, 2, v29
	v_and_b32_e32 v26, 0xf0f0f0f, v26
	v_and_b32_e32 v30, 0x10000000, v30
	;; [unrolled: 1-line block ×4, first 2 shown]
	v_or3_b32 v32, v37, v36, v38
	v_or3_b32 v31, v31, v34, v35
	v_lshrrev_b32_e32 v27, 4, v27
	v_lshlrev_b32_e32 v29, 9, v29
	v_and_b32_e32 v42, 0x100000, v42
	v_and_b32_e32 v43, 0x10000000, v43
	;; [unrolled: 1-line block ×5, first 2 shown]
	v_or3_b32 v33, v40, v39, v41
	v_or3_b32 v26, v32, v30, v26
	v_dot4c_i32_i8_e32 v25, v31, v12
	v_and_b32_e32 v27, 0xf0f0f0f, v27
	v_and_b32_e32 v29, 0x10000000, v29
	v_or3_b32 v36, v45, v44, v46
	v_or3_b32 v30, v33, v42, v43
	v_dot4c_i32_i8_e32 v25, v26, v8
	v_or3_b32 v27, v36, v29, v27
	v_dot4c_i32_i8_e32 v25, v30, v13
	v_pk_mul_f16 v28, v24, v28
	v_dot4c_i32_i8_e32 v25, v27, v9
	v_cvt_f32_f16_e32 v26, v28
	s_nop 1
	v_cvt_f32_i32_e32 v25, v25
	v_mul_f32_e32 v25, v26, v25
	v_fma_mix_f32 v25, v28, s15, v25 op_sel:[1,0,0] op_sel_hi:[1,0,0]
	s_nop 0
	v_add_f32_e32 v19, v19, v25
	s_branch .LBB51_13
.LBB51_16:
	s_or_b64 exec, exec, s[18:19]
.LBB51_17:
	s_or_b64 exec, exec, s[10:11]
	s_load_dword s3, s[0:1], 0x30
	v_cmp_eq_u32_e64 s[10:11], 0, v18
	v_cmp_ne_u32_e32 vcc, 0, v18
	s_and_saveexec_b64 s[16:17], vcc
	s_cbranch_execz .LBB51_20
; %bb.18:
	v_add_u32_e32 v0, -1, v18
	v_lshl_add_u32 v0, v0, 8, v14
	s_and_b64 vcc, exec, s[8:9]
	ds_write_b32 v0, v20
	s_cbranch_vccnz .LBB51_20
; %bb.19:
	ds_write_b32 v0, v19 offset:256
.LBB51_20:
	s_or_b64 exec, exec, s[16:17]
	s_waitcnt lgkmcnt(0)
	s_barrier
	s_and_saveexec_b64 s[16:17], s[10:11]
	s_cbranch_execz .LBB51_49
; %bb.21:
	ds_read_b32 v0, v14
	s_and_b64 vcc, exec, s[8:9]
	s_cbranch_vccnz .LBB51_23
; %bb.22:
	ds_read_b32 v1, v14 offset:256
	s_waitcnt lgkmcnt(0)
	v_add_f32_e32 v19, v19, v1
.LBB51_23:
	s_waitcnt lgkmcnt(0)
	v_add_f32_e32 v1, v20, v0
	v_mbcnt_lo_u32_b32 v0, -1, 0
	v_mbcnt_hi_u32_b32 v4, -1, v0
	v_and_b32_e32 v0, 64, v4
	v_add_u32_e32 v7, 64, v0
	v_xor_b32_e32 v0, 32, v4
	v_cmp_lt_i32_e32 vcc, v0, v7
	v_xor_b32_e32 v3, 16, v4
	v_xor_b32_e32 v5, 8, v4
	v_cndmask_b32_e32 v0, v4, v0, vcc
	v_lshlrev_b32_e32 v0, 2, v0
	ds_bpermute_b32 v2, v0, v1
	v_cmp_lt_i32_e32 vcc, v3, v7
	v_xor_b32_e32 v6, 4, v4
	v_xor_b32_e32 v8, 2, v4
	;; [unrolled: 1-line block ×3, first 2 shown]
	s_waitcnt lgkmcnt(0)
	v_add_f32_e32 v2, v1, v2
	v_cndmask_b32_e32 v1, v4, v3, vcc
	v_lshlrev_b32_e32 v1, 2, v1
	ds_bpermute_b32 v3, v1, v2
	v_cmp_lt_i32_e32 vcc, v5, v7
	s_waitcnt lgkmcnt(0)
	v_add_f32_e32 v2, v2, v3
	v_cndmask_b32_e32 v3, v4, v5, vcc
	v_lshlrev_b32_e32 v3, 2, v3
	ds_bpermute_b32 v5, v3, v2
	v_cmp_lt_i32_e32 vcc, v6, v7
	;; [unrolled: 6-line block ×4, first 2 shown]
	s_waitcnt lgkmcnt(0)
	v_add_f32_e32 v2, v2, v8
	v_cndmask_b32_e32 v4, v4, v9, vcc
	v_lshlrev_b32_e32 v7, 2, v4
	ds_bpermute_b32 v4, v7, v2
	s_and_b64 vcc, exec, s[8:9]
	s_cbranch_vccnz .LBB51_25
; %bb.24:
	ds_bpermute_b32 v0, v0, v19
	s_waitcnt lgkmcnt(0)
	v_add_f32_e32 v0, v19, v0
	ds_bpermute_b32 v1, v1, v0
	s_waitcnt lgkmcnt(0)
	v_add_f32_e32 v0, v0, v1
	ds_bpermute_b32 v1, v3, v0
	s_waitcnt lgkmcnt(0)
	v_add_f32_e32 v0, v0, v1
	ds_bpermute_b32 v1, v5, v0
	s_waitcnt lgkmcnt(0)
	v_add_f32_e32 v0, v0, v1
	ds_bpermute_b32 v1, v6, v0
	s_waitcnt lgkmcnt(0)
	v_add_f32_e32 v0, v0, v1
	ds_bpermute_b32 v1, v7, v0
	s_waitcnt lgkmcnt(0)
	v_add_f32_e32 v19, v0, v1
.LBB51_25:
	v_cmp_eq_u32_e32 vcc, 0, v15
	s_and_b64 exec, exec, vcc
	s_cbranch_execz .LBB51_49
; %bb.26:
	s_waitcnt lgkmcnt(0)
	v_add_f32_e32 v0, v2, v4
	s_waitcnt vmcnt(0)
	v_add_f32_e32 v1, v17, v0
	s_and_b64 vcc, exec, s[8:9]
	v_cndmask_b32_e64 v0, v0, v1, s[12:13]
	s_cbranch_vccnz .LBB51_48
; %bb.27:
	v_add_f32_e32 v1, v16, v19
	v_cndmask_b32_e64 v1, v19, v1, s[6:7]
	s_cmp_lt_i32 s3, 2
	s_mov_b64 s[6:7], 0
	s_cbranch_scc1 .LBB51_31
; %bb.28:
	s_cmp_gt_i32 s3, 2
	s_cbranch_scc0 .LBB51_32
; %bb.29:
	s_cmp_eq_u32 s3, 3
	s_cbranch_scc0 .LBB51_33
; %bb.30:
	v_max_f32_e32 v2, v1, v1
	v_min_f32_e32 v4, 0x40e00000, v2
	v_mul_f32_e32 v3, 0xbfd9db23, v4
	s_mov_b32 s5, 0x3fb8aa3b
	v_mul_f32_e32 v2, 0x3fb8aa3b, v3
	v_fma_f32 v5, v3, s5, -v2
	v_rndne_f32_e32 v6, v2
	v_fmamk_f32 v5, v3, 0x32a5705f, v5
	v_sub_f32_e32 v2, v2, v6
	v_add_f32_e32 v2, v2, v5
	v_exp_f32_e32 v5, v2
	v_cvt_i32_f32_e32 v6, v6
	s_mov_b32 s5, 0xc2ce8ed0
	v_max_f32_e32 v2, v0, v0
	v_cmp_ngt_f32_e32 vcc, s5, v3
	v_ldexp_f32 v5, v5, v6
	s_mov_b32 s5, 0x42b17218
	v_min_f32_e32 v2, 0x40e00000, v2
	v_cndmask_b32_e32 v5, 0, v5, vcc
	v_mov_b32_e32 v6, 0x7f800000
	v_cmp_nlt_f32_e32 vcc, s5, v3
	v_max_f32_e32 v2, 0xc0e00000, v2
	s_nop 0
	v_cndmask_b32_e32 v3, v6, v5, vcc
	v_pk_add_f32 v[2:3], v[2:3], 1.0 op_sel_hi:[1,0]
	s_nop 0
	v_div_scale_f32 v5, s[8:9], v3, v3, v4
	v_rcp_f32_e32 v6, v5
	s_mov_b64 s[8:9], 0
	v_fma_f32 v7, -v5, v6, 1.0
	v_fmac_f32_e32 v6, v7, v6
	v_div_scale_f32 v7, vcc, v4, v3, v4
	v_mul_f32_e32 v8, v7, v6
	v_fma_f32 v9, -v5, v8, v7
	v_fmac_f32_e32 v8, v9, v6
	v_fma_f32 v5, -v5, v8, v7
	v_div_fmas_f32 v5, v5, v6, v8
	v_div_fixup_f32 v3, v5, v3, v4
	v_mul_f32_e32 v2, v2, v3
	s_branch .LBB51_34
.LBB51_31:
                                        ; implicit-def: $vgpr2
	s_mov_b64 s[8:9], 0
	s_cbranch_execnz .LBB51_38
	s_branch .LBB51_39
.LBB51_32:
	s_mov_b64 s[10:11], -1
	s_mov_b64 s[8:9], 0
                                        ; implicit-def: $vgpr2
	s_branch .LBB51_35
.LBB51_33:
	s_mov_b64 s[8:9], -1
                                        ; implicit-def: $vgpr2
.LBB51_34:
	s_mov_b64 s[10:11], 0
.LBB51_35:
	s_and_b64 vcc, exec, s[10:11]
	s_cbranch_vccz .LBB51_37
; %bb.36:
	v_mul_f32_e32 v2, 0xbfb8aa3b, v1
	s_mov_b32 s5, 0xbfb8aa3b
	v_rndne_f32_e32 v3, v2
	v_sub_f32_e32 v4, v2, v3
	v_fma_f32 v2, v1, s5, -v2
	v_fmamk_f32 v2, v1, 0xb2a5705f, v2
	v_add_f32_e32 v2, v4, v2
	v_exp_f32_e32 v2, v2
	v_cvt_i32_f32_e32 v3, v3
	s_mov_b32 s5, 0x42ce8ed0
	v_cmp_nlt_f32_e32 vcc, s5, v1
	s_mov_b32 s5, 0xc2b17218
	v_ldexp_f32 v2, v2, v3
	v_cndmask_b32_e32 v2, 0, v2, vcc
	v_mov_b32_e32 v3, 0x7f800000
	v_cmp_ngt_f32_e32 vcc, s5, v1
	s_nop 1
	v_cndmask_b32_e32 v2, v3, v2, vcc
	v_add_f32_e32 v2, 1.0, v2
	v_div_scale_f32 v3, s[10:11], v2, v2, v1
	v_rcp_f32_e32 v4, v3
	s_nop 0
	v_fma_f32 v5, -v3, v4, 1.0
	v_fmac_f32_e32 v4, v5, v4
	v_div_scale_f32 v5, vcc, v1, v2, v1
	v_mul_f32_e32 v6, v5, v4
	v_fma_f32 v7, -v3, v6, v5
	v_fmac_f32_e32 v6, v7, v4
	v_fma_f32 v3, -v3, v6, v5
	v_div_fmas_f32 v3, v3, v4, v6
	v_div_fixup_f32 v2, v3, v2, v1
	v_mul_f32_e32 v2, v0, v2
.LBB51_37:
	s_branch .LBB51_39
.LBB51_38:
	s_cmp_lg_u32 s3, 1
	s_mov_b64 s[6:7], -1
	s_cselect_b64 s[8:9], -1, 0
                                        ; implicit-def: $vgpr2
.LBB51_39:
	s_andn2_b64 vcc, exec, s[8:9]
	s_cbranch_vccz .LBB51_41
; %bb.40:
	s_andn2_b64 vcc, exec, s[6:7]
	s_cbranch_vccz .LBB51_42
	s_branch .LBB51_47
.LBB51_41:
	v_mul_f32_e32 v2, v0, v1
	s_cbranch_execnz .LBB51_47
.LBB51_42:
	v_mul_f32_e32 v3, 0x3d372713, v1
	v_mul_f32_e32 v2, 0x3f4c422a, v1
	v_fma_f32 v3, v1, v3, 1.0
	v_mul_f32_e32 v2, v2, v3
	s_mov_b32 s3, 0x3f200000
	v_cmp_nlt_f32_e64 s[6:7], |v2|, s3
                                        ; implicit-def: $vgpr3
	s_and_saveexec_b64 s[8:9], s[6:7]
	s_xor_b64 s[6:7], exec, s[8:9]
	s_cbranch_execz .LBB51_44
; %bb.43:
	v_add_f32_e64 v3, |v2|, |v2|
	v_mul_f32_e32 v4, 0x3fb8aa3b, v3
	s_mov_b32 s3, 0x3fb8aa3b
	v_rndne_f32_e32 v5, v4
	v_sub_f32_e32 v6, v4, v5
	v_fma_f32 v4, v3, s3, -v4
	v_fmamk_f32 v4, v3, 0x32a5705f, v4
	v_add_f32_e32 v4, v6, v4
	v_exp_f32_e32 v4, v4
	v_cvt_i32_f32_e32 v5, v5
	s_mov_b32 s3, 0xc2ce8ed0
	v_cmp_ngt_f32_e32 vcc, s3, v3
	s_mov_b32 s3, 0x42b17218
	v_ldexp_f32 v4, v4, v5
	v_cndmask_b32_e32 v4, 0, v4, vcc
	v_mov_b32_e32 v5, 0x7f800000
	v_cmp_nlt_f32_e32 vcc, s3, v3
	s_nop 1
	v_cndmask_b32_e32 v3, v5, v4, vcc
	v_add_f32_e32 v3, 1.0, v3
	v_rcp_f32_e32 v3, v3
	s_nop 0
	v_fma_f32 v3, v3, -2.0, 1.0
.LBB51_44:
	s_andn2_saveexec_b64 s[6:7], s[6:7]
; %bb.45:
	v_mul_f32_e32 v3, v2, v2
	v_mov_b32_e32 v4, 0x3ca908c9
	v_fmac_f32_e32 v4, 0xbbbac73d, v3
	v_fmaak_f32 v4, v3, v4, 0xbd5c1c4e
	v_fmaak_f32 v4, v3, v4, 0x3e088382
	;; [unrolled: 1-line block ×3, first 2 shown]
	v_mul_f32_e64 v4, |v2|, v4
	v_fma_f32 v3, v3, v4, |v2|
; %bb.46:
	s_or_b64 exec, exec, s[6:7]
	s_brev_b32 s3, -2
	v_bfi_b32 v2, s3, v3, v2
	v_mul_f32_e32 v1, 0.5, v1
	v_add_f32_e32 v2, 1.0, v2
	v_mul_f32_e32 v1, v1, v2
	v_mul_f32_e32 v2, v0, v1
.LBB51_47:
	v_mov_b32_e32 v0, v2
.LBB51_48:
	s_load_dwordx2 s[0:1], s[0:1], 0x38
	s_mul_i32 s3, s14, s26
	s_mul_i32 s4, s4, s30
	s_add_i32 s2, s3, s2
	s_add_i32 s2, s2, s4
	s_mov_b32 s3, 0
	s_lshl_b64 s[2:3], s[2:3], 2
	s_waitcnt lgkmcnt(0)
	s_add_u32 s0, s0, s2
	s_addc_u32 s1, s1, s3
	global_store_dword v14, v0, s[0:1]
.LBB51_49:
	s_endpgm
	.section	.rodata,"a",@progbits
	.p2align	6, 0x0
	.amdhsa_kernel _ZL13mul_mat_vec_qIL9ggml_type7ELi1ELb1ELb0EEvPKvS2_PKi31ggml_cuda_mm_fusion_args_devicePfj15HIP_vector_typeIjLj3EEjjjS8_jjjS8_jjjj
		.amdhsa_group_segment_fixed_size 512
		.amdhsa_private_segment_fixed_size 0
		.amdhsa_kernarg_size 144
		.amdhsa_user_sgpr_count 2
		.amdhsa_user_sgpr_dispatch_ptr 0
		.amdhsa_user_sgpr_queue_ptr 0
		.amdhsa_user_sgpr_kernarg_segment_ptr 1
		.amdhsa_user_sgpr_dispatch_id 0
		.amdhsa_user_sgpr_kernarg_preload_length 0
		.amdhsa_user_sgpr_kernarg_preload_offset 0
		.amdhsa_user_sgpr_private_segment_size 0
		.amdhsa_uses_dynamic_stack 0
		.amdhsa_enable_private_segment 0
		.amdhsa_system_sgpr_workgroup_id_x 1
		.amdhsa_system_sgpr_workgroup_id_y 1
		.amdhsa_system_sgpr_workgroup_id_z 1
		.amdhsa_system_sgpr_workgroup_info 0
		.amdhsa_system_vgpr_workitem_id 1
		.amdhsa_next_free_vgpr 47
		.amdhsa_next_free_sgpr 44
		.amdhsa_accum_offset 48
		.amdhsa_reserve_vcc 1
		.amdhsa_float_round_mode_32 0
		.amdhsa_float_round_mode_16_64 0
		.amdhsa_float_denorm_mode_32 3
		.amdhsa_float_denorm_mode_16_64 3
		.amdhsa_dx10_clamp 1
		.amdhsa_ieee_mode 1
		.amdhsa_fp16_overflow 0
		.amdhsa_tg_split 0
		.amdhsa_exception_fp_ieee_invalid_op 0
		.amdhsa_exception_fp_denorm_src 0
		.amdhsa_exception_fp_ieee_div_zero 0
		.amdhsa_exception_fp_ieee_overflow 0
		.amdhsa_exception_fp_ieee_underflow 0
		.amdhsa_exception_fp_ieee_inexact 0
		.amdhsa_exception_int_div_zero 0
	.end_amdhsa_kernel
	.section	.text._ZL13mul_mat_vec_qIL9ggml_type7ELi1ELb1ELb0EEvPKvS2_PKi31ggml_cuda_mm_fusion_args_devicePfj15HIP_vector_typeIjLj3EEjjjS8_jjjS8_jjjj,"axG",@progbits,_ZL13mul_mat_vec_qIL9ggml_type7ELi1ELb1ELb0EEvPKvS2_PKi31ggml_cuda_mm_fusion_args_devicePfj15HIP_vector_typeIjLj3EEjjjS8_jjjS8_jjjj,comdat
.Lfunc_end51:
	.size	_ZL13mul_mat_vec_qIL9ggml_type7ELi1ELb1ELb0EEvPKvS2_PKi31ggml_cuda_mm_fusion_args_devicePfj15HIP_vector_typeIjLj3EEjjjS8_jjjS8_jjjj, .Lfunc_end51-_ZL13mul_mat_vec_qIL9ggml_type7ELi1ELb1ELb0EEvPKvS2_PKi31ggml_cuda_mm_fusion_args_devicePfj15HIP_vector_typeIjLj3EEjjjS8_jjjS8_jjjj
                                        ; -- End function
	.section	.AMDGPU.csdata,"",@progbits
; Kernel info:
; codeLenInByte = 2900
; NumSgprs: 50
; NumVgprs: 47
; NumAgprs: 0
; TotalNumVgprs: 47
; ScratchSize: 0
; MemoryBound: 0
; FloatMode: 240
; IeeeMode: 1
; LDSByteSize: 512 bytes/workgroup (compile time only)
; SGPRBlocks: 6
; VGPRBlocks: 5
; NumSGPRsForWavesPerEU: 50
; NumVGPRsForWavesPerEU: 47
; AccumOffset: 48
; Occupancy: 8
; WaveLimiterHint : 0
; COMPUTE_PGM_RSRC2:SCRATCH_EN: 0
; COMPUTE_PGM_RSRC2:USER_SGPR: 2
; COMPUTE_PGM_RSRC2:TRAP_HANDLER: 0
; COMPUTE_PGM_RSRC2:TGID_X_EN: 1
; COMPUTE_PGM_RSRC2:TGID_Y_EN: 1
; COMPUTE_PGM_RSRC2:TGID_Z_EN: 1
; COMPUTE_PGM_RSRC2:TIDIG_COMP_CNT: 1
; COMPUTE_PGM_RSRC3_GFX90A:ACCUM_OFFSET: 11
; COMPUTE_PGM_RSRC3_GFX90A:TG_SPLIT: 0
	.section	.text._ZL13mul_mat_vec_qIL9ggml_type7ELi1ELb0ELb0EEvPKvS2_PKi31ggml_cuda_mm_fusion_args_devicePfj15HIP_vector_typeIjLj3EEjjjS8_jjjS8_jjjj,"axG",@progbits,_ZL13mul_mat_vec_qIL9ggml_type7ELi1ELb0ELb0EEvPKvS2_PKi31ggml_cuda_mm_fusion_args_devicePfj15HIP_vector_typeIjLj3EEjjjS8_jjjS8_jjjj,comdat
	.globl	_ZL13mul_mat_vec_qIL9ggml_type7ELi1ELb0ELb0EEvPKvS2_PKi31ggml_cuda_mm_fusion_args_devicePfj15HIP_vector_typeIjLj3EEjjjS8_jjjS8_jjjj ; -- Begin function _ZL13mul_mat_vec_qIL9ggml_type7ELi1ELb0ELb0EEvPKvS2_PKi31ggml_cuda_mm_fusion_args_devicePfj15HIP_vector_typeIjLj3EEjjjS8_jjjS8_jjjj
	.p2align	8
	.type	_ZL13mul_mat_vec_qIL9ggml_type7ELi1ELb0ELb0EEvPKvS2_PKi31ggml_cuda_mm_fusion_args_devicePfj15HIP_vector_typeIjLj3EEjjjS8_jjjS8_jjjj,@function
_ZL13mul_mat_vec_qIL9ggml_type7ELi1ELb0ELb0EEvPKvS2_PKi31ggml_cuda_mm_fusion_args_devicePfj15HIP_vector_typeIjLj3EEjjjS8_jjjS8_jjjj: ; @_ZL13mul_mat_vec_qIL9ggml_type7ELi1ELb0ELb0EEvPKvS2_PKi31ggml_cuda_mm_fusion_args_devicePfj15HIP_vector_typeIjLj3EEjjjS8_jjjS8_jjjj
; %bb.0:
	s_load_dwordx2 s[8:9], s[0:1], 0x10
	s_load_dwordx4 s[16:19], s[0:1], 0x40
	s_mov_b32 s20, s3
	s_mov_b64 s[12:13], 0
	s_waitcnt lgkmcnt(0)
	s_cmp_lg_u64 s[8:9], 0
	s_cselect_b64 s[6:7], -1, 0
	s_cmp_eq_u64 s[8:9], 0
	s_cbranch_scc1 .LBB52_5
; %bb.1:
	s_mov_b32 s21, 0
	s_lshl_b64 s[10:11], s[20:21], 2
	s_add_u32 s8, s8, s10
	s_addc_u32 s9, s9, s11
	s_load_dword s5, s[8:9], 0x0
	s_nop 0
	s_load_dwordx4 s[8:11], s[0:1], 0x68
	s_load_dword s21, s[0:1], 0x50
	s_andn2_b64 vcc, exec, s[12:13]
	s_cbranch_vccnz .LBB52_3
.LBB52_2:
	s_load_dwordx2 s[12:13], s[0:1], 0x5c
	s_waitcnt lgkmcnt(0)
	s_mul_hi_u32 s3, s12, s20
	s_add_i32 s3, s20, s3
	s_lshr_b32 s5, s3, s13
.LBB52_3:
	s_load_dword s22, s[0:1], 0x78
	s_andn2_b64 vcc, exec, s[6:7]
	s_cbranch_vccnz .LBB52_6
; %bb.4:
	s_mul_hi_u32 s3, s17, s20
	s_add_i32 s3, s20, s3
	s_lshr_b32 s3, s3, s18
	s_mul_i32 s3, s3, s19
	s_sub_i32 s23, s20, s3
	s_branch .LBB52_7
.LBB52_5:
                                        ; implicit-def: $sgpr5
	s_load_dwordx4 s[8:11], s[0:1], 0x68
	s_load_dword s21, s[0:1], 0x50
	s_branch .LBB52_2
.LBB52_6:
	s_mov_b32 s23, s20
.LBB52_7:
	s_load_dwordx4 s[12:15], s[0:1], 0x80
	v_bfe_u32 v7, v0, 10, 10
	v_lshlrev_b32_e32 v1, 6, v7
	v_and_b32_e32 v6, 0x3ff, v0
	v_add_u16_e32 v0, v1, v6
	s_lshr_b32 s3, s16, 5
	v_lshrrev_b16_e32 v8, 1, v0
	v_cmp_gt_u32_e32 vcc, s3, v8
	v_mov_b32_e32 v9, 0
	s_and_saveexec_b64 s[6:7], vcc
	s_cbranch_execz .LBB52_11
; %bb.8:
	s_waitcnt lgkmcnt(0)
	s_mul_i32 s5, s5, s8
	s_mul_hi_u32 s8, s11, s4
	s_load_dwordx4 s[16:19], s[0:1], 0x0
	s_add_i32 s8, s4, s8
	s_lshr_b32 s8, s8, s22
	s_mul_i32 s8, s8, s12
	s_mul_i32 s13, s4, s13
	;; [unrolled: 1-line block ×3, first 2 shown]
	s_add_i32 s5, s8, s5
	s_add_i32 s5, s5, s15
	s_mul_hi_u32 s8, s13, 36
	s_mul_i32 s13, s13, 36
	s_mul_i32 s9, s23, s9
	s_waitcnt lgkmcnt(0)
	s_add_u32 s12, s18, s13
	s_mul_hi_u32 s11, s9, 36
	s_mul_i32 s9, s9, 36
	s_addc_u32 s13, s19, s8
	v_add_u32_e32 v2, v1, v6
	v_lshlrev_b32_e32 v0, 1, v6
	s_add_u32 s8, s12, s9
	v_and_b32_e32 v4, 2, v0
	v_lshrrev_b32_e32 v2, 1, v2
	s_addc_u32 s9, s13, s11
	v_mov_b32_e32 v1, 0
	v_lshlrev_b32_e32 v10, 2, v4
	v_and_b32_e32 v0, 1, v6
	v_mad_u64_u32 v[2:3], s[8:9], v2, 36, s[8:9]
	v_or_b32_e32 v11, 4, v10
	v_lshlrev_b32_e32 v0, 3, v0
	s_mov_b64 s[8:9], 0
	v_lshlrev_b32_e32 v4, 2, v4
	v_mov_b32_e32 v5, v1
	s_mov_b32 s11, 0.5
	s_mov_b64 s[12:13], 0x900
	v_mov_b32_e32 v9, v1
.LBB52_9:                               ; =>This Inner Loop Header: Depth=1
	v_add_u32_e32 v14, s5, v8
	v_lshl_add_u64 v[12:13], v[2:3], 0, v[0:1]
	v_mad_i64_i32 v[14:15], s[18:19], v14, 24, s[16:17]
	global_load_dwordx2 v[16:17], v[12:13], off offset:4
	global_load_dwordx2 v[18:19], v[12:13], off offset:20
	v_lshl_add_u64 v[12:13], v[14:15], 0, v[4:5]
	global_load_dwordx2 v[20:21], v[14:15], off
	global_load_dwordx2 v[22:23], v[12:13], off offset:8
	global_load_dword v24, v[2:3], off
	v_mov_b32_e32 v12, 0
	v_add_u32_e32 v8, 64, v8
	v_cmp_le_u32_e32 vcc, s3, v8
	v_lshl_add_u64 v[2:3], v[2:3], 0, s[12:13]
	s_or_b64 s[8:9], vcc, s[8:9]
	s_waitcnt vmcnt(2)
	v_ashrrev_i32_e32 v13, v10, v21
	v_ashrrev_i32_e32 v14, v11, v21
	s_waitcnt vmcnt(0)
	v_pk_mul_f16 v15, v20, v24
	v_lshlrev_b32_e32 v21, 4, v13
	v_lshlrev_b32_e32 v24, 11, v13
	v_and_b32_e32 v20, 0xf0f0f0f, v22
	v_lshlrev_b32_e32 v25, 18, v13
	v_lshlrev_b32_e32 v26, 25, v13
	v_lshrrev_b32_e32 v27, 12, v13
	v_lshrrev_b32_e32 v28, 5, v13
	v_lshlrev_b32_e32 v29, 2, v13
	v_and_b32_e32 v21, 16, v21
	v_and_b32_e32 v24, 0x1000, v24
	v_lshrrev_b32_e32 v22, 4, v22
	v_lshlrev_b32_e32 v13, 9, v13
	v_lshlrev_b32_e32 v31, 4, v14
	;; [unrolled: 1-line block ×4, first 2 shown]
	v_and_b32_e32 v25, 0x100000, v25
	v_and_b32_e32 v26, 0x10000000, v26
	;; [unrolled: 1-line block ×5, first 2 shown]
	v_or3_b32 v20, v21, v20, v24
	v_lshlrev_b32_e32 v34, 25, v14
	v_lshrrev_b32_e32 v35, 12, v14
	v_lshrrev_b32_e32 v36, 5, v14
	v_lshlrev_b32_e32 v37, 2, v14
	v_and_b32_e32 v22, 0xf0f0f0f, v22
	v_and_b32_e32 v13, 0x10000000, v13
	;; [unrolled: 1-line block ×5, first 2 shown]
	v_or3_b32 v21, v28, v27, v29
	v_or3_b32 v20, v20, v25, v26
	v_and_b32_e32 v30, 0xf0f0f0f, v23
	v_lshrrev_b32_e32 v23, 4, v23
	v_lshlrev_b32_e32 v14, 9, v14
	v_and_b32_e32 v34, 0x10000000, v34
	v_and_b32_e32 v35, 16, v35
	;; [unrolled: 1-line block ×4, first 2 shown]
	v_or3_b32 v24, v32, v31, v33
	v_or3_b32 v13, v21, v13, v22
	v_dot4c_i32_i8_e32 v12, v20, v16
	v_and_b32_e32 v23, 0xf0f0f0f, v23
	v_and_b32_e32 v14, 0x10000000, v14
	v_or3_b32 v27, v36, v35, v37
	v_or3_b32 v21, v24, v34, v30
	v_dot4c_i32_i8_e32 v12, v13, v18
	v_or3_b32 v14, v27, v14, v23
	v_dot4c_i32_i8_e32 v12, v21, v17
	v_dot4c_i32_i8_e32 v12, v14, v19
	v_cvt_f32_f16_e32 v38, v15
	s_nop 1
	v_cvt_f32_i32_e32 v12, v12
	v_mul_f32_e32 v12, v38, v12
	v_fma_mix_f32 v12, v15, s11, v12 op_sel:[1,0,0] op_sel_hi:[1,0,0]
	s_nop 0
	v_add_f32_e32 v9, v9, v12
	s_andn2_b64 exec, exec, s[8:9]
	s_cbranch_execnz .LBB52_9
; %bb.10:
	s_or_b64 exec, exec, s[8:9]
.LBB52_11:
	s_or_b64 exec, exec, s[6:7]
	v_cmp_eq_u32_e32 vcc, 0, v7
	v_cmp_ne_u32_e64 s[6:7], 0, v7
	v_lshlrev_b32_e32 v0, 2, v6
	s_waitcnt lgkmcnt(0)
	s_and_saveexec_b64 s[8:9], s[6:7]
	s_cbranch_execz .LBB52_13
; %bb.12:
	v_lshlrev_b32_e32 v1, 8, v7
	s_movk_i32 s3, 0xff00
	v_add3_u32 v1, v1, v0, s3
	ds_write_b32 v1, v9
.LBB52_13:
	s_or_b64 exec, exec, s[8:9]
	s_waitcnt lgkmcnt(0)
	s_barrier
	s_and_saveexec_b64 s[6:7], vcc
	s_cbranch_execz .LBB52_16
; %bb.14:
	v_mbcnt_lo_u32_b32 v1, -1, 0
	ds_read_b32 v0, v0
	v_mbcnt_hi_u32_b32 v1, -1, v1
	v_and_b32_e32 v2, 64, v1
	v_add_u32_e32 v2, 64, v2
	v_xor_b32_e32 v3, 32, v1
	v_cmp_lt_i32_e32 vcc, v3, v2
	s_waitcnt lgkmcnt(0)
	v_add_f32_e32 v0, v9, v0
	s_mov_b32 s3, 0
	v_cndmask_b32_e32 v3, v1, v3, vcc
	v_lshlrev_b32_e32 v3, 2, v3
	ds_bpermute_b32 v3, v3, v0
	s_waitcnt lgkmcnt(0)
	v_add_f32_e32 v0, v0, v3
	v_xor_b32_e32 v3, 16, v1
	v_cmp_lt_i32_e32 vcc, v3, v2
	s_nop 1
	v_cndmask_b32_e32 v3, v1, v3, vcc
	v_lshlrev_b32_e32 v3, 2, v3
	ds_bpermute_b32 v3, v3, v0
	s_waitcnt lgkmcnt(0)
	v_add_f32_e32 v0, v0, v3
	v_xor_b32_e32 v3, 8, v1
	v_cmp_lt_i32_e32 vcc, v3, v2
	s_nop 1
	;; [unrolled: 8-line block ×5, first 2 shown]
	v_cndmask_b32_e32 v1, v1, v3, vcc
	v_lshlrev_b32_e32 v1, 2, v1
	ds_bpermute_b32 v1, v1, v0
	v_cmp_eq_u32_e32 vcc, 0, v6
	s_and_b64 exec, exec, vcc
	s_cbranch_execz .LBB52_16
; %bb.15:
	s_load_dwordx2 s[0:1], s[0:1], 0x38
	s_mul_i32 s5, s20, s10
	s_mul_i32 s4, s4, s14
	s_add_i32 s2, s5, s2
	s_add_i32 s2, s2, s4
	s_lshl_b64 s[2:3], s[2:3], 2
	s_waitcnt lgkmcnt(0)
	s_add_u32 s0, s0, s2
	s_addc_u32 s1, s1, s3
	v_mov_b32_e32 v2, 0
	v_add_f32_e32 v0, v0, v1
	global_store_dword v2, v0, s[0:1]
.LBB52_16:
	s_endpgm
	.section	.rodata,"a",@progbits
	.p2align	6, 0x0
	.amdhsa_kernel _ZL13mul_mat_vec_qIL9ggml_type7ELi1ELb0ELb0EEvPKvS2_PKi31ggml_cuda_mm_fusion_args_devicePfj15HIP_vector_typeIjLj3EEjjjS8_jjjS8_jjjj
		.amdhsa_group_segment_fixed_size 256
		.amdhsa_private_segment_fixed_size 0
		.amdhsa_kernarg_size 144
		.amdhsa_user_sgpr_count 2
		.amdhsa_user_sgpr_dispatch_ptr 0
		.amdhsa_user_sgpr_queue_ptr 0
		.amdhsa_user_sgpr_kernarg_segment_ptr 1
		.amdhsa_user_sgpr_dispatch_id 0
		.amdhsa_user_sgpr_kernarg_preload_length 0
		.amdhsa_user_sgpr_kernarg_preload_offset 0
		.amdhsa_user_sgpr_private_segment_size 0
		.amdhsa_uses_dynamic_stack 0
		.amdhsa_enable_private_segment 0
		.amdhsa_system_sgpr_workgroup_id_x 1
		.amdhsa_system_sgpr_workgroup_id_y 1
		.amdhsa_system_sgpr_workgroup_id_z 1
		.amdhsa_system_sgpr_workgroup_info 0
		.amdhsa_system_vgpr_workitem_id 1
		.amdhsa_next_free_vgpr 39
		.amdhsa_next_free_sgpr 24
		.amdhsa_accum_offset 40
		.amdhsa_reserve_vcc 1
		.amdhsa_float_round_mode_32 0
		.amdhsa_float_round_mode_16_64 0
		.amdhsa_float_denorm_mode_32 3
		.amdhsa_float_denorm_mode_16_64 3
		.amdhsa_dx10_clamp 1
		.amdhsa_ieee_mode 1
		.amdhsa_fp16_overflow 0
		.amdhsa_tg_split 0
		.amdhsa_exception_fp_ieee_invalid_op 0
		.amdhsa_exception_fp_denorm_src 0
		.amdhsa_exception_fp_ieee_div_zero 0
		.amdhsa_exception_fp_ieee_overflow 0
		.amdhsa_exception_fp_ieee_underflow 0
		.amdhsa_exception_fp_ieee_inexact 0
		.amdhsa_exception_int_div_zero 0
	.end_amdhsa_kernel
	.section	.text._ZL13mul_mat_vec_qIL9ggml_type7ELi1ELb0ELb0EEvPKvS2_PKi31ggml_cuda_mm_fusion_args_devicePfj15HIP_vector_typeIjLj3EEjjjS8_jjjS8_jjjj,"axG",@progbits,_ZL13mul_mat_vec_qIL9ggml_type7ELi1ELb0ELb0EEvPKvS2_PKi31ggml_cuda_mm_fusion_args_devicePfj15HIP_vector_typeIjLj3EEjjjS8_jjjS8_jjjj,comdat
.Lfunc_end52:
	.size	_ZL13mul_mat_vec_qIL9ggml_type7ELi1ELb0ELb0EEvPKvS2_PKi31ggml_cuda_mm_fusion_args_devicePfj15HIP_vector_typeIjLj3EEjjjS8_jjjS8_jjjj, .Lfunc_end52-_ZL13mul_mat_vec_qIL9ggml_type7ELi1ELb0ELb0EEvPKvS2_PKi31ggml_cuda_mm_fusion_args_devicePfj15HIP_vector_typeIjLj3EEjjjS8_jjjS8_jjjj
                                        ; -- End function
	.section	.AMDGPU.csdata,"",@progbits
; Kernel info:
; codeLenInByte = 1252
; NumSgprs: 30
; NumVgprs: 39
; NumAgprs: 0
; TotalNumVgprs: 39
; ScratchSize: 0
; MemoryBound: 0
; FloatMode: 240
; IeeeMode: 1
; LDSByteSize: 256 bytes/workgroup (compile time only)
; SGPRBlocks: 3
; VGPRBlocks: 4
; NumSGPRsForWavesPerEU: 30
; NumVGPRsForWavesPerEU: 39
; AccumOffset: 40
; Occupancy: 8
; WaveLimiterHint : 0
; COMPUTE_PGM_RSRC2:SCRATCH_EN: 0
; COMPUTE_PGM_RSRC2:USER_SGPR: 2
; COMPUTE_PGM_RSRC2:TRAP_HANDLER: 0
; COMPUTE_PGM_RSRC2:TGID_X_EN: 1
; COMPUTE_PGM_RSRC2:TGID_Y_EN: 1
; COMPUTE_PGM_RSRC2:TGID_Z_EN: 1
; COMPUTE_PGM_RSRC2:TIDIG_COMP_CNT: 1
; COMPUTE_PGM_RSRC3_GFX90A:ACCUM_OFFSET: 9
; COMPUTE_PGM_RSRC3_GFX90A:TG_SPLIT: 0
	.section	.text._ZL13mul_mat_vec_qIL9ggml_type7ELi2ELb0ELb0EEvPKvS2_PKi31ggml_cuda_mm_fusion_args_devicePfj15HIP_vector_typeIjLj3EEjjjS8_jjjS8_jjjj,"axG",@progbits,_ZL13mul_mat_vec_qIL9ggml_type7ELi2ELb0ELb0EEvPKvS2_PKi31ggml_cuda_mm_fusion_args_devicePfj15HIP_vector_typeIjLj3EEjjjS8_jjjS8_jjjj,comdat
	.globl	_ZL13mul_mat_vec_qIL9ggml_type7ELi2ELb0ELb0EEvPKvS2_PKi31ggml_cuda_mm_fusion_args_devicePfj15HIP_vector_typeIjLj3EEjjjS8_jjjS8_jjjj ; -- Begin function _ZL13mul_mat_vec_qIL9ggml_type7ELi2ELb0ELb0EEvPKvS2_PKi31ggml_cuda_mm_fusion_args_devicePfj15HIP_vector_typeIjLj3EEjjjS8_jjjS8_jjjj
	.p2align	8
	.type	_ZL13mul_mat_vec_qIL9ggml_type7ELi2ELb0ELb0EEvPKvS2_PKi31ggml_cuda_mm_fusion_args_devicePfj15HIP_vector_typeIjLj3EEjjjS8_jjjS8_jjjj,@function
_ZL13mul_mat_vec_qIL9ggml_type7ELi2ELb0ELb0EEvPKvS2_PKi31ggml_cuda_mm_fusion_args_devicePfj15HIP_vector_typeIjLj3EEjjjS8_jjjS8_jjjj: ; @_ZL13mul_mat_vec_qIL9ggml_type7ELi2ELb0ELb0EEvPKvS2_PKi31ggml_cuda_mm_fusion_args_devicePfj15HIP_vector_typeIjLj3EEjjjS8_jjjS8_jjjj
; %bb.0:
	s_load_dwordx2 s[20:21], s[0:1], 0x4
	s_load_dword s7, s[2:3], 0x40
	s_load_dwordx4 s[8:11], s[2:3], 0x50
	s_load_dword s25, s[2:3], 0x60
	s_load_dwordx4 s[12:15], s[2:3], 0x68
	;; [unrolled: 2-line block ×3, first 2 shown]
	s_waitcnt lgkmcnt(0)
	s_lshr_b32 s0, s20, 16
	v_bfe_u32 v12, v0, 10, 10
	v_and_b32_e32 v10, 0x3ff, v0
	s_mul_i32 s0, s0, s21
	v_mul_u32_u24_e32 v1, s21, v12
	v_lshlrev_b32_e32 v5, 6, v12
	v_mad_u32_u24 v1, s0, v10, v1
	v_bfe_u32 v0, v0, 20, 10
	v_add_u16_e32 v6, v5, v10
	v_add_lshl_u32 v4, v1, v0, 4
	s_lshr_b32 s7, s7, 5
	v_mov_b32_e32 v0, 0
	v_lshrrev_b16_e32 v13, 1, v6
	v_add_u32_e32 v11, 0x400, v4
	s_lshl_b32 s4, s4, 1
	v_mov_b32_e32 v1, v0
	v_mov_b32_e32 v2, v0
	;; [unrolled: 1-line block ×3, first 2 shown]
	v_cmp_gt_u32_e32 vcc, s7, v13
	ds_write_b128 v4, v[0:3] offset:1024
	s_and_saveexec_b64 s[0:1], vcc
	s_cbranch_execz .LBB53_4
; %bb.1:
	s_load_dwordx4 s[20:23], s[2:3], 0x0
	s_mul_i32 s17, s6, s17
	s_mul_hi_u32 s19, s17, 36
	s_mul_i32 s17, s17, 36
	s_mul_i32 s13, s5, s13
	s_waitcnt lgkmcnt(0)
	s_add_u32 s17, s22, s17
	s_addc_u32 s19, s23, s19
	s_mul_hi_u32 s23, s13, 36
	s_mul_i32 s13, s13, 36
	s_add_u32 s22, s17, s13
	s_mul_hi_u32 s11, s11, s5
	s_addc_u32 s23, s19, s23
	s_add_i32 s11, s5, s11
	s_lshr_b32 s11, s11, s25
	s_mul_i32 s11, s11, s12
	s_mul_hi_u32 s12, s15, s6
	s_add_i32 s12, s6, s12
	v_and_b32_e32 v1, 1, v10
	s_lshr_b32 s12, s12, s24
	v_lshlrev_b32_e32 v4, 3, v1
	v_lshrrev_b16_e32 v1, 1, v6
	s_mul_i32 s15, s12, s16
	v_lshlrev_b32_e32 v0, 1, v10
	v_mad_u64_u32 v[6:7], s[12:13], v1, 36, s[22:23]
	v_and_b32_e32 v0, 2, v0
	s_add_i32 s12, s4, 1
	v_mov_b32_e32 v5, 0
	v_lshlrev_b32_e32 v14, 2, v0
	s_mul_i32 s16, s4, s8
	s_add_i32 s11, s15, s11
	s_mul_i32 s8, s8, s12
	v_or_b32_e32 v15, 4, v14
	s_add_i32 s8, s11, s8
	s_add_i32 s11, s11, s16
	s_mov_b64 s[12:13], 0
	v_lshlrev_b32_e32 v8, 2, v0
	v_mov_b32_e32 v9, v5
	s_mov_b64 s[16:17], 0x900
	v_mov_b32_e32 v2, v5
	v_mov_b32_e32 v3, v5
	;; [unrolled: 1-line block ×4, first 2 shown]
.LBB53_2:                               ; =>This Inner Loop Header: Depth=1
	v_add_u32_e32 v22, s11, v13
	v_lshl_add_u64 v[16:17], v[6:7], 0, v[4:5]
	global_load_dword v42, v[6:7], off
	global_load_dwordx2 v[18:19], v[16:17], off offset:4
	global_load_dwordx2 v[20:21], v[16:17], off offset:20
	v_mad_i64_i32 v[16:17], s[24:25], v22, 24, s[20:21]
	v_lshl_add_u64 v[26:27], v[16:17], 0, v[8:9]
	global_load_dwordx2 v[16:17], v[16:17], off
	v_add_u32_e32 v23, s8, v13
	v_add_u32_e32 v24, s9, v13
	v_mad_i64_i32 v[22:23], s[24:25], v23, 24, s[20:21]
	v_mad_u64_u32 v[24:25], s[24:25], v24, 36, s[22:23]
	v_lshl_add_u64 v[28:29], v[22:23], 0, v[8:9]
	v_lshl_add_u64 v[30:31], v[24:25], 0, v[8:9]
	global_load_dwordx2 v[32:33], v[26:27], off offset:8
	global_load_dwordx2 v[34:35], v[22:23], off
	global_load_dwordx2 v[36:37], v[30:31], off offset:20
	global_load_dword v47, v[24:25], off
	global_load_dwordx2 v[38:39], v[28:29], off offset:8
	global_load_dwordx2 v[40:41], v[30:31], off offset:4
	v_mov_b32_e32 v43, 0
	v_mov_b32_e32 v44, 0
	;; [unrolled: 1-line block ×4, first 2 shown]
	v_add_u32_e32 v13, 64, v13
	v_cmp_le_u32_e32 vcc, s7, v13
	v_lshl_add_u64 v[6:7], v[6:7], 0, s[16:17]
	s_or_b64 s[12:13], vcc, s[12:13]
	s_waitcnt vmcnt(6)
	v_ashrrev_i32_e32 v22, v14, v17
	v_lshlrev_b32_e32 v25, 4, v22
	v_lshlrev_b32_e32 v26, 11, v22
	v_ashrrev_i32_e32 v17, v15, v17
	v_pk_mul_f16 v23, v16, v42
	s_waitcnt vmcnt(5)
	v_and_b32_e32 v24, 0xf0f0f0f, v32
	v_lshlrev_b32_e32 v27, 18, v22
	v_lshlrev_b32_e32 v28, 25, v22
	v_lshrrev_b32_e32 v29, 4, v32
	v_lshrrev_b32_e32 v30, 12, v22
	;; [unrolled: 1-line block ×3, first 2 shown]
	v_lshlrev_b32_e32 v32, 2, v22
	v_lshlrev_b32_e32 v48, 9, v22
	s_waitcnt vmcnt(2)
	v_pk_mul_f16 v58, v16, v47
	v_and_b32_e32 v16, 16, v25
	v_and_b32_e32 v22, 0x1000, v26
	v_lshlrev_b32_e32 v50, 4, v17
	v_lshlrev_b32_e32 v51, 11, v17
	;; [unrolled: 1-line block ×4, first 2 shown]
	v_lshrrev_b32_e32 v54, 12, v17
	v_lshrrev_b32_e32 v55, 5, v17
	v_lshlrev_b32_e32 v56, 2, v17
	v_ashrrev_i32_e32 v57, v14, v35
	v_or3_b32 v24, v16, v24, v22
	v_cvt_f32_f16_e32 v16, v23
	v_cvt_f32_f16_sdwa v22, v23 dst_sel:DWORD dst_unused:UNUSED_PAD src0_sel:WORD_1
	v_and_b32_e32 v23, 0x100000, v27
	v_and_b32_e32 v25, 0x10000000, v28
	;; [unrolled: 1-line block ×7, first 2 shown]
	v_lshrrev_b32_e32 v33, 4, v33
	v_lshlrev_b32_e32 v17, 9, v17
	v_and_b32_e32 v30, 0x10000000, v48
	v_and_b32_e32 v31, 16, v50
	;; [unrolled: 1-line block ×8, first 2 shown]
	v_or3_b32 v27, v28, v27, v29
	v_lshlrev_b32_e32 v28, 4, v57
	v_lshlrev_b32_e32 v29, 11, v57
	v_ashrrev_i32_e32 v35, v15, v35
	s_waitcnt vmcnt(1)
	v_and_b32_e32 v59, 0xf0f0f0f, v38
	v_pk_mul_f16 v42, v34, v42
	v_pk_mul_f16 v34, v34, v47
	v_and_b32_e32 v33, 0xf0f0f0f, v33
	v_and_b32_e32 v17, 0x10000000, v17
	v_or3_b32 v31, v32, v31, v48
	v_lshlrev_b32_e32 v32, 18, v57
	v_lshlrev_b32_e32 v48, 25, v57
	v_or3_b32 v51, v52, v51, v53
	v_lshrrev_b32_e32 v52, 12, v57
	v_lshrrev_b32_e32 v53, 5, v57
	v_or3_b32 v54, v24, v23, v25
	v_lshlrev_b32_e32 v55, 2, v57
	v_and_b32_e32 v24, 16, v28
	v_and_b32_e32 v25, 0x1000, v29
	v_lshrrev_b32_e32 v38, 4, v38
	v_lshlrev_b32_e32 v56, 9, v57
	v_lshlrev_b32_e32 v57, 4, v35
	v_or3_b32 v30, v27, v30, v26
	v_lshlrev_b32_e32 v60, 11, v35
	v_lshlrev_b32_e32 v61, 18, v35
	v_or3_b32 v33, v51, v17, v33
	v_cvt_f32_f16_e32 v17, v42
	v_cvt_f32_f16_sdwa v23, v42 dst_sel:DWORD dst_unused:UNUSED_PAD src0_sel:WORD_1
	v_or3_b32 v28, v24, v59, v25
	v_cvt_f32_f16_e32 v25, v34
	v_cvt_f32_f16_sdwa v27, v34 dst_sel:DWORD dst_unused:UNUSED_PAD src0_sel:WORD_1
	v_and_b32_e32 v29, 0x100000, v32
	v_and_b32_e32 v32, 0x10000000, v48
	;; [unrolled: 1-line block ×6, first 2 shown]
	v_or3_b32 v31, v31, v50, v49
	v_lshlrev_b32_e32 v49, 25, v35
	v_lshrrev_b32_e32 v50, 12, v35
	v_lshrrev_b32_e32 v51, 5, v35
	v_lshlrev_b32_e32 v62, 2, v35
	v_and_b32_e32 v52, 0x10000000, v56
	v_and_b32_e32 v53, 16, v57
	;; [unrolled: 1-line block ×4, first 2 shown]
	v_or3_b32 v34, v42, v34, v48
	v_or3_b32 v28, v28, v29, v32
	v_and_b32_e32 v47, 0xf0f0f0f, v39
	v_lshrrev_b32_e32 v39, 4, v39
	v_lshlrev_b32_e32 v35, 9, v35
	v_and_b32_e32 v49, 0x10000000, v49
	v_and_b32_e32 v50, 16, v50
	;; [unrolled: 1-line block ×4, first 2 shown]
	v_or3_b32 v42, v55, v53, v56
	v_dot4c_i32_i8_e32 v43, v54, v18
	v_or3_b32 v29, v34, v52, v38
	s_waitcnt vmcnt(0)
	v_dot4c_i32_i8_e32 v45, v54, v40
	v_dot4c_i32_i8_e32 v44, v28, v18
	;; [unrolled: 1-line block ×3, first 2 shown]
	v_and_b32_e32 v39, 0xf0f0f0f, v39
	v_and_b32_e32 v35, 0x10000000, v35
	v_or3_b32 v48, v51, v50, v57
	v_or3_b32 v32, v42, v49, v47
	v_dot4c_i32_i8_e32 v43, v30, v20
	v_dot4c_i32_i8_e32 v45, v30, v36
	;; [unrolled: 1-line block ×4, first 2 shown]
	v_or3_b32 v34, v48, v35, v39
	v_dot4c_i32_i8_e32 v43, v31, v19
	v_dot4c_i32_i8_e32 v45, v31, v41
	;; [unrolled: 1-line block ×8, first 2 shown]
	v_cvt_f32_f16_e32 v24, v58
	v_cvt_f32_i32_e32 v18, v43
	v_cvt_f32_i32_e32 v20, v45
	;; [unrolled: 1-line block ×4, first 2 shown]
	v_cvt_f32_f16_sdwa v26, v58 dst_sel:DWORD dst_unused:UNUSED_PAD src0_sel:WORD_1
	v_pk_mul_f32 v[16:17], v[16:17], v[18:19]
	v_pk_mul_f32 v[18:19], v[24:25], v[20:21]
	v_pk_fma_f32 v[16:17], v[22:23], 0.5, v[16:17] op_sel_hi:[1,0,1]
	v_pk_fma_f32 v[18:19], v[26:27], 0.5, v[18:19] op_sel_hi:[1,0,1]
	v_pk_add_f32 v[2:3], v[2:3], v[16:17]
	v_pk_add_f32 v[0:1], v[0:1], v[18:19]
	s_andn2_b64 exec, exec, s[12:13]
	s_cbranch_execnz .LBB53_2
; %bb.3:
	s_or_b64 exec, exec, s[12:13]
	v_mov_b32_e32 v4, v0
	v_mov_b32_e32 v5, v1
	ds_write_b128 v11, v[2:5]
.LBB53_4:
	s_or_b64 exec, exec, s[0:1]
	v_cmp_eq_u32_e32 vcc, 0, v12
	v_cmp_ne_u32_e64 s[0:1], 0, v12
	v_lshlrev_b32_e32 v4, 2, v10
	s_and_saveexec_b64 s[8:9], s[0:1]
	s_cbranch_execz .LBB53_6
; %bb.5:
	v_lshl_or_b32 v5, v12, 10, v4
	v_add_u32_e32 v5, 0xfffffc00, v5
	ds_write2st64_b32 v5, v2, v3 offset1:1
	ds_write2st64_b32 v5, v0, v1 offset0:2 offset1:3
.LBB53_6:
	s_or_b64 exec, exec, s[8:9]
	s_waitcnt lgkmcnt(0)
	s_barrier
	s_and_saveexec_b64 s[0:1], vcc
	s_cbranch_execz .LBB53_11
; %bb.7:
	v_mbcnt_lo_u32_b32 v0, -1, 0
	v_mbcnt_hi_u32_b32 v14, -1, v0
	ds_read2st64_b32 v[2:3], v4 offset1:1
	ds_read_b64 v[6:7], v11
	v_and_b32_e32 v0, 64, v14
	v_add_u32_e32 v15, 64, v0
	v_xor_b32_e32 v0, 32, v14
	v_cmp_lt_i32_e32 vcc, v0, v15
	s_waitcnt lgkmcnt(0)
	v_pk_add_f32 v[2:3], v[2:3], v[6:7]
	v_xor_b32_e32 v1, 16, v14
	v_cndmask_b32_e32 v0, v14, v0, vcc
	v_lshlrev_b32_e32 v0, 2, v0
	ds_bpermute_b32 v6, v0, v2
	ds_bpermute_b32 v7, v0, v3
	v_cmp_lt_i32_e32 vcc, v1, v15
	v_xor_b32_e32 v5, 2, v14
	s_load_dwordx2 s[0:1], s[2:3], 0x38
	v_cndmask_b32_e32 v1, v14, v1, vcc
	v_lshlrev_b32_e32 v1, 2, v1
	s_waitcnt lgkmcnt(0)
	v_pk_add_f32 v[6:7], v[2:3], v[6:7]
	ds_bpermute_b32 v8, v1, v6
	ds_bpermute_b32 v9, v1, v7
	v_xor_b32_e32 v2, 8, v14
	v_cmp_lt_i32_e32 vcc, v2, v15
	v_xor_b32_e32 v3, 4, v14
	s_mul_i32 s2, s5, s14
	v_cndmask_b32_e32 v2, v14, v2, vcc
	v_lshlrev_b32_e32 v2, 2, v2
	s_waitcnt lgkmcnt(0)
	v_pk_add_f32 v[6:7], v[6:7], v[8:9]
	ds_bpermute_b32 v8, v2, v6
	ds_bpermute_b32 v9, v2, v7
	v_cmp_lt_i32_e32 vcc, v3, v15
	s_mul_i32 s6, s6, s18
	s_add_i32 s2, s2, s4
	v_cndmask_b32_e32 v3, v14, v3, vcc
	v_lshlrev_b32_e32 v3, 2, v3
	s_waitcnt lgkmcnt(0)
	v_pk_add_f32 v[6:7], v[6:7], v[8:9]
	ds_bpermute_b32 v8, v3, v6
	ds_bpermute_b32 v9, v3, v7
	v_cmp_lt_i32_e32 vcc, v5, v15
	s_add_i32 s2, s2, s6
	s_mov_b32 s3, 0
	v_cndmask_b32_e32 v5, v14, v5, vcc
	v_lshlrev_b32_e32 v5, 2, v5
	s_waitcnt lgkmcnt(0)
	v_pk_add_f32 v[8:9], v[6:7], v[8:9]
	ds_bpermute_b32 v12, v5, v8
	ds_bpermute_b32 v13, v5, v9
	v_xor_b32_e32 v6, 1, v14
	v_cmp_lt_i32_e32 vcc, v6, v15
	s_lshl_b64 s[2:3], s[2:3], 2
	s_add_u32 s2, s0, s2
	v_cndmask_b32_e32 v6, v14, v6, vcc
	v_lshlrev_b32_e32 v6, 2, v6
	s_waitcnt lgkmcnt(0)
	v_pk_add_f32 v[8:9], v[8:9], v[12:13]
	ds_bpermute_b32 v12, v6, v8
	ds_bpermute_b32 v13, v6, v9
	v_or_b32_e32 v7, s4, v10
	s_addc_u32 s3, s1, s3
	v_cmp_gt_u32_e32 vcc, 2, v10
	v_cmp_gt_u32_e64 s[0:1], s10, v7
	s_and_b64 s[0:1], vcc, s[0:1]
	s_waitcnt lgkmcnt(0)
	v_pk_add_f32 v[8:9], v[8:9], v[12:13]
	ds_write_b64 v11, v[8:9]
	s_and_saveexec_b64 s[4:5], s[0:1]
	s_cbranch_execz .LBB53_9
; %bb.8:
	v_add_u32_e32 v7, v11, v4
	ds_read_b32 v7, v7
	s_waitcnt lgkmcnt(0)
	global_store_dword v4, v7, s[2:3]
.LBB53_9:
	s_or_b64 exec, exec, s[4:5]
	ds_read2st64_b32 v[8:9], v4 offset0:2 offset1:3
	ds_read_b64 v[12:13], v11 offset:8
	s_waitcnt lgkmcnt(0)
	v_pk_add_f32 v[8:9], v[8:9], v[12:13]
	ds_bpermute_b32 v12, v0, v8
	ds_bpermute_b32 v13, v0, v9
	s_waitcnt lgkmcnt(0)
	v_pk_add_f32 v[8:9], v[8:9], v[12:13]
	ds_bpermute_b32 v0, v1, v8
	ds_bpermute_b32 v1, v1, v9
	;; [unrolled: 4-line block ×6, first 2 shown]
	s_waitcnt lgkmcnt(0)
	v_pk_add_f32 v[0:1], v[0:1], v[2:3]
	ds_write_b64 v11, v[0:1] offset:8
	s_and_b64 exec, exec, s[0:1]
	s_cbranch_execz .LBB53_11
; %bb.10:
	v_lshl_add_u32 v0, v10, 2, v11
	ds_read_b32 v2, v0 offset:8
	v_add_u32_e32 v0, s10, v10
	v_mov_b32_e32 v1, 0
	v_lshl_add_u64 v[0:1], v[0:1], 2, s[2:3]
	s_waitcnt lgkmcnt(0)
	global_store_dword v[0:1], v2, off
.LBB53_11:
	s_endpgm
	.section	.rodata,"a",@progbits
	.p2align	6, 0x0
	.amdhsa_kernel _ZL13mul_mat_vec_qIL9ggml_type7ELi2ELb0ELb0EEvPKvS2_PKi31ggml_cuda_mm_fusion_args_devicePfj15HIP_vector_typeIjLj3EEjjjS8_jjjS8_jjjj
		.amdhsa_group_segment_fixed_size 3072
		.amdhsa_private_segment_fixed_size 0
		.amdhsa_kernarg_size 144
		.amdhsa_user_sgpr_count 4
		.amdhsa_user_sgpr_dispatch_ptr 1
		.amdhsa_user_sgpr_queue_ptr 0
		.amdhsa_user_sgpr_kernarg_segment_ptr 1
		.amdhsa_user_sgpr_dispatch_id 0
		.amdhsa_user_sgpr_kernarg_preload_length 0
		.amdhsa_user_sgpr_kernarg_preload_offset 0
		.amdhsa_user_sgpr_private_segment_size 0
		.amdhsa_uses_dynamic_stack 0
		.amdhsa_enable_private_segment 0
		.amdhsa_system_sgpr_workgroup_id_x 1
		.amdhsa_system_sgpr_workgroup_id_y 1
		.amdhsa_system_sgpr_workgroup_id_z 1
		.amdhsa_system_sgpr_workgroup_info 0
		.amdhsa_system_vgpr_workitem_id 2
		.amdhsa_next_free_vgpr 63
		.amdhsa_next_free_sgpr 26
		.amdhsa_accum_offset 64
		.amdhsa_reserve_vcc 1
		.amdhsa_float_round_mode_32 0
		.amdhsa_float_round_mode_16_64 0
		.amdhsa_float_denorm_mode_32 3
		.amdhsa_float_denorm_mode_16_64 3
		.amdhsa_dx10_clamp 1
		.amdhsa_ieee_mode 1
		.amdhsa_fp16_overflow 0
		.amdhsa_tg_split 0
		.amdhsa_exception_fp_ieee_invalid_op 0
		.amdhsa_exception_fp_denorm_src 0
		.amdhsa_exception_fp_ieee_div_zero 0
		.amdhsa_exception_fp_ieee_overflow 0
		.amdhsa_exception_fp_ieee_underflow 0
		.amdhsa_exception_fp_ieee_inexact 0
		.amdhsa_exception_int_div_zero 0
	.end_amdhsa_kernel
	.section	.text._ZL13mul_mat_vec_qIL9ggml_type7ELi2ELb0ELb0EEvPKvS2_PKi31ggml_cuda_mm_fusion_args_devicePfj15HIP_vector_typeIjLj3EEjjjS8_jjjS8_jjjj,"axG",@progbits,_ZL13mul_mat_vec_qIL9ggml_type7ELi2ELb0ELb0EEvPKvS2_PKi31ggml_cuda_mm_fusion_args_devicePfj15HIP_vector_typeIjLj3EEjjjS8_jjjS8_jjjj,comdat
.Lfunc_end53:
	.size	_ZL13mul_mat_vec_qIL9ggml_type7ELi2ELb0ELb0EEvPKvS2_PKi31ggml_cuda_mm_fusion_args_devicePfj15HIP_vector_typeIjLj3EEjjjS8_jjjS8_jjjj, .Lfunc_end53-_ZL13mul_mat_vec_qIL9ggml_type7ELi2ELb0ELb0EEvPKvS2_PKi31ggml_cuda_mm_fusion_args_devicePfj15HIP_vector_typeIjLj3EEjjjS8_jjjS8_jjjj
                                        ; -- End function
	.section	.AMDGPU.csdata,"",@progbits
; Kernel info:
; codeLenInByte = 2136
; NumSgprs: 32
; NumVgprs: 63
; NumAgprs: 0
; TotalNumVgprs: 63
; ScratchSize: 0
; MemoryBound: 0
; FloatMode: 240
; IeeeMode: 1
; LDSByteSize: 3072 bytes/workgroup (compile time only)
; SGPRBlocks: 3
; VGPRBlocks: 7
; NumSGPRsForWavesPerEU: 32
; NumVGPRsForWavesPerEU: 63
; AccumOffset: 64
; Occupancy: 8
; WaveLimiterHint : 0
; COMPUTE_PGM_RSRC2:SCRATCH_EN: 0
; COMPUTE_PGM_RSRC2:USER_SGPR: 4
; COMPUTE_PGM_RSRC2:TRAP_HANDLER: 0
; COMPUTE_PGM_RSRC2:TGID_X_EN: 1
; COMPUTE_PGM_RSRC2:TGID_Y_EN: 1
; COMPUTE_PGM_RSRC2:TGID_Z_EN: 1
; COMPUTE_PGM_RSRC2:TIDIG_COMP_CNT: 2
; COMPUTE_PGM_RSRC3_GFX90A:ACCUM_OFFSET: 15
; COMPUTE_PGM_RSRC3_GFX90A:TG_SPLIT: 0
	.section	.text._ZL13mul_mat_vec_qIL9ggml_type7ELi3ELb0ELb0EEvPKvS2_PKi31ggml_cuda_mm_fusion_args_devicePfj15HIP_vector_typeIjLj3EEjjjS8_jjjS8_jjjj,"axG",@progbits,_ZL13mul_mat_vec_qIL9ggml_type7ELi3ELb0ELb0EEvPKvS2_PKi31ggml_cuda_mm_fusion_args_devicePfj15HIP_vector_typeIjLj3EEjjjS8_jjjS8_jjjj,comdat
	.globl	_ZL13mul_mat_vec_qIL9ggml_type7ELi3ELb0ELb0EEvPKvS2_PKi31ggml_cuda_mm_fusion_args_devicePfj15HIP_vector_typeIjLj3EEjjjS8_jjjS8_jjjj ; -- Begin function _ZL13mul_mat_vec_qIL9ggml_type7ELi3ELb0ELb0EEvPKvS2_PKi31ggml_cuda_mm_fusion_args_devicePfj15HIP_vector_typeIjLj3EEjjjS8_jjjS8_jjjj
	.p2align	8
	.type	_ZL13mul_mat_vec_qIL9ggml_type7ELi3ELb0ELb0EEvPKvS2_PKi31ggml_cuda_mm_fusion_args_devicePfj15HIP_vector_typeIjLj3EEjjjS8_jjjS8_jjjj,@function
_ZL13mul_mat_vec_qIL9ggml_type7ELi3ELb0ELb0EEvPKvS2_PKi31ggml_cuda_mm_fusion_args_devicePfj15HIP_vector_typeIjLj3EEjjjS8_jjjS8_jjjj: ; @_ZL13mul_mat_vec_qIL9ggml_type7ELi3ELb0ELb0EEvPKvS2_PKi31ggml_cuda_mm_fusion_args_devicePfj15HIP_vector_typeIjLj3EEjjjS8_jjjS8_jjjj
; %bb.0:
	v_bfe_u32 v13, v0, 10, 10
	v_and_b32_e32 v12, 0x3ff, v0
	v_mov_b32_e32 v0, 0
	v_lshlrev_b32_e32 v8, 6, v13
	v_mov_b32_e32 v1, v0
	v_mov_b32_e32 v2, v0
	;; [unrolled: 1-line block ×3, first 2 shown]
	s_load_dword s6, s[0:1], 0x40
	s_load_dwordx4 s[8:11], s[0:1], 0x50
	s_load_dword s25, s[0:1], 0x60
	s_load_dwordx4 s[12:15], s[0:1], 0x68
	;; [unrolled: 2-line block ×3, first 2 shown]
	scratch_store_dwordx2 off, v[0:1], off offset:16
	scratch_store_dwordx4 off, v[0:3], off
	s_lshl_b32 s5, s2, 1
	s_waitcnt lgkmcnt(0)
	s_lshr_b32 s2, s6, 5
	v_add_u16_e32 v1, v8, v12
	v_lshrrev_b16_e32 v14, 1, v1
	v_cmp_gt_u32_e32 vcc, s2, v14
	v_mov_b32_e32 v1, v0
	v_mov_b32_e32 v4, v0
	;; [unrolled: 1-line block ×3, first 2 shown]
	s_and_saveexec_b64 s[6:7], vcc
	s_cbranch_execz .LBB54_4
; %bb.1:
	s_load_dwordx4 s[20:23], s[0:1], 0x0
	s_mul_i32 s17, s4, s17
	s_mul_hi_u32 s19, s17, 36
	s_mul_i32 s17, s17, 36
	s_mul_i32 s13, s3, s13
	s_waitcnt lgkmcnt(0)
	s_add_u32 s17, s22, s17
	s_addc_u32 s19, s23, s19
	s_mul_hi_u32 s23, s13, 36
	s_mul_i32 s13, s13, 36
	s_add_u32 s22, s17, s13
	s_mul_hi_u32 s11, s11, s3
	s_addc_u32 s23, s19, s23
	s_add_i32 s11, s3, s11
	s_lshr_b32 s11, s11, s25
	v_and_b32_e32 v1, 1, v12
	v_xor_b32_e32 v2, v8, v12
	s_mul_i32 s17, s11, s12
	s_mul_hi_u32 s11, s15, s4
	v_lshlrev_b32_e32 v6, 3, v1
	v_and_b32_e32 v1, v8, v12
	v_lshrrev_b16_e32 v2, 1, v2
	s_add_i32 s11, s4, s11
	v_add_u16_e32 v1, v1, v2
	s_lshr_b32 s11, s11, s24
	v_lshlrev_b32_e32 v0, 1, v12
	v_mad_u64_u32 v[8:9], s[12:13], v1, 36, s[22:23]
	s_mul_i32 s15, s11, s16
	v_and_b32_e32 v0, 2, v0
	s_add_i32 s12, s5, 1
	v_mov_b32_e32 v7, 0
	v_lshlrev_b32_e32 v15, 2, v0
	s_mul_i32 s16, s5, s8
	s_add_i32 s15, s15, s17
	s_mul_i32 s8, s8, s12
	v_or_b32_e32 v16, 4, v15
	s_lshl_b32 s11, s9, 1
	s_add_i32 s8, s15, s8
	s_add_i32 s15, s15, s16
	s_mov_b64 s[12:13], 0
	v_lshlrev_b32_e32 v10, 2, v0
	v_mov_b32_e32 v11, v7
	s_mov_b64 s[16:17], 0x900
	v_mov_b32_e32 v2, v7
	v_mov_b32_e32 v3, v7
	;; [unrolled: 1-line block ×6, first 2 shown]
.LBB54_2:                               ; =>This Inner Loop Header: Depth=1
	v_add_u32_e32 v17, s15, v14
	v_lshl_add_u64 v[18:19], v[8:9], 0, v[6:7]
	global_load_dword v52, v[8:9], off
	global_load_dwordx2 v[20:21], v[18:19], off offset:4
	global_load_dwordx2 v[22:23], v[18:19], off offset:20
	v_mad_i64_i32 v[18:19], s[24:25], v17, 24, s[20:21]
	v_lshl_add_u64 v[30:31], v[18:19], 0, v[10:11]
	global_load_dwordx2 v[18:19], v[18:19], off
	v_add_u32_e32 v24, s8, v14
	v_add_u32_e32 v26, s9, v14
	;; [unrolled: 1-line block ×3, first 2 shown]
	v_mad_i64_i32 v[24:25], s[24:25], v24, 24, s[20:21]
	v_mad_u64_u32 v[26:27], s[24:25], v26, 36, s[22:23]
	v_mad_u64_u32 v[28:29], s[24:25], v28, 36, s[22:23]
	v_lshl_add_u64 v[32:33], v[24:25], 0, v[10:11]
	v_lshl_add_u64 v[34:35], v[26:27], 0, v[10:11]
	;; [unrolled: 1-line block ×3, first 2 shown]
	global_load_dwordx2 v[38:39], v[30:31], off offset:8
	global_load_dwordx2 v[40:41], v[34:35], off offset:20
	global_load_dword v17, v[28:29], off
	global_load_dword v59, v[26:27], off
	global_load_dwordx2 v[42:43], v[24:25], off
	global_load_dwordx2 v[44:45], v[32:33], off offset:8
	global_load_dwordx2 v[46:47], v[34:35], off offset:4
	;; [unrolled: 1-line block ×4, first 2 shown]
	v_mov_b32_e32 v53, 0
	v_mov_b32_e32 v54, 0
	;; [unrolled: 1-line block ×6, first 2 shown]
	v_add_u32_e32 v14, 64, v14
	v_cmp_le_u32_e32 vcc, s2, v14
	v_lshl_add_u64 v[8:9], v[8:9], 0, s[16:17]
	s_or_b64 s[12:13], vcc, s[12:13]
	s_waitcnt vmcnt(9)
	v_ashrrev_i32_e32 v24, v15, v19
	v_lshlrev_b32_e32 v27, 4, v24
	v_lshlrev_b32_e32 v28, 11, v24
	v_ashrrev_i32_e32 v19, v16, v19
	v_and_b32_e32 v27, 16, v27
	s_waitcnt vmcnt(8)
	v_and_b32_e32 v26, 0xf0f0f0f, v38
	v_and_b32_e32 v28, 0x1000, v28
	v_lshlrev_b32_e32 v29, 18, v24
	v_lshlrev_b32_e32 v30, 25, v24
	v_lshrrev_b32_e32 v32, 12, v24
	v_lshrrev_b32_e32 v33, 5, v24
	v_lshlrev_b32_e32 v34, 2, v24
	v_lshlrev_b32_e32 v35, 9, v24
	;; [unrolled: 1-line block ×3, first 2 shown]
	v_or3_b32 v26, v27, v26, v28
	v_lshlrev_b32_e32 v27, 11, v19
	v_lshlrev_b32_e32 v28, 18, v19
	v_and_b32_e32 v32, 16, v32
	v_and_b32_e32 v33, 0x1000, v33
	;; [unrolled: 1-line block ×6, first 2 shown]
	v_or3_b32 v32, v33, v32, v34
	v_lshrrev_b32_e32 v33, 12, v19
	v_lshrrev_b32_e32 v34, 5, v19
	v_or3_b32 v27, v27, v24, v28
	v_lshlrev_b32_e32 v24, 2, v19
	v_pk_mul_f16 v25, v18, v52
	v_and_b32_e32 v36, 0xf0f0f0f, v39
	v_lshrrev_b32_e32 v37, 4, v39
	s_waitcnt vmcnt(5)
	v_pk_mul_f16 v28, v18, v59
	v_pk_mul_f16 v39, v18, v17
	v_and_b32_e32 v18, 16, v33
	v_and_b32_e32 v33, 0x1000, v34
	;; [unrolled: 1-line block ×3, first 2 shown]
	v_lshrrev_b32_e32 v31, 4, v38
	v_lshlrev_b32_e32 v38, 25, v19
	v_lshlrev_b32_e32 v19, 9, v19
	v_or3_b32 v33, v33, v18, v24
	v_and_b32_e32 v18, 0x100000, v29
	v_and_b32_e32 v24, 0x10000000, v30
	s_waitcnt vmcnt(4)
	v_ashrrev_i32_e32 v60, v15, v43
	v_or3_b32 v61, v26, v18, v24
	v_cvt_f32_f16_e32 v18, v25
	v_cvt_f32_f16_sdwa v24, v25 dst_sel:DWORD dst_unused:UNUSED_PAD src0_sel:WORD_1
	v_and_b32_e32 v25, 0xf0f0f0f, v31
	v_and_b32_e32 v26, 0x10000000, v35
	;; [unrolled: 1-line block ×5, first 2 shown]
	v_or3_b32 v35, v32, v26, v25
	v_lshlrev_b32_e32 v25, 4, v60
	v_lshlrev_b32_e32 v26, 11, v60
	v_or3_b32 v36, v27, v29, v36
	v_lshrrev_b32_e32 v29, 12, v60
	v_or3_b32 v37, v33, v19, v30
	v_lshrrev_b32_e32 v19, 5, v60
	v_lshlrev_b32_e32 v30, 2, v60
	v_pk_mul_f16 v52, v42, v52
	v_pk_mul_f16 v59, v42, v59
	;; [unrolled: 1-line block ×3, first 2 shown]
	v_ashrrev_i32_e32 v42, v16, v43
	s_waitcnt vmcnt(3)
	v_and_b32_e32 v43, 0xf0f0f0f, v44
	v_and_b32_e32 v25, 16, v25
	;; [unrolled: 1-line block ×6, first 2 shown]
	v_or3_b32 v26, v25, v43, v26
	v_lshlrev_b32_e32 v25, 4, v42
	v_lshlrev_b32_e32 v31, 11, v42
	v_or3_b32 v30, v19, v29, v30
	v_lshlrev_b32_e32 v19, 18, v42
	v_and_b32_e32 v25, 16, v25
	v_and_b32_e32 v31, 0x1000, v31
	;; [unrolled: 1-line block ×3, first 2 shown]
	v_lshrrev_b32_e32 v29, 12, v42
	v_or3_b32 v38, v31, v25, v19
	v_lshrrev_b32_e32 v19, 5, v42
	v_lshlrev_b32_e32 v25, 2, v42
	v_and_b32_e32 v29, 16, v29
	v_and_b32_e32 v19, 0x1000, v19
	;; [unrolled: 1-line block ×3, first 2 shown]
	v_lshlrev_b32_e32 v27, 18, v60
	v_or3_b32 v43, v19, v29, v25
	v_lshlrev_b32_e32 v29, 25, v60
	v_lshrrev_b32_e32 v34, 4, v44
	v_lshlrev_b32_e32 v32, 9, v60
	v_and_b32_e32 v27, 0x100000, v27
	v_and_b32_e32 v29, 0x10000000, v29
	;; [unrolled: 1-line block ×3, first 2 shown]
	v_lshlrev_b32_e32 v34, 25, v42
	v_cvt_f32_f16_e32 v19, v52
	v_cvt_f32_f16_sdwa v25, v52 dst_sel:DWORD dst_unused:UNUSED_PAD src0_sel:WORD_1
	v_or3_b32 v52, v26, v27, v29
	v_and_b32_e32 v32, 0x10000000, v32
	v_and_b32_e32 v44, 0xf0f0f0f, v45
	v_lshrrev_b32_e32 v45, 4, v45
	v_lshlrev_b32_e32 v42, 9, v42
	v_cvt_f32_f16_e32 v27, v59
	v_cvt_f32_f16_sdwa v29, v59 dst_sel:DWORD dst_unused:UNUSED_PAD src0_sel:WORD_1
	v_or3_b32 v59, v30, v32, v31
	v_cvt_f32_f16_e32 v31, v17
	v_cvt_f32_f16_sdwa v33, v17 dst_sel:DWORD dst_unused:UNUSED_PAD src0_sel:WORD_1
	v_and_b32_e32 v17, 0x10000000, v34
	v_dot4c_i32_i8_e32 v53, v61, v20
	s_waitcnt vmcnt(2)
	v_dot4c_i32_i8_e32 v55, v61, v46
	s_waitcnt vmcnt(1)
	v_dot4c_i32_i8_e32 v57, v61, v48
	v_dot4c_i32_i8_e32 v54, v52, v20
	;; [unrolled: 1-line block ×4, first 2 shown]
	v_and_b32_e32 v45, 0xf0f0f0f, v45
	v_and_b32_e32 v34, 0x10000000, v42
	v_or3_b32 v17, v38, v17, v44
	v_dot4c_i32_i8_e32 v53, v35, v22
	v_dot4c_i32_i8_e32 v55, v35, v40
	s_waitcnt vmcnt(0)
	v_dot4c_i32_i8_e32 v57, v35, v50
	v_dot4c_i32_i8_e32 v54, v59, v22
	;; [unrolled: 1-line block ×4, first 2 shown]
	v_or3_b32 v34, v43, v34, v45
	v_dot4c_i32_i8_e32 v53, v36, v21
	v_dot4c_i32_i8_e32 v55, v36, v47
	;; [unrolled: 1-line block ×12, first 2 shown]
	v_cvt_f32_f16_e32 v26, v28
	v_cvt_f32_f16_e32 v30, v39
	v_cvt_f32_i32_e32 v20, v53
	v_cvt_f32_i32_e32 v22, v55
	;; [unrolled: 1-line block ×6, first 2 shown]
	v_cvt_f32_f16_sdwa v28, v28 dst_sel:DWORD dst_unused:UNUSED_PAD src0_sel:WORD_1
	v_cvt_f32_f16_sdwa v32, v39 dst_sel:DWORD dst_unused:UNUSED_PAD src0_sel:WORD_1
	v_pk_mul_f32 v[18:19], v[18:19], v[20:21]
	v_pk_mul_f32 v[20:21], v[26:27], v[22:23]
	v_pk_mul_f32 v[22:23], v[30:31], v[34:35]
	v_pk_fma_f32 v[18:19], v[24:25], 0.5, v[18:19] op_sel_hi:[1,0,1]
	v_pk_fma_f32 v[20:21], v[28:29], 0.5, v[20:21] op_sel_hi:[1,0,1]
	;; [unrolled: 1-line block ×3, first 2 shown]
	v_pk_add_f32 v[2:3], v[2:3], v[18:19]
	v_pk_add_f32 v[4:5], v[4:5], v[20:21]
	;; [unrolled: 1-line block ×3, first 2 shown]
	s_andn2_b64 exec, exec, s[12:13]
	s_cbranch_execnz .LBB54_2
; %bb.3:
	s_or_b64 exec, exec, s[12:13]
	scratch_store_dwordx4 off, v[2:5], off
	scratch_store_dwordx2 off, v[0:1], off offset:16
.LBB54_4:
	s_or_b64 exec, exec, s[6:7]
	v_cmp_eq_u32_e32 vcc, 0, v13
	v_cmp_ne_u32_e64 s[6:7], 0, v13
	v_lshlrev_b32_e32 v6, 2, v12
	s_and_saveexec_b64 s[8:9], s[6:7]
	s_cbranch_execz .LBB54_6
; %bb.5:
	v_mul_u32_u24_e32 v7, 0x600, v13
	s_movk_i32 s2, 0xfa00
	v_add3_u32 v7, v7, v6, s2
	ds_write2st64_b32 v7, v2, v3 offset1:1
	ds_write2st64_b32 v7, v4, v5 offset0:2 offset1:3
	ds_write2st64_b32 v7, v0, v1 offset0:4 offset1:5
.LBB54_6:
	s_or_b64 exec, exec, s[8:9]
	s_waitcnt lgkmcnt(0)
	s_barrier
	s_and_saveexec_b64 s[6:7], vcc
	s_cbranch_execz .LBB54_13
; %bb.7:
	scratch_load_dwordx2 v[2:3], off, off
	v_mbcnt_lo_u32_b32 v0, -1, 0
	ds_read2st64_b32 v[4:5], v6 offset1:1
	v_mbcnt_hi_u32_b32 v7, -1, v0
	v_and_b32_e32 v0, 64, v7
	v_xor_b32_e32 v1, 32, v7
	v_add_u32_e32 v13, 64, v0
	v_cmp_lt_i32_e32 vcc, v1, v13
	v_xor_b32_e32 v8, 16, v7
	v_xor_b32_e32 v10, 8, v7
	v_cndmask_b32_e32 v0, v7, v1, vcc
	v_lshlrev_b32_e32 v0, 2, v0
	v_cmp_lt_i32_e32 vcc, v8, v13
	v_xor_b32_e32 v11, 4, v7
	v_xor_b32_e32 v14, 2, v7
	v_cndmask_b32_e32 v1, v7, v8, vcc
	v_lshlrev_b32_e32 v1, 2, v1
	v_cmp_lt_i32_e32 vcc, v10, v13
	v_xor_b32_e32 v15, 1, v7
	s_load_dwordx2 s[0:1], s[0:1], 0x38
	s_mul_i32 s2, s3, s14
	s_mul_i32 s4, s4, s18
	s_add_i32 s2, s2, s5
	s_mov_b32 s3, 0
	s_add_i32 s2, s2, s4
	s_lshl_b64 s[2:3], s[2:3], 2
	s_waitcnt lgkmcnt(0)
	s_add_u32 s2, s0, s2
	s_addc_u32 s3, s1, s3
	s_waitcnt vmcnt(0)
	v_pk_add_f32 v[2:3], v[4:5], v[2:3]
	ds_bpermute_b32 v4, v0, v2
	ds_bpermute_b32 v5, v0, v3
	s_waitcnt lgkmcnt(0)
	v_pk_add_f32 v[4:5], v[2:3], v[4:5]
	ds_bpermute_b32 v8, v1, v4
	ds_bpermute_b32 v9, v1, v5
	v_cndmask_b32_e32 v2, v7, v10, vcc
	v_lshlrev_b32_e32 v2, 2, v2
	v_cmp_lt_i32_e32 vcc, v11, v13
	s_waitcnt lgkmcnt(0)
	v_pk_add_f32 v[4:5], v[4:5], v[8:9]
	ds_bpermute_b32 v8, v2, v4
	ds_bpermute_b32 v9, v2, v5
	v_cndmask_b32_e32 v3, v7, v11, vcc
	v_lshlrev_b32_e32 v3, 2, v3
	v_cmp_lt_i32_e32 vcc, v14, v13
	;; [unrolled: 7-line block ×3, first 2 shown]
	s_waitcnt lgkmcnt(0)
	v_pk_add_f32 v[8:9], v[8:9], v[10:11]
	ds_bpermute_b32 v10, v4, v8
	ds_bpermute_b32 v11, v4, v9
	v_cndmask_b32_e32 v5, v7, v15, vcc
	v_lshlrev_b32_e32 v5, 2, v5
	v_or_b32_e32 v7, s5, v12
	v_cmp_gt_u32_e32 vcc, 2, v12
	s_waitcnt lgkmcnt(0)
	v_pk_add_f32 v[8:9], v[8:9], v[10:11]
	ds_bpermute_b32 v10, v5, v8
	ds_bpermute_b32 v11, v5, v9
	v_cmp_gt_u32_e64 s[0:1], s10, v7
	s_and_b64 s[0:1], vcc, s[0:1]
	s_waitcnt lgkmcnt(0)
	v_pk_add_f32 v[8:9], v[8:9], v[10:11]
	scratch_store_dwordx2 off, v[8:9], off
	s_and_saveexec_b64 s[4:5], s[0:1]
	s_cbranch_execz .LBB54_9
; %bb.8:
	scratch_load_dword v7, v6, off
	s_waitcnt vmcnt(0)
	global_store_dword v6, v7, s[2:3]
.LBB54_9:
	s_or_b64 exec, exec, s[4:5]
	scratch_load_dwordx2 v[8:9], off, off offset:8
	ds_read2st64_b32 v[10:11], v6 offset0:2 offset1:3
	s_waitcnt vmcnt(0) lgkmcnt(0)
	v_pk_add_f32 v[8:9], v[10:11], v[8:9]
	ds_bpermute_b32 v10, v0, v8
	ds_bpermute_b32 v11, v0, v9
	s_waitcnt lgkmcnt(0)
	v_pk_add_f32 v[8:9], v[8:9], v[10:11]
	ds_bpermute_b32 v10, v1, v8
	ds_bpermute_b32 v11, v1, v9
	s_waitcnt lgkmcnt(0)
	;; [unrolled: 4-line block ×6, first 2 shown]
	v_pk_add_f32 v[8:9], v[8:9], v[10:11]
	scratch_store_dwordx2 off, v[8:9], off offset:8
	s_and_saveexec_b64 s[4:5], s[0:1]
	s_cbranch_execz .LBB54_11
; %bb.10:
	scratch_load_dword v7, v6, off offset:8
	v_add_u32_e32 v8, s10, v12
	v_mov_b32_e32 v9, 0
	v_lshl_add_u64 v[8:9], v[8:9], 2, s[2:3]
	s_waitcnt vmcnt(0)
	global_store_dword v[8:9], v7, off
.LBB54_11:
	s_or_b64 exec, exec, s[4:5]
	scratch_load_dwordx2 v[8:9], off, off offset:16
	ds_read2st64_b32 v[10:11], v6 offset0:4 offset1:5
	s_waitcnt vmcnt(0) lgkmcnt(0)
	v_pk_add_f32 v[8:9], v[10:11], v[8:9]
	ds_bpermute_b32 v10, v0, v8
	ds_bpermute_b32 v11, v0, v9
	s_waitcnt lgkmcnt(0)
	v_pk_add_f32 v[8:9], v[8:9], v[10:11]
	ds_bpermute_b32 v0, v1, v8
	ds_bpermute_b32 v1, v1, v9
	s_waitcnt lgkmcnt(0)
	v_pk_add_f32 v[0:1], v[8:9], v[0:1]
	ds_bpermute_b32 v8, v2, v0
	ds_bpermute_b32 v9, v2, v1
	s_waitcnt lgkmcnt(0)
	v_pk_add_f32 v[0:1], v[0:1], v[8:9]
	ds_bpermute_b32 v2, v3, v0
	ds_bpermute_b32 v3, v3, v1
	s_waitcnt lgkmcnt(0)
	v_pk_add_f32 v[0:1], v[0:1], v[2:3]
	ds_bpermute_b32 v2, v4, v0
	ds_bpermute_b32 v3, v4, v1
	s_waitcnt lgkmcnt(0)
	v_pk_add_f32 v[0:1], v[0:1], v[2:3]
	ds_bpermute_b32 v2, v5, v0
	ds_bpermute_b32 v3, v5, v1
	s_waitcnt lgkmcnt(0)
	v_pk_add_f32 v[0:1], v[0:1], v[2:3]
	scratch_store_dwordx2 off, v[0:1], off offset:16
	s_and_b64 exec, exec, s[0:1]
	s_cbranch_execz .LBB54_13
; %bb.12:
	scratch_load_dword v2, v6, off offset:16
	v_lshl_or_b32 v0, s10, 1, v12
	v_mov_b32_e32 v1, 0
	v_lshl_add_u64 v[0:1], v[0:1], 2, s[2:3]
	s_waitcnt vmcnt(0)
	global_store_dword v[0:1], v2, off
.LBB54_13:
	s_endpgm
	.section	.rodata,"a",@progbits
	.p2align	6, 0x0
	.amdhsa_kernel _ZL13mul_mat_vec_qIL9ggml_type7ELi3ELb0ELb0EEvPKvS2_PKi31ggml_cuda_mm_fusion_args_devicePfj15HIP_vector_typeIjLj3EEjjjS8_jjjS8_jjjj
		.amdhsa_group_segment_fixed_size 1536
		.amdhsa_private_segment_fixed_size 32
		.amdhsa_kernarg_size 144
		.amdhsa_user_sgpr_count 2
		.amdhsa_user_sgpr_dispatch_ptr 0
		.amdhsa_user_sgpr_queue_ptr 0
		.amdhsa_user_sgpr_kernarg_segment_ptr 1
		.amdhsa_user_sgpr_dispatch_id 0
		.amdhsa_user_sgpr_kernarg_preload_length 0
		.amdhsa_user_sgpr_kernarg_preload_offset 0
		.amdhsa_user_sgpr_private_segment_size 0
		.amdhsa_uses_dynamic_stack 0
		.amdhsa_enable_private_segment 1
		.amdhsa_system_sgpr_workgroup_id_x 1
		.amdhsa_system_sgpr_workgroup_id_y 1
		.amdhsa_system_sgpr_workgroup_id_z 1
		.amdhsa_system_sgpr_workgroup_info 0
		.amdhsa_system_vgpr_workitem_id 1
		.amdhsa_next_free_vgpr 62
		.amdhsa_next_free_sgpr 26
		.amdhsa_accum_offset 64
		.amdhsa_reserve_vcc 1
		.amdhsa_float_round_mode_32 0
		.amdhsa_float_round_mode_16_64 0
		.amdhsa_float_denorm_mode_32 3
		.amdhsa_float_denorm_mode_16_64 3
		.amdhsa_dx10_clamp 1
		.amdhsa_ieee_mode 1
		.amdhsa_fp16_overflow 0
		.amdhsa_tg_split 0
		.amdhsa_exception_fp_ieee_invalid_op 0
		.amdhsa_exception_fp_denorm_src 0
		.amdhsa_exception_fp_ieee_div_zero 0
		.amdhsa_exception_fp_ieee_overflow 0
		.amdhsa_exception_fp_ieee_underflow 0
		.amdhsa_exception_fp_ieee_inexact 0
		.amdhsa_exception_int_div_zero 0
	.end_amdhsa_kernel
	.section	.text._ZL13mul_mat_vec_qIL9ggml_type7ELi3ELb0ELb0EEvPKvS2_PKi31ggml_cuda_mm_fusion_args_devicePfj15HIP_vector_typeIjLj3EEjjjS8_jjjS8_jjjj,"axG",@progbits,_ZL13mul_mat_vec_qIL9ggml_type7ELi3ELb0ELb0EEvPKvS2_PKi31ggml_cuda_mm_fusion_args_devicePfj15HIP_vector_typeIjLj3EEjjjS8_jjjS8_jjjj,comdat
.Lfunc_end54:
	.size	_ZL13mul_mat_vec_qIL9ggml_type7ELi3ELb0ELb0EEvPKvS2_PKi31ggml_cuda_mm_fusion_args_devicePfj15HIP_vector_typeIjLj3EEjjjS8_jjjS8_jjjj, .Lfunc_end54-_ZL13mul_mat_vec_qIL9ggml_type7ELi3ELb0ELb0EEvPKvS2_PKi31ggml_cuda_mm_fusion_args_devicePfj15HIP_vector_typeIjLj3EEjjjS8_jjjS8_jjjj
                                        ; -- End function
	.section	.AMDGPU.csdata,"",@progbits
; Kernel info:
; codeLenInByte = 2556
; NumSgprs: 32
; NumVgprs: 62
; NumAgprs: 0
; TotalNumVgprs: 62
; ScratchSize: 32
; MemoryBound: 0
; FloatMode: 240
; IeeeMode: 1
; LDSByteSize: 1536 bytes/workgroup (compile time only)
; SGPRBlocks: 3
; VGPRBlocks: 7
; NumSGPRsForWavesPerEU: 32
; NumVGPRsForWavesPerEU: 62
; AccumOffset: 64
; Occupancy: 8
; WaveLimiterHint : 0
; COMPUTE_PGM_RSRC2:SCRATCH_EN: 1
; COMPUTE_PGM_RSRC2:USER_SGPR: 2
; COMPUTE_PGM_RSRC2:TRAP_HANDLER: 0
; COMPUTE_PGM_RSRC2:TGID_X_EN: 1
; COMPUTE_PGM_RSRC2:TGID_Y_EN: 1
; COMPUTE_PGM_RSRC2:TGID_Z_EN: 1
; COMPUTE_PGM_RSRC2:TIDIG_COMP_CNT: 1
; COMPUTE_PGM_RSRC3_GFX90A:ACCUM_OFFSET: 15
; COMPUTE_PGM_RSRC3_GFX90A:TG_SPLIT: 0
	.section	.text._ZL13mul_mat_vec_qIL9ggml_type7ELi4ELb0ELb0EEvPKvS2_PKi31ggml_cuda_mm_fusion_args_devicePfj15HIP_vector_typeIjLj3EEjjjS8_jjjS8_jjjj,"axG",@progbits,_ZL13mul_mat_vec_qIL9ggml_type7ELi4ELb0ELb0EEvPKvS2_PKi31ggml_cuda_mm_fusion_args_devicePfj15HIP_vector_typeIjLj3EEjjjS8_jjjS8_jjjj,comdat
	.globl	_ZL13mul_mat_vec_qIL9ggml_type7ELi4ELb0ELb0EEvPKvS2_PKi31ggml_cuda_mm_fusion_args_devicePfj15HIP_vector_typeIjLj3EEjjjS8_jjjS8_jjjj ; -- Begin function _ZL13mul_mat_vec_qIL9ggml_type7ELi4ELb0ELb0EEvPKvS2_PKi31ggml_cuda_mm_fusion_args_devicePfj15HIP_vector_typeIjLj3EEjjjS8_jjjS8_jjjj
	.p2align	8
	.type	_ZL13mul_mat_vec_qIL9ggml_type7ELi4ELb0ELb0EEvPKvS2_PKi31ggml_cuda_mm_fusion_args_devicePfj15HIP_vector_typeIjLj3EEjjjS8_jjjS8_jjjj,@function
_ZL13mul_mat_vec_qIL9ggml_type7ELi4ELb0ELb0EEvPKvS2_PKi31ggml_cuda_mm_fusion_args_devicePfj15HIP_vector_typeIjLj3EEjjjS8_jjjS8_jjjj: ; @_ZL13mul_mat_vec_qIL9ggml_type7ELi4ELb0ELb0EEvPKvS2_PKi31ggml_cuda_mm_fusion_args_devicePfj15HIP_vector_typeIjLj3EEjjjS8_jjjS8_jjjj
; %bb.0:
	s_mov_b32 s20, 0
	s_mov_b32 s21, s20
	v_bfe_u32 v9, v0, 10, 10
	v_and_b32_e32 v8, 0x3ff, v0
	s_mov_b32 s22, s20
	s_mov_b32 s23, s20
	v_mov_b64_e32 v[0:1], s[20:21]
	v_lshlrev_b32_e32 v12, 6, v9
	v_mov_b64_e32 v[2:3], s[22:23]
	s_load_dword s6, s[0:1], 0x40
	s_load_dwordx4 s[8:11], s[0:1], 0x50
	s_load_dword s25, s[0:1], 0x60
	s_load_dwordx4 s[12:15], s[0:1], 0x68
	;; [unrolled: 2-line block ×3, first 2 shown]
	scratch_store_dwordx4 off, v[0:3], off offset:16
	scratch_store_dwordx4 off, v[0:3], off
	s_lshl_b32 s5, s2, 1
	s_waitcnt lgkmcnt(0)
	s_lshr_b32 s2, s6, 5
	v_add_u16_e32 v0, v12, v8
	v_lshrrev_b16_e32 v16, 1, v0
	v_mov_b32_e32 v6, 0
	v_cmp_gt_u32_e32 vcc, s2, v16
	v_mov_b32_e32 v0, 0
	v_mov_b32_e32 v7, v6
	;; [unrolled: 1-line block ×7, first 2 shown]
	s_and_saveexec_b64 s[6:7], vcc
	s_cbranch_execz .LBB55_4
; %bb.1:
	s_load_dwordx4 s[20:23], s[0:1], 0x0
	s_mul_i32 s17, s4, s17
	s_mul_hi_u32 s19, s17, 36
	s_mul_i32 s17, s17, 36
	s_mul_i32 s13, s3, s13
	s_waitcnt lgkmcnt(0)
	s_add_u32 s17, s22, s17
	s_addc_u32 s19, s23, s19
	s_mul_hi_u32 s23, s13, 36
	s_mul_i32 s13, s13, 36
	s_add_u32 s22, s17, s13
	s_mul_hi_u32 s11, s11, s3
	s_addc_u32 s23, s19, s23
	s_add_i32 s11, s3, s11
	s_lshr_b32 s11, s11, s25
	v_and_b32_e32 v1, 1, v8
	v_xor_b32_e32 v2, v12, v8
	s_mul_i32 s17, s11, s12
	s_mul_hi_u32 s11, s15, s4
	v_lshlrev_b32_e32 v10, 3, v1
	v_and_b32_e32 v1, v12, v8
	v_lshrrev_b16_e32 v2, 1, v2
	s_add_i32 s11, s4, s11
	v_add_u16_e32 v1, v1, v2
	s_lshr_b32 s11, s11, s24
	v_lshlrev_b32_e32 v0, 1, v8
	v_mad_u64_u32 v[12:13], s[12:13], v1, 36, s[22:23]
	s_mul_i32 s16, s11, s16
	v_and_b32_e32 v0, 2, v0
	s_add_i32 s13, s5, 1
	v_mov_b32_e32 v11, 0
	v_lshlrev_b32_e32 v17, 2, v0
	s_mul_i32 s19, s5, s8
	s_add_i32 s12, s16, s17
	s_mul_i32 s8, s8, s13
	v_or_b32_e32 v18, 4, v17
	s_lshl_b32 s11, s9, 1
	s_mul_i32 s15, s9, 3
	s_add_i32 s8, s12, s8
	s_add_i32 s19, s12, s19
	s_mov_b64 s[12:13], 0
	v_lshlrev_b32_e32 v14, 2, v0
	v_mov_b32_e32 v15, v11
	s_mov_b64 s[16:17], 0x900
	v_mov_b32_e32 v0, v11
	v_mov_b32_e32 v1, v11
	;; [unrolled: 1-line block ×8, first 2 shown]
.LBB55_2:                               ; =>This Inner Loop Header: Depth=1
	v_add_u32_e32 v19, s19, v16
	v_lshl_add_u64 v[20:21], v[12:13], 0, v[10:11]
	global_load_dword v56, v[12:13], off
	global_load_dwordx2 v[22:23], v[20:21], off offset:4
	global_load_dwordx2 v[24:25], v[20:21], off offset:20
	v_mad_i64_i32 v[20:21], s[24:25], v19, 24, s[20:21]
	v_lshl_add_u64 v[34:35], v[20:21], 0, v[14:15]
	global_load_dwordx2 v[20:21], v[20:21], off
	v_add_u32_e32 v26, s8, v16
	v_add_u32_e32 v28, s9, v16
	;; [unrolled: 1-line block ×4, first 2 shown]
	v_mad_i64_i32 v[26:27], s[24:25], v26, 24, s[20:21]
	v_mad_u64_u32 v[28:29], s[24:25], v28, 36, s[22:23]
	v_mad_u64_u32 v[30:31], s[24:25], v30, 36, s[22:23]
	;; [unrolled: 1-line block ×3, first 2 shown]
	v_lshl_add_u64 v[36:37], v[26:27], 0, v[14:15]
	v_lshl_add_u64 v[38:39], v[28:29], 0, v[14:15]
	;; [unrolled: 1-line block ×3, first 2 shown]
	global_load_dwordx2 v[44:45], v[34:35], off offset:8
	global_load_dwordx2 v[46:47], v[38:39], off offset:20
	global_load_dword v19, v[30:31], off
	global_load_dword v61, v[28:29], off
	;; [unrolled: 1-line block ×3, first 2 shown]
	global_load_dwordx2 v[48:49], v[26:27], off
	global_load_dwordx2 v[50:51], v[36:37], off offset:8
	global_load_dwordx2 v[52:53], v[38:39], off offset:4
	;; [unrolled: 1-line block ×3, first 2 shown]
                                        ; kill: killed $vgpr26_vgpr27
                                        ; kill: killed $vgpr32_vgpr33
                                        ; kill: killed $vgpr30_vgpr31
                                        ; kill: killed $vgpr28_vgpr29
                                        ; kill: killed $vgpr34_vgpr35
                                        ; kill: killed $vgpr36_vgpr37
                                        ; kill: killed $vgpr38_vgpr39
	s_nop 0
	global_load_dwordx2 v[26:27], v[40:41], off offset:20
	v_lshl_add_u64 v[42:43], v[32:33], 0, v[14:15]
	v_mov_b32_e32 v57, 0
	v_mov_b32_e32 v58, 0
	;; [unrolled: 1-line block ×4, first 2 shown]
	v_add_u32_e32 v16, 64, v16
	v_cmp_le_u32_e32 vcc, s2, v16
	v_lshl_add_u64 v[12:13], v[12:13], 0, s[16:17]
	s_or_b64 s[12:13], vcc, s[12:13]
	s_waitcnt vmcnt(9)
	v_and_b32_e32 v30, 0xf0f0f0f, v44
	v_ashrrev_i32_e32 v28, v17, v21
	v_lshlrev_b32_e32 v31, 4, v28
	v_lshlrev_b32_e32 v32, 11, v28
	v_lshrrev_b32_e32 v36, 12, v28
	v_lshrrev_b32_e32 v37, 5, v28
	v_lshlrev_b32_e32 v38, 2, v28
	v_ashrrev_i32_e32 v21, v18, v21
	v_and_b32_e32 v31, 16, v31
	v_and_b32_e32 v32, 0x1000, v32
	;; [unrolled: 1-line block ×5, first 2 shown]
	v_or3_b32 v30, v31, v30, v32
	v_lshlrev_b32_e32 v31, 4, v21
	v_lshlrev_b32_e32 v32, 11, v21
	v_or3_b32 v36, v37, v36, v38
	v_lshlrev_b32_e32 v37, 18, v21
	v_and_b32_e32 v31, 16, v31
	v_and_b32_e32 v32, 0x1000, v32
	;; [unrolled: 1-line block ×3, first 2 shown]
	v_lshrrev_b32_e32 v41, 12, v21
	v_or3_b32 v31, v32, v31, v37
	v_lshrrev_b32_e32 v32, 5, v21
	v_lshlrev_b32_e32 v37, 2, v21
	v_lshlrev_b32_e32 v33, 18, v28
	;; [unrolled: 1-line block ×3, first 2 shown]
	v_and_b32_e32 v41, 16, v41
	v_and_b32_e32 v32, 0x1000, v32
	;; [unrolled: 1-line block ×3, first 2 shown]
	v_pk_mul_f16 v29, v20, v56
	v_lshrrev_b32_e32 v35, 4, v44
	v_lshlrev_b32_e32 v28, 9, v28
	v_or3_b32 v32, v32, v41, v37
	s_waitcnt vmcnt(6)
	v_pk_mul_f16 v37, v20, v61
	v_pk_mul_f16 v41, v20, v19
	s_waitcnt vmcnt(5)
	v_pk_mul_f16 v44, v20, v62
	v_and_b32_e32 v20, 0x100000, v33
	v_and_b32_e32 v33, 0x10000000, v34
	v_lshlrev_b32_e32 v38, 25, v21
	v_lshrrev_b32_e32 v40, 4, v45
	v_lshlrev_b32_e32 v21, 9, v21
	v_or3_b32 v63, v30, v20, v33
	v_and_b32_e32 v20, 0xf0f0f0f, v35
	v_and_b32_e32 v28, 0x10000000, v28
	;; [unrolled: 1-line block ×3, first 2 shown]
	s_waitcnt vmcnt(4)
	v_ashrrev_i32_e32 v45, v17, v49
	v_pk_mul_f16 v56, v48, v56
	v_pk_mul_f16 v61, v48, v61
	;; [unrolled: 1-line block ×4, first 2 shown]
	s_waitcnt vmcnt(3)
	v_and_b32_e32 v62, 0xf0f0f0f, v50
	v_lshrrev_b32_e32 v30, 4, v50
	v_or3_b32 v50, v36, v28, v20
	v_and_b32_e32 v28, 0x10000000, v38
	v_and_b32_e32 v35, 0xf0f0f0f, v40
	v_and_b32_e32 v21, 0x10000000, v21
	v_and_b32_e32 v34, 0xf0f0f0f, v51
	v_lshrrev_b32_e32 v33, 4, v51
	v_lshlrev_b32_e32 v36, 4, v45
	v_or3_b32 v51, v31, v28, v39
	v_lshlrev_b32_e32 v28, 11, v45
	v_lshrrev_b32_e32 v31, 12, v45
	v_or3_b32 v64, v32, v21, v35
	v_lshrrev_b32_e32 v21, 5, v45
	v_lshlrev_b32_e32 v32, 2, v45
	v_ashrrev_i32_e32 v49, v18, v49
	v_and_b32_e32 v35, 16, v36
	v_and_b32_e32 v28, 0x1000, v28
	;; [unrolled: 1-line block ×5, first 2 shown]
	v_or3_b32 v28, v35, v62, v28
	v_lshlrev_b32_e32 v35, 4, v49
	v_lshlrev_b32_e32 v36, 11, v49
	v_or3_b32 v31, v21, v31, v32
	v_lshlrev_b32_e32 v21, 18, v49
	v_and_b32_e32 v35, 16, v35
	v_and_b32_e32 v36, 0x1000, v36
	;; [unrolled: 1-line block ×3, first 2 shown]
	v_lshrrev_b32_e32 v32, 12, v49
	v_or3_b32 v35, v36, v35, v21
	v_lshrrev_b32_e32 v21, 5, v49
	v_lshlrev_b32_e32 v36, 2, v49
	v_and_b32_e32 v32, 16, v32
	v_and_b32_e32 v21, 0x1000, v21
	;; [unrolled: 1-line block ×3, first 2 shown]
	v_or3_b32 v38, v21, v32, v36
	v_lshlrev_b32_e32 v21, 18, v45
	v_lshlrev_b32_e32 v32, 25, v45
	v_and_b32_e32 v21, 0x100000, v21
	v_and_b32_e32 v32, 0x10000000, v32
	v_or3_b32 v62, v28, v21, v32
	v_lshlrev_b32_e32 v32, 9, v45
	v_lshlrev_b32_e32 v36, 25, v49
	v_and_b32_e32 v30, 0xf0f0f0f, v30
	v_lshlrev_b32_e32 v40, 9, v49
	v_and_b32_e32 v32, 0x10000000, v32
	v_and_b32_e32 v36, 0x10000000, v36
	v_cvt_f32_f16_e32 v20, v29
	v_cvt_f32_f16_sdwa v28, v29 dst_sel:DWORD dst_unused:UNUSED_PAD src0_sel:WORD_1
	v_and_b32_e32 v39, 0xf0f0f0f, v33
	v_cvt_f32_f16_e32 v21, v56
	v_cvt_f32_f16_sdwa v29, v56 dst_sel:DWORD dst_unused:UNUSED_PAD src0_sel:WORD_1
	v_or3_b32 v49, v31, v32, v30
	v_cvt_f32_f16_e32 v30, v37
	v_cvt_f32_f16_sdwa v32, v37 dst_sel:DWORD dst_unused:UNUSED_PAD src0_sel:WORD_1
	v_or3_b32 v56, v35, v36, v34
	v_cvt_f32_f16_e32 v35, v19
	v_cvt_f32_f16_sdwa v37, v19 dst_sel:DWORD dst_unused:UNUSED_PAD src0_sel:WORD_1
	v_and_b32_e32 v19, 0x10000000, v40
	v_or3_b32 v19, v38, v19, v39
	v_cvt_f32_f16_e32 v38, v44
	v_cvt_f32_f16_sdwa v40, v44 dst_sel:DWORD dst_unused:UNUSED_PAD src0_sel:WORD_1
	global_load_dwordx2 v[44:45], v[42:43], off offset:4
	v_dot4c_i32_i8_e32 v57, v63, v22
	global_load_dwordx2 v[42:43], v[42:43], off offset:20
	s_waitcnt vmcnt(4)
	v_dot4c_i32_i8_e32 v58, v63, v52
	s_waitcnt vmcnt(3)
	v_dot4c_i32_i8_e32 v59, v63, v54
	v_dot4c_i32_i8_e32 v57, v50, v24
	;; [unrolled: 1-line block ×3, first 2 shown]
	s_waitcnt vmcnt(2)
	v_dot4c_i32_i8_e32 v59, v50, v26
	v_cvt_f32_f16_e32 v34, v41
	v_cvt_f32_f16_sdwa v36, v41 dst_sel:DWORD dst_unused:UNUSED_PAD src0_sel:WORD_1
	v_cvt_f32_f16_e32 v39, v48
	v_cvt_f32_f16_sdwa v41, v48 dst_sel:DWORD dst_unused:UNUSED_PAD src0_sel:WORD_1
	v_mov_b32_e32 v48, 0
	v_dot4c_i32_i8_e32 v48, v62, v22
	v_dot4c_i32_i8_e32 v48, v49, v24
	;; [unrolled: 1-line block ×10, first 2 shown]
	v_cvt_f32_f16_e32 v31, v61
	v_cvt_f32_i32_e32 v22, v57
	v_cvt_f32_i32_e32 v24, v58
	;; [unrolled: 1-line block ×3, first 2 shown]
	v_cvt_f32_f16_sdwa v33, v61 dst_sel:DWORD dst_unused:UNUSED_PAD src0_sel:WORD_1
	v_pk_mul_f32 v[20:21], v[20:21], v[22:23]
	s_nop 0
	v_pk_fma_f32 v[20:21], v[28:29], 0.5, v[20:21] op_sel_hi:[1,0,1]
	s_waitcnt vmcnt(1)
	v_dot4c_i32_i8_e32 v60, v63, v44
	v_pk_add_f32 v[0:1], v[0:1], v[20:21]
	s_waitcnt vmcnt(0)
	v_dot4c_i32_i8_e32 v60, v50, v42
	v_mov_b32_e32 v50, 0
	v_dot4c_i32_i8_e32 v50, v62, v52
	v_mov_b32_e32 v52, 0
	;; [unrolled: 2-line block ×3, first 2 shown]
	v_dot4c_i32_i8_e32 v54, v62, v44
	v_dot4c_i32_i8_e32 v50, v49, v46
	;; [unrolled: 1-line block ×12, first 2 shown]
	v_cvt_f32_i32_e32 v26, v59
	v_cvt_f32_i32_e32 v42, v60
	;; [unrolled: 1-line block ×5, first 2 shown]
	v_pk_mul_f32 v[22:23], v[30:31], v[24:25]
	v_pk_mul_f32 v[24:25], v[34:35], v[26:27]
	;; [unrolled: 1-line block ×3, first 2 shown]
	v_pk_fma_f32 v[22:23], v[32:33], 0.5, v[22:23] op_sel_hi:[1,0,1]
	v_pk_fma_f32 v[24:25], v[36:37], 0.5, v[24:25] op_sel_hi:[1,0,1]
	;; [unrolled: 1-line block ×3, first 2 shown]
	v_pk_add_f32 v[2:3], v[2:3], v[22:23]
	v_pk_add_f32 v[4:5], v[4:5], v[24:25]
	v_pk_add_f32 v[6:7], v[6:7], v[26:27]
	s_andn2_b64 exec, exec, s[12:13]
	s_cbranch_execnz .LBB55_2
; %bb.3:
	s_or_b64 exec, exec, s[12:13]
	scratch_store_dwordx4 off, v[0:3], off
	scratch_store_dwordx4 off, v[4:7], off offset:16
.LBB55_4:
	s_or_b64 exec, exec, s[6:7]
	v_cmp_eq_u32_e32 vcc, 0, v9
	v_cmp_ne_u32_e64 s[6:7], 0, v9
	v_lshlrev_b32_e32 v10, 2, v8
	s_and_saveexec_b64 s[8:9], s[6:7]
	s_cbranch_execz .LBB55_6
; %bb.5:
	v_lshlrev_b32_e32 v9, 11, v9
	s_movk_i32 s2, 0xf800
	v_add3_u32 v9, v9, v10, s2
	ds_write2st64_b32 v9, v0, v1 offset1:1
	ds_write2st64_b32 v9, v2, v3 offset0:2 offset1:3
	ds_write2st64_b32 v9, v4, v5 offset0:4 offset1:5
	ds_write2st64_b32 v9, v6, v7 offset0:6 offset1:7
.LBB55_6:
	s_or_b64 exec, exec, s[8:9]
	s_waitcnt lgkmcnt(0)
	s_barrier
	s_and_saveexec_b64 s[6:7], vcc
	s_cbranch_execz .LBB55_15
; %bb.7:
	scratch_load_dwordx2 v[2:3], off, off
	v_mbcnt_lo_u32_b32 v0, -1, 0
	ds_read2st64_b32 v[4:5], v10 offset1:1
	v_mbcnt_hi_u32_b32 v9, -1, v0
	v_and_b32_e32 v0, 64, v9
	v_xor_b32_e32 v1, 32, v9
	v_add_u32_e32 v14, 64, v0
	v_cmp_lt_i32_e32 vcc, v1, v14
	v_xor_b32_e32 v6, 16, v9
	v_xor_b32_e32 v11, 8, v9
	v_cndmask_b32_e32 v0, v9, v1, vcc
	v_lshlrev_b32_e32 v0, 2, v0
	v_cmp_lt_i32_e32 vcc, v6, v14
	v_xor_b32_e32 v12, 4, v9
	v_xor_b32_e32 v15, 2, v9
	v_cndmask_b32_e32 v1, v9, v6, vcc
	v_lshlrev_b32_e32 v1, 2, v1
	v_cmp_lt_i32_e32 vcc, v11, v14
	s_load_dwordx2 s[0:1], s[0:1], 0x38
	s_mul_i32 s2, s3, s14
	s_mul_i32 s4, s4, s18
	s_add_i32 s2, s2, s5
	s_mov_b32 s3, 0
	s_add_i32 s2, s2, s4
	s_lshl_b64 s[2:3], s[2:3], 2
	s_waitcnt lgkmcnt(0)
	s_add_u32 s2, s0, s2
	s_addc_u32 s3, s1, s3
	s_waitcnt vmcnt(0)
	v_pk_add_f32 v[2:3], v[4:5], v[2:3]
	ds_bpermute_b32 v4, v0, v2
	ds_bpermute_b32 v5, v0, v3
	s_waitcnt lgkmcnt(0)
	v_pk_add_f32 v[4:5], v[2:3], v[4:5]
	ds_bpermute_b32 v6, v1, v4
	ds_bpermute_b32 v7, v1, v5
	v_cndmask_b32_e32 v2, v9, v11, vcc
	v_lshlrev_b32_e32 v2, 2, v2
	v_cmp_lt_i32_e32 vcc, v12, v14
	v_xor_b32_e32 v11, 1, v9
	s_waitcnt lgkmcnt(0)
	v_pk_add_f32 v[4:5], v[4:5], v[6:7]
	ds_bpermute_b32 v6, v2, v4
	ds_bpermute_b32 v7, v2, v5
	v_cndmask_b32_e32 v3, v9, v12, vcc
	v_lshlrev_b32_e32 v3, 2, v3
	v_cmp_lt_i32_e32 vcc, v15, v14
	s_waitcnt lgkmcnt(0)
	v_pk_add_f32 v[6:7], v[4:5], v[6:7]
	ds_bpermute_b32 v12, v3, v6
	ds_bpermute_b32 v13, v3, v7
	v_cndmask_b32_e32 v4, v9, v15, vcc
	v_lshlrev_b32_e32 v4, 2, v4
	v_cmp_lt_i32_e32 vcc, v11, v14
	s_waitcnt lgkmcnt(0)
	v_pk_add_f32 v[6:7], v[6:7], v[12:13]
	ds_bpermute_b32 v12, v4, v6
	ds_bpermute_b32 v13, v4, v7
	v_cndmask_b32_e32 v5, v9, v11, vcc
	v_lshlrev_b32_e32 v5, 2, v5
	v_or_b32_e32 v9, s5, v8
	v_cmp_gt_u32_e32 vcc, 2, v8
	s_waitcnt lgkmcnt(0)
	v_pk_add_f32 v[6:7], v[6:7], v[12:13]
	ds_bpermute_b32 v12, v5, v6
	ds_bpermute_b32 v13, v5, v7
	v_cmp_gt_u32_e64 s[0:1], s10, v9
	s_and_b64 s[0:1], vcc, s[0:1]
	s_waitcnt lgkmcnt(0)
	v_pk_add_f32 v[6:7], v[6:7], v[12:13]
	scratch_store_dwordx2 off, v[6:7], off
	s_and_saveexec_b64 s[4:5], s[0:1]
	s_cbranch_execz .LBB55_9
; %bb.8:
	scratch_load_dword v6, v10, off
	s_waitcnt vmcnt(0)
	global_store_dword v10, v6, s[2:3]
.LBB55_9:
	s_or_b64 exec, exec, s[4:5]
	scratch_load_dwordx2 v[6:7], off, off offset:8
	ds_read2st64_b32 v[12:13], v10 offset0:2 offset1:3
	s_waitcnt vmcnt(0) lgkmcnt(0)
	v_pk_add_f32 v[6:7], v[12:13], v[6:7]
	ds_bpermute_b32 v12, v0, v6
	ds_bpermute_b32 v13, v0, v7
	s_waitcnt lgkmcnt(0)
	v_pk_add_f32 v[6:7], v[6:7], v[12:13]
	ds_bpermute_b32 v12, v1, v6
	ds_bpermute_b32 v13, v1, v7
	s_waitcnt lgkmcnt(0)
	;; [unrolled: 4-line block ×6, first 2 shown]
	v_pk_add_f32 v[6:7], v[6:7], v[12:13]
	scratch_store_dwordx2 off, v[6:7], off offset:8
	s_and_saveexec_b64 s[4:5], s[0:1]
	s_cbranch_execz .LBB55_11
; %bb.10:
	scratch_load_dword v9, v10, off offset:8
	v_add_u32_e32 v6, s10, v8
	v_mov_b32_e32 v7, 0
	v_lshl_add_u64 v[6:7], v[6:7], 2, s[2:3]
	s_waitcnt vmcnt(0)
	global_store_dword v[6:7], v9, off
.LBB55_11:
	s_or_b64 exec, exec, s[4:5]
	scratch_load_dwordx2 v[6:7], off, off offset:16
	ds_read2st64_b32 v[12:13], v10 offset0:4 offset1:5
	s_waitcnt vmcnt(0) lgkmcnt(0)
	v_pk_add_f32 v[6:7], v[12:13], v[6:7]
	ds_bpermute_b32 v12, v0, v6
	ds_bpermute_b32 v13, v0, v7
	s_waitcnt lgkmcnt(0)
	v_pk_add_f32 v[6:7], v[6:7], v[12:13]
	ds_bpermute_b32 v12, v1, v6
	ds_bpermute_b32 v13, v1, v7
	s_waitcnt lgkmcnt(0)
	v_pk_add_f32 v[6:7], v[6:7], v[12:13]
	ds_bpermute_b32 v12, v2, v6
	ds_bpermute_b32 v13, v2, v7
	s_waitcnt lgkmcnt(0)
	v_pk_add_f32 v[6:7], v[6:7], v[12:13]
	ds_bpermute_b32 v12, v3, v6
	ds_bpermute_b32 v13, v3, v7
	s_waitcnt lgkmcnt(0)
	v_pk_add_f32 v[6:7], v[6:7], v[12:13]
	ds_bpermute_b32 v12, v4, v6
	ds_bpermute_b32 v13, v4, v7
	s_waitcnt lgkmcnt(0)
	v_pk_add_f32 v[6:7], v[6:7], v[12:13]
	ds_bpermute_b32 v12, v5, v6
	ds_bpermute_b32 v13, v5, v7
	s_waitcnt lgkmcnt(0)
	v_pk_add_f32 v[6:7], v[6:7], v[12:13]
	scratch_store_dwordx2 off, v[6:7], off offset:16
	s_and_saveexec_b64 s[4:5], s[0:1]
	s_cbranch_execz .LBB55_13
; %bb.12:
	scratch_load_dword v9, v10, off offset:16
	v_lshl_or_b32 v6, s10, 1, v8
	v_mov_b32_e32 v7, 0
	v_lshl_add_u64 v[6:7], v[6:7], 2, s[2:3]
	s_waitcnt vmcnt(0)
	global_store_dword v[6:7], v9, off
.LBB55_13:
	s_or_b64 exec, exec, s[4:5]
	scratch_load_dwordx2 v[6:7], off, off offset:24
	ds_read2st64_b32 v[12:13], v10 offset0:6 offset1:7
	s_waitcnt vmcnt(0) lgkmcnt(0)
	v_pk_add_f32 v[6:7], v[12:13], v[6:7]
	ds_bpermute_b32 v12, v0, v6
	ds_bpermute_b32 v13, v0, v7
	s_waitcnt lgkmcnt(0)
	v_pk_add_f32 v[6:7], v[6:7], v[12:13]
	ds_bpermute_b32 v0, v1, v6
	ds_bpermute_b32 v1, v1, v7
	s_waitcnt lgkmcnt(0)
	;; [unrolled: 4-line block ×6, first 2 shown]
	v_pk_add_f32 v[0:1], v[0:1], v[2:3]
	scratch_store_dwordx2 off, v[0:1], off offset:24
	s_and_b64 exec, exec, s[0:1]
	s_cbranch_execz .LBB55_15
; %bb.14:
	scratch_load_dword v2, v10, off offset:24
	v_mad_u64_u32 v[0:1], s[0:1], s10, 3, v[8:9]
	v_mov_b32_e32 v1, 0
	v_lshl_add_u64 v[0:1], v[0:1], 2, s[2:3]
	s_waitcnt vmcnt(0)
	global_store_dword v[0:1], v2, off
.LBB55_15:
	s_endpgm
	.section	.rodata,"a",@progbits
	.p2align	6, 0x0
	.amdhsa_kernel _ZL13mul_mat_vec_qIL9ggml_type7ELi4ELb0ELb0EEvPKvS2_PKi31ggml_cuda_mm_fusion_args_devicePfj15HIP_vector_typeIjLj3EEjjjS8_jjjS8_jjjj
		.amdhsa_group_segment_fixed_size 2048
		.amdhsa_private_segment_fixed_size 48
		.amdhsa_kernarg_size 144
		.amdhsa_user_sgpr_count 2
		.amdhsa_user_sgpr_dispatch_ptr 0
		.amdhsa_user_sgpr_queue_ptr 0
		.amdhsa_user_sgpr_kernarg_segment_ptr 1
		.amdhsa_user_sgpr_dispatch_id 0
		.amdhsa_user_sgpr_kernarg_preload_length 0
		.amdhsa_user_sgpr_kernarg_preload_offset 0
		.amdhsa_user_sgpr_private_segment_size 0
		.amdhsa_uses_dynamic_stack 0
		.amdhsa_enable_private_segment 1
		.amdhsa_system_sgpr_workgroup_id_x 1
		.amdhsa_system_sgpr_workgroup_id_y 1
		.amdhsa_system_sgpr_workgroup_id_z 1
		.amdhsa_system_sgpr_workgroup_info 0
		.amdhsa_system_vgpr_workitem_id 1
		.amdhsa_next_free_vgpr 65
		.amdhsa_next_free_sgpr 26
		.amdhsa_accum_offset 68
		.amdhsa_reserve_vcc 1
		.amdhsa_float_round_mode_32 0
		.amdhsa_float_round_mode_16_64 0
		.amdhsa_float_denorm_mode_32 3
		.amdhsa_float_denorm_mode_16_64 3
		.amdhsa_dx10_clamp 1
		.amdhsa_ieee_mode 1
		.amdhsa_fp16_overflow 0
		.amdhsa_tg_split 0
		.amdhsa_exception_fp_ieee_invalid_op 0
		.amdhsa_exception_fp_denorm_src 0
		.amdhsa_exception_fp_ieee_div_zero 0
		.amdhsa_exception_fp_ieee_overflow 0
		.amdhsa_exception_fp_ieee_underflow 0
		.amdhsa_exception_fp_ieee_inexact 0
		.amdhsa_exception_int_div_zero 0
	.end_amdhsa_kernel
	.section	.text._ZL13mul_mat_vec_qIL9ggml_type7ELi4ELb0ELb0EEvPKvS2_PKi31ggml_cuda_mm_fusion_args_devicePfj15HIP_vector_typeIjLj3EEjjjS8_jjjS8_jjjj,"axG",@progbits,_ZL13mul_mat_vec_qIL9ggml_type7ELi4ELb0ELb0EEvPKvS2_PKi31ggml_cuda_mm_fusion_args_devicePfj15HIP_vector_typeIjLj3EEjjjS8_jjjS8_jjjj,comdat
.Lfunc_end55:
	.size	_ZL13mul_mat_vec_qIL9ggml_type7ELi4ELb0ELb0EEvPKvS2_PKi31ggml_cuda_mm_fusion_args_devicePfj15HIP_vector_typeIjLj3EEjjjS8_jjjS8_jjjj, .Lfunc_end55-_ZL13mul_mat_vec_qIL9ggml_type7ELi4ELb0ELb0EEvPKvS2_PKi31ggml_cuda_mm_fusion_args_devicePfj15HIP_vector_typeIjLj3EEjjjS8_jjjS8_jjjj
                                        ; -- End function
	.section	.AMDGPU.csdata,"",@progbits
; Kernel info:
; codeLenInByte = 3028
; NumSgprs: 32
; NumVgprs: 65
; NumAgprs: 0
; TotalNumVgprs: 65
; ScratchSize: 48
; MemoryBound: 0
; FloatMode: 240
; IeeeMode: 1
; LDSByteSize: 2048 bytes/workgroup (compile time only)
; SGPRBlocks: 3
; VGPRBlocks: 8
; NumSGPRsForWavesPerEU: 32
; NumVGPRsForWavesPerEU: 65
; AccumOffset: 68
; Occupancy: 7
; WaveLimiterHint : 0
; COMPUTE_PGM_RSRC2:SCRATCH_EN: 1
; COMPUTE_PGM_RSRC2:USER_SGPR: 2
; COMPUTE_PGM_RSRC2:TRAP_HANDLER: 0
; COMPUTE_PGM_RSRC2:TGID_X_EN: 1
; COMPUTE_PGM_RSRC2:TGID_Y_EN: 1
; COMPUTE_PGM_RSRC2:TGID_Z_EN: 1
; COMPUTE_PGM_RSRC2:TIDIG_COMP_CNT: 1
; COMPUTE_PGM_RSRC3_GFX90A:ACCUM_OFFSET: 16
; COMPUTE_PGM_RSRC3_GFX90A:TG_SPLIT: 0
	.section	.text._ZL13mul_mat_vec_qIL9ggml_type7ELi5ELb0ELb0EEvPKvS2_PKi31ggml_cuda_mm_fusion_args_devicePfj15HIP_vector_typeIjLj3EEjjjS8_jjjS8_jjjj,"axG",@progbits,_ZL13mul_mat_vec_qIL9ggml_type7ELi5ELb0ELb0EEvPKvS2_PKi31ggml_cuda_mm_fusion_args_devicePfj15HIP_vector_typeIjLj3EEjjjS8_jjjS8_jjjj,comdat
	.globl	_ZL13mul_mat_vec_qIL9ggml_type7ELi5ELb0ELb0EEvPKvS2_PKi31ggml_cuda_mm_fusion_args_devicePfj15HIP_vector_typeIjLj3EEjjjS8_jjjS8_jjjj ; -- Begin function _ZL13mul_mat_vec_qIL9ggml_type7ELi5ELb0ELb0EEvPKvS2_PKi31ggml_cuda_mm_fusion_args_devicePfj15HIP_vector_typeIjLj3EEjjjS8_jjjS8_jjjj
	.p2align	8
	.type	_ZL13mul_mat_vec_qIL9ggml_type7ELi5ELb0ELb0EEvPKvS2_PKi31ggml_cuda_mm_fusion_args_devicePfj15HIP_vector_typeIjLj3EEjjjS8_jjjS8_jjjj,@function
_ZL13mul_mat_vec_qIL9ggml_type7ELi5ELb0ELb0EEvPKvS2_PKi31ggml_cuda_mm_fusion_args_devicePfj15HIP_vector_typeIjLj3EEjjjS8_jjjS8_jjjj: ; @_ZL13mul_mat_vec_qIL9ggml_type7ELi5ELb0ELb0EEvPKvS2_PKi31ggml_cuda_mm_fusion_args_devicePfj15HIP_vector_typeIjLj3EEjjjS8_jjjS8_jjjj
; %bb.0:
	v_bfe_u32 v9, v0, 10, 10
	v_lshlrev_b32_e32 v1, 6, v9
	v_and_b32_e32 v8, 0x3ff, v0
	s_mov_b32 s20, 0
	s_load_dword s5, s[0:1], 0x40
	s_load_dwordx4 s[8:11], s[0:1], 0x50
	s_load_dword s25, s[0:1], 0x60
	s_load_dwordx4 s[12:15], s[0:1], 0x68
	;; [unrolled: 2-line block ×3, first 2 shown]
	s_mov_b32 s21, s20
	v_add_u16_e32 v0, v1, v8
	s_waitcnt lgkmcnt(0)
	s_lshr_b32 s5, s5, 5
	v_mov_b32_e32 v11, 0
	s_mov_b32 s22, s20
	s_mov_b32 s23, s20
	v_mov_b64_e32 v[2:3], s[20:21]
	v_lshrrev_b16_e32 v20, 1, v0
	s_lshl_b32 s2, s2, 1
	v_mov_b32_e32 v10, v11
	v_mov_b64_e32 v[4:5], s[22:23]
	v_cmp_gt_u32_e32 vcc, s5, v20
	scratch_store_dwordx2 off, v[10:11], off offset:32
	scratch_store_dwordx4 off, v[2:5], off offset:16
	scratch_store_dwordx4 off, v[2:5], off
	s_and_saveexec_b64 s[6:7], vcc
	s_cbranch_execz .LBB56_4
; %bb.1:
	s_load_dwordx4 s[20:23], s[0:1], 0x0
	s_mul_i32 s17, s4, s17
	s_mul_hi_u32 s19, s17, 36
	s_mul_i32 s17, s17, 36
	s_mul_i32 s13, s3, s13
	s_waitcnt lgkmcnt(0)
	s_add_u32 s17, s22, s17
	s_addc_u32 s19, s23, s19
	s_mul_hi_u32 s23, s13, 36
	s_mul_i32 s13, s13, 36
	s_add_u32 s22, s17, s13
	s_mul_hi_u32 s11, s11, s3
	s_addc_u32 s23, s19, s23
	s_add_i32 s11, s3, s11
	v_and_b32_e32 v2, 1, v8
	s_lshr_b32 s11, s11, s25
	v_lshlrev_b32_e32 v10, 3, v2
	v_and_b32_e32 v2, v1, v8
	v_xor_b32_e32 v1, v1, v8
	s_mul_i32 s17, s11, s12
	s_mul_hi_u32 s11, s15, s4
	v_lshrrev_b16_e32 v1, 1, v1
	s_add_i32 s11, s4, s11
	v_add_u16_e32 v1, v2, v1
	s_lshr_b32 s11, s11, s24
	v_lshlrev_b32_e32 v0, 1, v8
	v_mad_u64_u32 v[12:13], s[12:13], v1, 36, s[22:23]
	s_mul_i32 s16, s11, s16
	v_and_b32_e32 v0, 2, v0
	s_add_i32 s13, s2, 1
	v_lshlrev_b32_e32 v21, 2, v0
	s_mul_i32 s24, s2, s8
	s_add_i32 s12, s16, s17
	s_mul_i32 s8, s8, s13
	v_or_b32_e32 v22, 4, v21
	s_lshl_b32 s11, s9, 1
	s_mul_i32 s15, s9, 3
	s_lshl_b32 s19, s9, 2
	s_add_i32 s8, s12, s8
	s_add_i32 s24, s12, s24
	s_mov_b64 s[12:13], 0
	v_lshlrev_b32_e32 v16, 2, v0
	v_mov_b32_e32 v17, v11
	s_mov_b64 s[16:17], 0x480
	v_mov_b32_e32 v4, v11
	v_mov_b32_e32 v5, v11
	;; [unrolled: 1-line block ×10, first 2 shown]
.LBB56_2:                               ; =>This Inner Loop Header: Depth=1
	v_add_u32_e32 v23, s24, v20
	v_mad_i64_i32 v[24:25], s[26:27], v23, 24, s[20:21]
	v_lshl_add_u64 v[36:37], v[24:25], 0, v[16:17]
	global_load_dwordx2 v[24:25], v[24:25], off
	v_add_u32_e32 v26, s8, v20
	v_add_u32_e32 v28, s9, v20
	;; [unrolled: 1-line block ×3, first 2 shown]
	global_load_dword v54, v[12:13], off
	v_add_u32_e32 v30, s11, v20
	v_add_u32_e32 v32, s15, v20
	v_mad_i64_i32 v[26:27], s[26:27], v26, 24, s[20:21]
	v_mad_u64_u32 v[28:29], s[26:27], v28, 36, s[22:23]
	v_mad_u64_u32 v[34:35], s[26:27], v34, 36, s[22:23]
	;; [unrolled: 1-line block ×4, first 2 shown]
	v_lshl_add_u64 v[38:39], v[26:27], 0, v[16:17]
	v_lshl_add_u64 v[40:41], v[28:29], 0, v[16:17]
	;; [unrolled: 1-line block ×3, first 2 shown]
	global_load_dwordx2 v[44:45], v[36:37], off offset:8
	global_load_dwordx2 v[46:47], v[40:41], off offset:20
	global_load_dword v23, v[30:31], off
	global_load_dword v58, v[28:29], off
	;; [unrolled: 1-line block ×3, first 2 shown]
	global_load_dwordx2 v[48:49], v[42:43], off offset:20
	global_load_dword v60, v[34:35], off
	global_load_dwordx2 v[50:51], v[26:27], off
	global_load_dwordx2 v[52:53], v[38:39], off offset:8
	v_lshl_add_u64 v[18:19], v[12:13], 0, v[10:11]
	v_mov_b32_e32 v57, 0
	v_mov_b32_e32 v55, 0
	;; [unrolled: 1-line block ×6, first 2 shown]
	v_add_u32_e32 v20, 32, v20
	v_cmp_le_u32_e32 vcc, s5, v20
	v_lshl_add_u64 v[12:13], v[12:13], 0, s[16:17]
	s_or_b64 s[12:13], vcc, s[12:13]
	s_waitcnt vmcnt(10)
	v_ashrrev_i32_e32 v26, v21, v25
	v_lshlrev_b32_e32 v28, 4, v26
	v_lshlrev_b32_e32 v29, 11, v26
	v_lshrrev_b32_e32 v37, 12, v26
	v_lshrrev_b32_e32 v38, 5, v26
	v_lshlrev_b32_e32 v39, 2, v26
	v_ashrrev_i32_e32 v25, v22, v25
	v_and_b32_e32 v28, 16, v28
	v_and_b32_e32 v29, 0x1000, v29
	;; [unrolled: 1-line block ×5, first 2 shown]
	s_waitcnt vmcnt(8)
	v_and_b32_e32 v27, 0xf0f0f0f, v44
	v_or3_b32 v27, v28, v27, v29
	v_lshlrev_b32_e32 v28, 4, v25
	v_lshlrev_b32_e32 v29, 11, v25
	v_or3_b32 v37, v38, v37, v39
	v_lshlrev_b32_e32 v38, 18, v25
	v_and_b32_e32 v28, 16, v28
	v_and_b32_e32 v29, 0x1000, v29
	;; [unrolled: 1-line block ×3, first 2 shown]
	v_lshrrev_b32_e32 v39, 12, v25
	v_or3_b32 v28, v29, v28, v38
	v_lshrrev_b32_e32 v29, 5, v25
	v_lshlrev_b32_e32 v38, 2, v25
	v_lshlrev_b32_e32 v35, 18, v26
	;; [unrolled: 1-line block ×3, first 2 shown]
	v_and_b32_e32 v39, 16, v39
	v_and_b32_e32 v29, 0x1000, v29
	;; [unrolled: 1-line block ×3, first 2 shown]
	v_or3_b32 v29, v29, v39, v38
	v_lshrrev_b32_e32 v38, 4, v44
	v_lshlrev_b32_e32 v26, 9, v26
	v_and_b32_e32 v35, 0x100000, v35
	v_and_b32_e32 v36, 0x10000000, v36
	v_pk_mul_f16 v34, v24, v54
	v_and_b32_e32 v39, 0xf0f0f0f, v45
	v_lshrrev_b32_e32 v44, 4, v45
	s_waitcnt vmcnt(5)
	v_pk_mul_f16 v45, v24, v58
	v_or3_b32 v61, v27, v35, v36
	v_pk_mul_f16 v62, v24, v23
	s_waitcnt vmcnt(4)
	v_pk_mul_f16 v63, v24, v59
	s_waitcnt vmcnt(2)
	;; [unrolled: 2-line block ×3, first 2 shown]
	v_ashrrev_i32_e32 v24, v21, v51
	v_ashrrev_i32_e32 v27, v22, v51
	v_lshlrev_b32_e32 v51, 25, v25
	v_lshlrev_b32_e32 v25, 9, v25
	v_and_b32_e32 v38, 0xf0f0f0f, v38
	v_and_b32_e32 v26, 0x10000000, v26
	v_pk_mul_f16 v36, v50, v58
	v_or3_b32 v58, v37, v26, v38
	v_and_b32_e32 v37, 0x10000000, v51
	v_and_b32_e32 v38, 0xf0f0f0f, v44
	;; [unrolled: 1-line block ×3, first 2 shown]
	v_pk_mul_f16 v35, v50, v54
	v_pk_mul_f16 v54, v50, v59
	v_lshlrev_b32_e32 v44, 4, v24
	v_or3_b32 v51, v28, v37, v39
	v_lshlrev_b32_e32 v28, 11, v24
	v_lshrrev_b32_e32 v37, 12, v24
	v_or3_b32 v59, v29, v25, v38
	v_lshrrev_b32_e32 v25, 5, v24
	v_lshlrev_b32_e32 v29, 2, v24
	s_waitcnt vmcnt(0)
	v_and_b32_e32 v26, 0xf0f0f0f, v52
	v_and_b32_e32 v38, 16, v44
	;; [unrolled: 1-line block ×6, first 2 shown]
	v_or3_b32 v26, v38, v26, v28
	v_lshlrev_b32_e32 v28, 4, v27
	v_lshlrev_b32_e32 v38, 11, v27
	v_or3_b32 v25, v25, v37, v29
	v_lshlrev_b32_e32 v29, 18, v27
	v_and_b32_e32 v28, 16, v28
	v_and_b32_e32 v38, 0x1000, v38
	;; [unrolled: 1-line block ×3, first 2 shown]
	v_lshrrev_b32_e32 v37, 12, v27
	v_or3_b32 v28, v38, v28, v29
	v_lshrrev_b32_e32 v29, 5, v27
	v_lshlrev_b32_e32 v38, 2, v27
	v_and_b32_e32 v37, 16, v37
	v_and_b32_e32 v29, 0x1000, v29
	;; [unrolled: 1-line block ×3, first 2 shown]
	v_or3_b32 v29, v29, v37, v38
	v_lshlrev_b32_e32 v37, 18, v24
	v_lshlrev_b32_e32 v38, 25, v24
	v_and_b32_e32 v37, 0x100000, v37
	v_and_b32_e32 v38, 0x10000000, v38
	v_or3_b32 v44, v26, v37, v38
	v_lshrrev_b32_e32 v26, 4, v52
	v_lshlrev_b32_e32 v24, 9, v24
	v_and_b32_e32 v26, 0xf0f0f0f, v26
	v_and_b32_e32 v24, 0x10000000, v24
	v_or3_b32 v52, v25, v24, v26
	v_lshlrev_b32_e32 v25, 25, v27
	v_and_b32_e32 v24, 0xf0f0f0f, v53
	v_and_b32_e32 v25, 0x10000000, v25
	v_or3_b32 v65, v28, v25, v24
	v_lshrrev_b32_e32 v24, 4, v53
	v_lshlrev_b32_e32 v25, 9, v27
	v_and_b32_e32 v24, 0xf0f0f0f, v24
	v_and_b32_e32 v25, 0x10000000, v25
	v_or3_b32 v68, v29, v25, v24
	global_load_dwordx2 v[24:25], v[18:19], off offset:4
	global_load_dwordx2 v[26:27], v[18:19], off offset:20
	;; [unrolled: 1-line block ×3, first 2 shown]
	v_pk_mul_f16 v23, v50, v23
	v_pk_mul_f16 v50, v50, v60
	v_mov_b32_e32 v60, 0
	v_lshl_add_u64 v[18:19], v[30:31], 0, v[16:17]
	v_mov_b32_e32 v53, 0
	v_cvt_f32_f16_e32 v37, v23
	v_cvt_f32_f16_sdwa v39, v23 dst_sel:DWORD dst_unused:UNUSED_PAD src0_sel:WORD_1
	v_mov_b32_e32 v23, 0
	v_cvt_f32_f16_sdwa v38, v62 dst_sel:DWORD dst_unused:UNUSED_PAD src0_sel:WORD_1
	s_waitcnt vmcnt(2)
	v_dot4c_i32_i8_e32 v55, v61, v24
	v_dot4c_i32_i8_e32 v56, v44, v24
	s_waitcnt vmcnt(0)
	v_dot4c_i32_i8_e32 v57, v61, v28
	v_dot4c_i32_i8_e32 v60, v44, v28
	;; [unrolled: 1-line block ×6, first 2 shown]
	global_load_dwordx2 v[28:29], v[18:19], off offset:4
	global_load_dwordx2 v[30:31], v[18:19], off offset:20
	v_dot4c_i32_i8_e32 v55, v58, v26
	v_dot4c_i32_i8_e32 v56, v52, v26
	;; [unrolled: 1-line block ×4, first 2 shown]
	v_lshl_add_u64 v[24:25], v[32:33], 0, v[16:17]
	v_dot4c_i32_i8_e32 v55, v59, v27
	v_dot4c_i32_i8_e32 v57, v59, v47
	;; [unrolled: 1-line block ×4, first 2 shown]
	v_cvt_f32_f16_e32 v33, v36
	v_cvt_f32_f16_e32 v32, v45
	v_cvt_f32_i32_e32 v26, v55
	v_cvt_f32_i32_e32 v27, v56
	s_waitcnt vmcnt(1)
	v_dot4c_i32_i8_e32 v66, v61, v28
	v_dot4c_i32_i8_e32 v67, v44, v28
	s_waitcnt vmcnt(0)
	v_dot4c_i32_i8_e32 v66, v58, v30
	v_dot4c_i32_i8_e32 v67, v52, v30
	v_dot4c_i32_i8_e32 v66, v51, v29
	v_dot4c_i32_i8_e32 v67, v65, v29
	global_load_dwordx2 v[18:19], v[24:25], off offset:4
	global_load_dwordx2 v[28:29], v[24:25], off offset:20
	;; [unrolled: 1-line block ×3, first 2 shown]
	v_dot4c_i32_i8_e32 v66, v59, v31
	v_dot4c_i32_i8_e32 v67, v68, v31
	v_cvt_f32_f16_sdwa v24, v34 dst_sel:DWORD dst_unused:UNUSED_PAD src0_sel:WORD_1
	v_cvt_f32_f16_sdwa v25, v35 dst_sel:DWORD dst_unused:UNUSED_PAD src0_sel:WORD_1
	v_cvt_f32_i32_e32 v30, v66
	v_cvt_f32_i32_e32 v31, v67
	v_cvt_f32_f16_sdwa v43, v54 dst_sel:DWORD dst_unused:UNUSED_PAD src0_sel:WORD_1
	v_cvt_f32_f16_sdwa v42, v63 dst_sel:DWORD dst_unused:UNUSED_PAD src0_sel:WORD_1
	s_waitcnt vmcnt(2)
	v_dot4c_i32_i8_e32 v53, v61, v18
	s_waitcnt vmcnt(1)
	v_dot4c_i32_i8_e32 v53, v58, v28
	;; [unrolled: 2-line block ×3, first 2 shown]
	v_dot4c_i32_i8_e32 v23, v58, v48
	v_mov_b32_e32 v58, 0
	v_dot4c_i32_i8_e32 v69, v44, v18
	v_dot4c_i32_i8_e32 v58, v44, v40
	v_dot4c_i32_i8_e32 v69, v52, v28
	v_dot4c_i32_i8_e32 v58, v52, v48
	v_dot4c_i32_i8_e32 v53, v51, v19
	v_dot4c_i32_i8_e32 v69, v65, v19
	v_dot4c_i32_i8_e32 v23, v51, v41
	v_dot4c_i32_i8_e32 v58, v65, v41
	v_dot4c_i32_i8_e32 v53, v59, v29
	v_dot4c_i32_i8_e32 v23, v59, v49
	v_dot4c_i32_i8_e32 v69, v68, v29
	v_dot4c_i32_i8_e32 v58, v68, v49
	v_cvt_f32_f16_e32 v18, v34
	v_cvt_f32_f16_e32 v19, v35
	v_cvt_f32_f16_sdwa v35, v36 dst_sel:DWORD dst_unused:UNUSED_PAD src0_sel:WORD_1
	v_cvt_f32_f16_sdwa v34, v45 dst_sel:DWORD dst_unused:UNUSED_PAD src0_sel:WORD_1
	v_cvt_f32_f16_e32 v36, v62
	v_cvt_f32_f16_e32 v41, v54
	;; [unrolled: 1-line block ×5, first 2 shown]
	v_cvt_f32_i32_e32 v28, v57
	v_cvt_f32_i32_e32 v46, v53
	;; [unrolled: 1-line block ×6, first 2 shown]
	v_cvt_f32_f16_sdwa v51, v50 dst_sel:DWORD dst_unused:UNUSED_PAD src0_sel:WORD_1
	v_cvt_f32_f16_sdwa v50, v64 dst_sel:DWORD dst_unused:UNUSED_PAD src0_sel:WORD_1
	v_pk_mul_f32 v[18:19], v[18:19], v[26:27]
	v_pk_mul_f32 v[26:27], v[32:33], v[28:29]
	;; [unrolled: 1-line block ×5, first 2 shown]
	v_pk_fma_f32 v[18:19], v[24:25], 0.5, v[18:19] op_sel_hi:[1,0,1]
	v_pk_fma_f32 v[24:25], v[34:35], 0.5, v[26:27] op_sel_hi:[1,0,1]
	;; [unrolled: 1-line block ×5, first 2 shown]
	v_pk_add_f32 v[4:5], v[4:5], v[18:19]
	v_pk_add_f32 v[6:7], v[6:7], v[24:25]
	;; [unrolled: 1-line block ×5, first 2 shown]
	s_andn2_b64 exec, exec, s[12:13]
	s_cbranch_execnz .LBB56_2
; %bb.3:
	s_or_b64 exec, exec, s[12:13]
	scratch_store_dwordx4 off, v[4:7], off
	scratch_store_dwordx4 off, v[0:3], off offset:16
	scratch_store_dwordx2 off, v[14:15], off offset:32
.LBB56_4:
	s_or_b64 exec, exec, s[6:7]
	s_mov_b32 s5, 0
	v_cmp_eq_u32_e32 vcc, 0, v9
	s_waitcnt lgkmcnt(0)
	; wave barrier
	s_and_saveexec_b64 s[6:7], vcc
	s_cbranch_execz .LBB56_15
; %bb.5:
	scratch_load_dwordx2 v[2:3], off, off
	v_mbcnt_lo_u32_b32 v0, -1, 0
	v_mbcnt_hi_u32_b32 v9, -1, v0
	s_load_dwordx2 s[6:7], s[0:1], 0x38
	s_mul_i32 s0, s3, s14
	v_or_b32_e32 v1, s2, v8
	v_and_b32_e32 v0, 64, v9
	s_mul_i32 s4, s4, s18
	s_add_i32 s2, s0, s2
	v_cmp_gt_u32_e64 s[0:1], s10, v1
	v_xor_b32_e32 v1, 32, v9
	v_add_u32_e32 v14, 64, v0
	s_add_i32 s4, s2, s4
	v_cmp_lt_i32_e64 s[2:3], v1, v14
	v_cmp_gt_u32_e32 vcc, 2, v8
	s_nop 0
	v_cndmask_b32_e64 v0, v9, v1, s[2:3]
	v_lshlrev_b32_e32 v0, 2, v0
	v_xor_b32_e32 v1, 16, v9
	v_cmp_lt_i32_e64 s[2:3], v1, v14
	s_waitcnt vmcnt(0)
	ds_bpermute_b32 v4, v0, v2
	ds_bpermute_b32 v5, v0, v3
	v_cndmask_b32_e64 v1, v9, v1, s[2:3]
	v_lshlrev_b32_e32 v1, 2, v1
	s_waitcnt lgkmcnt(0)
	v_pk_add_f32 v[4:5], v[2:3], v[4:5]
	ds_bpermute_b32 v6, v1, v4
	ds_bpermute_b32 v7, v1, v5
	v_xor_b32_e32 v2, 8, v9
	v_cmp_lt_i32_e64 s[2:3], v2, v14
	v_xor_b32_e32 v3, 4, v9
	s_waitcnt lgkmcnt(0)
	v_pk_add_f32 v[4:5], v[4:5], v[6:7]
	v_cndmask_b32_e64 v2, v9, v2, s[2:3]
	v_lshlrev_b32_e32 v2, 2, v2
	ds_bpermute_b32 v6, v2, v4
	ds_bpermute_b32 v7, v2, v5
	v_cmp_lt_i32_e64 s[2:3], v3, v14
	s_waitcnt lgkmcnt(0)
	v_pk_add_f32 v[6:7], v[4:5], v[6:7]
	v_cndmask_b32_e64 v3, v9, v3, s[2:3]
	v_lshlrev_b32_e32 v3, 2, v3
	ds_bpermute_b32 v10, v3, v6
	ds_bpermute_b32 v11, v3, v7
	v_xor_b32_e32 v4, 2, v9
	v_cmp_lt_i32_e64 s[2:3], v4, v14
	v_xor_b32_e32 v5, 1, v9
	s_waitcnt lgkmcnt(0)
	v_pk_add_f32 v[10:11], v[6:7], v[10:11]
	v_cndmask_b32_e64 v4, v9, v4, s[2:3]
	v_lshlrev_b32_e32 v4, 2, v4
	ds_bpermute_b32 v12, v4, v10
	ds_bpermute_b32 v13, v4, v11
	v_cmp_lt_i32_e64 s[2:3], v5, v14
	s_waitcnt lgkmcnt(0)
	v_pk_add_f32 v[10:11], v[10:11], v[12:13]
	v_cndmask_b32_e64 v5, v9, v5, s[2:3]
	v_lshlrev_b32_e32 v6, 2, v5
	ds_bpermute_b32 v12, v6, v10
	ds_bpermute_b32 v13, v6, v11
	s_lshl_b64 s[2:3], s[4:5], 2
	s_add_u32 s2, s6, s2
	s_addc_u32 s3, s7, s3
	s_and_b64 s[0:1], vcc, s[0:1]
	s_waitcnt lgkmcnt(0)
	v_pk_add_f32 v[10:11], v[10:11], v[12:13]
	v_lshlrev_b32_e32 v5, 2, v8
	scratch_store_dwordx2 off, v[10:11], off
	s_and_saveexec_b64 s[4:5], s[0:1]
	s_cbranch_execz .LBB56_7
; %bb.6:
	scratch_load_dword v7, v5, off
	s_waitcnt vmcnt(0)
	global_store_dword v5, v7, s[2:3]
.LBB56_7:
	s_or_b64 exec, exec, s[4:5]
	scratch_load_dwordx2 v[10:11], off, off offset:8
	s_waitcnt vmcnt(0)
	ds_bpermute_b32 v12, v0, v10
	ds_bpermute_b32 v13, v0, v11
	s_waitcnt lgkmcnt(0)
	v_pk_add_f32 v[10:11], v[10:11], v[12:13]
	ds_bpermute_b32 v12, v1, v10
	ds_bpermute_b32 v13, v1, v11
	s_waitcnt lgkmcnt(0)
	v_pk_add_f32 v[10:11], v[10:11], v[12:13]
	;; [unrolled: 4-line block ×6, first 2 shown]
	scratch_store_dwordx2 off, v[10:11], off offset:8
	s_and_saveexec_b64 s[4:5], s[0:1]
	s_cbranch_execz .LBB56_9
; %bb.8:
	scratch_load_dword v7, v5, off offset:8
	v_add_u32_e32 v10, s10, v8
	v_mov_b32_e32 v11, 0
	v_lshl_add_u64 v[10:11], v[10:11], 2, s[2:3]
	s_waitcnt vmcnt(0)
	global_store_dword v[10:11], v7, off
.LBB56_9:
	s_or_b64 exec, exec, s[4:5]
	scratch_load_dwordx2 v[10:11], off, off offset:16
	s_waitcnt vmcnt(0)
	ds_bpermute_b32 v12, v0, v10
	ds_bpermute_b32 v13, v0, v11
	s_waitcnt lgkmcnt(0)
	v_pk_add_f32 v[10:11], v[10:11], v[12:13]
	ds_bpermute_b32 v12, v1, v10
	ds_bpermute_b32 v13, v1, v11
	s_waitcnt lgkmcnt(0)
	v_pk_add_f32 v[10:11], v[10:11], v[12:13]
	;; [unrolled: 4-line block ×6, first 2 shown]
	scratch_store_dwordx2 off, v[10:11], off offset:16
	s_and_saveexec_b64 s[4:5], s[0:1]
	s_cbranch_execz .LBB56_11
; %bb.10:
	scratch_load_dword v7, v5, off offset:16
	v_lshl_or_b32 v10, s10, 1, v8
	v_mov_b32_e32 v11, 0
	v_lshl_add_u64 v[10:11], v[10:11], 2, s[2:3]
	s_waitcnt vmcnt(0)
	global_store_dword v[10:11], v7, off
.LBB56_11:
	s_or_b64 exec, exec, s[4:5]
	scratch_load_dwordx2 v[10:11], off, off offset:24
	s_waitcnt vmcnt(0)
	ds_bpermute_b32 v12, v0, v10
	ds_bpermute_b32 v13, v0, v11
	s_waitcnt lgkmcnt(0)
	v_pk_add_f32 v[10:11], v[10:11], v[12:13]
	ds_bpermute_b32 v12, v1, v10
	ds_bpermute_b32 v13, v1, v11
	s_waitcnt lgkmcnt(0)
	v_pk_add_f32 v[10:11], v[10:11], v[12:13]
	;; [unrolled: 4-line block ×6, first 2 shown]
	scratch_store_dwordx2 off, v[10:11], off offset:24
	s_and_saveexec_b64 s[4:5], s[0:1]
	s_cbranch_execz .LBB56_13
; %bb.12:
	scratch_load_dword v7, v5, off offset:24
	v_mad_u64_u32 v[10:11], s[6:7], s10, 3, v[8:9]
	v_mov_b32_e32 v11, 0
	v_lshl_add_u64 v[10:11], v[10:11], 2, s[2:3]
	s_waitcnt vmcnt(0)
	global_store_dword v[10:11], v7, off
.LBB56_13:
	s_or_b64 exec, exec, s[4:5]
	scratch_load_dwordx2 v[10:11], off, off offset:32
	s_waitcnt vmcnt(0)
	ds_bpermute_b32 v12, v0, v10
	ds_bpermute_b32 v13, v0, v11
	s_waitcnt lgkmcnt(0)
	v_pk_add_f32 v[10:11], v[10:11], v[12:13]
	ds_bpermute_b32 v0, v1, v10
	ds_bpermute_b32 v1, v1, v11
	s_waitcnt lgkmcnt(0)
	v_pk_add_f32 v[0:1], v[10:11], v[0:1]
	;; [unrolled: 4-line block ×6, first 2 shown]
	scratch_store_dwordx2 off, v[0:1], off offset:32
	s_and_b64 exec, exec, s[0:1]
	s_cbranch_execz .LBB56_15
; %bb.14:
	scratch_load_dword v2, v5, off offset:32
	v_lshl_or_b32 v0, s10, 2, v8
	v_mov_b32_e32 v1, 0
	v_lshl_add_u64 v[0:1], v[0:1], 2, s[2:3]
	s_waitcnt vmcnt(0)
	global_store_dword v[0:1], v2, off
.LBB56_15:
	s_endpgm
	.section	.rodata,"a",@progbits
	.p2align	6, 0x0
	.amdhsa_kernel _ZL13mul_mat_vec_qIL9ggml_type7ELi5ELb0ELb0EEvPKvS2_PKi31ggml_cuda_mm_fusion_args_devicePfj15HIP_vector_typeIjLj3EEjjjS8_jjjS8_jjjj
		.amdhsa_group_segment_fixed_size 0
		.amdhsa_private_segment_fixed_size 48
		.amdhsa_kernarg_size 144
		.amdhsa_user_sgpr_count 2
		.amdhsa_user_sgpr_dispatch_ptr 0
		.amdhsa_user_sgpr_queue_ptr 0
		.amdhsa_user_sgpr_kernarg_segment_ptr 1
		.amdhsa_user_sgpr_dispatch_id 0
		.amdhsa_user_sgpr_kernarg_preload_length 0
		.amdhsa_user_sgpr_kernarg_preload_offset 0
		.amdhsa_user_sgpr_private_segment_size 0
		.amdhsa_uses_dynamic_stack 0
		.amdhsa_enable_private_segment 1
		.amdhsa_system_sgpr_workgroup_id_x 1
		.amdhsa_system_sgpr_workgroup_id_y 1
		.amdhsa_system_sgpr_workgroup_id_z 1
		.amdhsa_system_sgpr_workgroup_info 0
		.amdhsa_system_vgpr_workitem_id 1
		.amdhsa_next_free_vgpr 70
		.amdhsa_next_free_sgpr 28
		.amdhsa_accum_offset 72
		.amdhsa_reserve_vcc 1
		.amdhsa_float_round_mode_32 0
		.amdhsa_float_round_mode_16_64 0
		.amdhsa_float_denorm_mode_32 3
		.amdhsa_float_denorm_mode_16_64 3
		.amdhsa_dx10_clamp 1
		.amdhsa_ieee_mode 1
		.amdhsa_fp16_overflow 0
		.amdhsa_tg_split 0
		.amdhsa_exception_fp_ieee_invalid_op 0
		.amdhsa_exception_fp_denorm_src 0
		.amdhsa_exception_fp_ieee_div_zero 0
		.amdhsa_exception_fp_ieee_overflow 0
		.amdhsa_exception_fp_ieee_underflow 0
		.amdhsa_exception_fp_ieee_inexact 0
		.amdhsa_exception_int_div_zero 0
	.end_amdhsa_kernel
	.section	.text._ZL13mul_mat_vec_qIL9ggml_type7ELi5ELb0ELb0EEvPKvS2_PKi31ggml_cuda_mm_fusion_args_devicePfj15HIP_vector_typeIjLj3EEjjjS8_jjjS8_jjjj,"axG",@progbits,_ZL13mul_mat_vec_qIL9ggml_type7ELi5ELb0ELb0EEvPKvS2_PKi31ggml_cuda_mm_fusion_args_devicePfj15HIP_vector_typeIjLj3EEjjjS8_jjjS8_jjjj,comdat
.Lfunc_end56:
	.size	_ZL13mul_mat_vec_qIL9ggml_type7ELi5ELb0ELb0EEvPKvS2_PKi31ggml_cuda_mm_fusion_args_devicePfj15HIP_vector_typeIjLj3EEjjjS8_jjjS8_jjjj, .Lfunc_end56-_ZL13mul_mat_vec_qIL9ggml_type7ELi5ELb0ELb0EEvPKvS2_PKi31ggml_cuda_mm_fusion_args_devicePfj15HIP_vector_typeIjLj3EEjjjS8_jjjS8_jjjj
                                        ; -- End function
	.section	.AMDGPU.csdata,"",@progbits
; Kernel info:
; codeLenInByte = 3344
; NumSgprs: 34
; NumVgprs: 70
; NumAgprs: 0
; TotalNumVgprs: 70
; ScratchSize: 48
; MemoryBound: 0
; FloatMode: 240
; IeeeMode: 1
; LDSByteSize: 0 bytes/workgroup (compile time only)
; SGPRBlocks: 4
; VGPRBlocks: 8
; NumSGPRsForWavesPerEU: 34
; NumVGPRsForWavesPerEU: 70
; AccumOffset: 72
; Occupancy: 7
; WaveLimiterHint : 0
; COMPUTE_PGM_RSRC2:SCRATCH_EN: 1
; COMPUTE_PGM_RSRC2:USER_SGPR: 2
; COMPUTE_PGM_RSRC2:TRAP_HANDLER: 0
; COMPUTE_PGM_RSRC2:TGID_X_EN: 1
; COMPUTE_PGM_RSRC2:TGID_Y_EN: 1
; COMPUTE_PGM_RSRC2:TGID_Z_EN: 1
; COMPUTE_PGM_RSRC2:TIDIG_COMP_CNT: 1
; COMPUTE_PGM_RSRC3_GFX90A:ACCUM_OFFSET: 17
; COMPUTE_PGM_RSRC3_GFX90A:TG_SPLIT: 0
	.section	.text._ZL13mul_mat_vec_qIL9ggml_type7ELi6ELb0ELb0EEvPKvS2_PKi31ggml_cuda_mm_fusion_args_devicePfj15HIP_vector_typeIjLj3EEjjjS8_jjjS8_jjjj,"axG",@progbits,_ZL13mul_mat_vec_qIL9ggml_type7ELi6ELb0ELb0EEvPKvS2_PKi31ggml_cuda_mm_fusion_args_devicePfj15HIP_vector_typeIjLj3EEjjjS8_jjjS8_jjjj,comdat
	.globl	_ZL13mul_mat_vec_qIL9ggml_type7ELi6ELb0ELb0EEvPKvS2_PKi31ggml_cuda_mm_fusion_args_devicePfj15HIP_vector_typeIjLj3EEjjjS8_jjjS8_jjjj ; -- Begin function _ZL13mul_mat_vec_qIL9ggml_type7ELi6ELb0ELb0EEvPKvS2_PKi31ggml_cuda_mm_fusion_args_devicePfj15HIP_vector_typeIjLj3EEjjjS8_jjjS8_jjjj
	.p2align	8
	.type	_ZL13mul_mat_vec_qIL9ggml_type7ELi6ELb0ELb0EEvPKvS2_PKi31ggml_cuda_mm_fusion_args_devicePfj15HIP_vector_typeIjLj3EEjjjS8_jjjS8_jjjj,@function
_ZL13mul_mat_vec_qIL9ggml_type7ELi6ELb0ELb0EEvPKvS2_PKi31ggml_cuda_mm_fusion_args_devicePfj15HIP_vector_typeIjLj3EEjjjS8_jjjS8_jjjj: ; @_ZL13mul_mat_vec_qIL9ggml_type7ELi6ELb0ELb0EEvPKvS2_PKi31ggml_cuda_mm_fusion_args_devicePfj15HIP_vector_typeIjLj3EEjjjS8_jjjS8_jjjj
; %bb.0:
	v_bfe_u32 v13, v0, 10, 10
	v_lshlrev_b32_e32 v1, 6, v13
	v_and_b32_e32 v12, 0x3ff, v0
	s_mov_b32 s20, 0
	s_load_dword s5, s[0:1], 0x40
	s_load_dwordx4 s[8:11], s[0:1], 0x50
	s_load_dword s25, s[0:1], 0x60
	s_load_dwordx4 s[12:15], s[0:1], 0x68
	;; [unrolled: 2-line block ×3, first 2 shown]
	s_mov_b32 s21, s20
	v_add_u16_e32 v0, v1, v12
	s_waitcnt lgkmcnt(0)
	s_lshr_b32 s5, s5, 5
	s_mov_b32 s22, s20
	s_mov_b32 s23, s20
	v_mov_b64_e32 v[2:3], s[20:21]
	v_lshrrev_b16_e32 v22, 1, v0
	s_lshl_b32 s2, s2, 1
	v_mov_b64_e32 v[4:5], s[22:23]
	v_cmp_gt_u32_e32 vcc, s5, v22
	scratch_store_dwordx4 off, v[2:5], off offset:32
	scratch_store_dwordx4 off, v[2:5], off offset:16
	scratch_store_dwordx4 off, v[2:5], off
	s_and_saveexec_b64 s[6:7], vcc
	s_cbranch_execz .LBB57_4
; %bb.1:
	s_load_dwordx4 s[20:23], s[0:1], 0x0
	s_mul_i32 s17, s4, s17
	s_mul_hi_u32 s19, s17, 36
	s_mul_i32 s17, s17, 36
	s_mul_i32 s13, s3, s13
	s_waitcnt lgkmcnt(0)
	s_add_u32 s17, s22, s17
	s_addc_u32 s19, s23, s19
	s_mul_hi_u32 s23, s13, 36
	s_mul_i32 s13, s13, 36
	s_add_u32 s22, s17, s13
	s_mul_hi_u32 s11, s11, s3
	s_addc_u32 s23, s19, s23
	s_add_i32 s11, s3, s11
	v_and_b32_e32 v2, 1, v12
	s_lshr_b32 s11, s11, s25
	v_lshlrev_b32_e32 v14, 3, v2
	v_and_b32_e32 v2, v1, v12
	v_xor_b32_e32 v1, v1, v12
	s_mul_i32 s17, s11, s12
	s_mul_hi_u32 s11, s15, s4
	v_lshrrev_b16_e32 v1, 1, v1
	s_add_i32 s11, s4, s11
	v_add_u16_e32 v1, v2, v1
	s_lshr_b32 s11, s11, s24
	v_lshlrev_b32_e32 v0, 1, v12
	v_mad_u64_u32 v[16:17], s[12:13], v1, 36, s[22:23]
	s_mul_i32 s16, s11, s16
	v_and_b32_e32 v0, 2, v0
	s_add_i32 s13, s2, 1
	v_mov_b32_e32 v15, 0
	v_lshlrev_b32_e32 v23, 2, v0
	s_mul_i32 s25, s2, s8
	s_add_i32 s12, s16, s17
	s_mul_i32 s8, s8, s13
	v_or_b32_e32 v24, 4, v23
	s_lshl_b32 s11, s9, 1
	s_mul_i32 s15, s9, 3
	s_lshl_b32 s19, s9, 2
	s_mul_i32 s24, s9, 5
	s_add_i32 s8, s12, s8
	s_add_i32 s25, s12, s25
	s_mov_b64 s[12:13], 0
	v_lshlrev_b32_e32 v18, 2, v0
	v_mov_b32_e32 v19, v15
	s_mov_b64 s[16:17], 0x480
	v_mov_b32_e32 v8, v15
	v_mov_b32_e32 v9, v15
	;; [unrolled: 1-line block ×12, first 2 shown]
.LBB57_2:                               ; =>This Inner Loop Header: Depth=1
	v_add_u32_e32 v30, s25, v22
	v_lshl_add_u64 v[20:21], v[16:17], 0, v[14:15]
	global_load_dwordx2 v[26:27], v[20:21], off offset:4
	global_load_dwordx2 v[28:29], v[20:21], off offset:20
	v_mad_i64_i32 v[20:21], s[26:27], v30, 24, s[20:21]
	v_lshl_add_u64 v[40:41], v[20:21], 0, v[18:19]
	global_load_dwordx2 v[20:21], v[20:21], off
	v_add_u32_e32 v31, s8, v22
	v_mad_i64_i32 v[30:31], s[26:27], v31, 24, s[20:21]
	v_lshl_add_u64 v[42:43], v[30:31], 0, v[18:19]
	global_load_dwordx2 v[46:47], v[40:41], off offset:8
	global_load_dwordx2 v[48:49], v[30:31], off
	global_load_dwordx2 v[50:51], v[42:43], off offset:8
	v_add_u32_e32 v34, s11, v22
	v_mad_u64_u32 v[34:35], s[26:27], v34, 36, s[22:23]
	global_load_dword v61, v[34:35], off
	v_add_u32_e32 v32, s9, v22
	v_add_u32_e32 v36, s15, v22
	v_mad_u64_u32 v[32:33], s[26:27], v32, 36, s[22:23]
	v_mad_u64_u32 v[36:37], s[26:27], v36, 36, s[22:23]
	v_lshl_add_u64 v[44:45], v[32:33], 0, v[18:19]
	v_mov_b32_e32 v52, 0
	v_mov_b32_e32 v55, 0
	;; [unrolled: 1-line block ×6, first 2 shown]
	v_add_u32_e32 v38, s19, v22
	v_mad_u64_u32 v[38:39], s[26:27], v38, 36, s[22:23]
	v_mov_b32_e32 v66, 0
	v_mov_b32_e32 v67, 0
	;; [unrolled: 1-line block ×5, first 2 shown]
	s_waitcnt vmcnt(4)
	v_ashrrev_i32_e32 v30, v23, v21
	v_lshlrev_b32_e32 v40, 4, v30
	v_lshlrev_b32_e32 v41, 11, v30
	v_lshrrev_b32_e32 v56, 12, v30
	v_lshrrev_b32_e32 v58, 5, v30
	v_lshlrev_b32_e32 v59, 2, v30
	v_ashrrev_i32_e32 v21, v24, v21
	s_waitcnt vmcnt(3)
	v_and_b32_e32 v31, 0xf0f0f0f, v46
	v_and_b32_e32 v40, 16, v40
	;; [unrolled: 1-line block ×6, first 2 shown]
	v_lshlrev_b32_e32 v42, 18, v30
	v_lshlrev_b32_e32 v43, 25, v30
	v_or3_b32 v31, v40, v31, v41
	v_lshlrev_b32_e32 v41, 4, v21
	v_or3_b32 v56, v58, v56, v59
	v_lshlrev_b32_e32 v58, 11, v21
	v_lshlrev_b32_e32 v59, 18, v21
	v_lshrrev_b32_e32 v46, 4, v46
	v_lshlrev_b32_e32 v30, 9, v30
	v_and_b32_e32 v41, 16, v41
	v_and_b32_e32 v58, 0x1000, v58
	;; [unrolled: 1-line block ×5, first 2 shown]
	v_or3_b32 v41, v58, v41, v59
	s_waitcnt vmcnt(2)
	v_ashrrev_i32_e32 v59, v23, v49
	v_or3_b32 v60, v31, v42, v43
	v_and_b32_e32 v42, 0xf0f0f0f, v46
	v_and_b32_e32 v30, 0x10000000, v30
	v_lshlrev_b32_e32 v58, 25, v21
	v_or3_b32 v46, v56, v30, v42
	v_lshlrev_b32_e32 v30, 4, v59
	v_lshlrev_b32_e32 v42, 11, v59
	v_and_b32_e32 v40, 0xf0f0f0f, v47
	s_waitcnt vmcnt(1)
	v_and_b32_e32 v31, 0xf0f0f0f, v50
	v_and_b32_e32 v43, 0x10000000, v58
	;; [unrolled: 1-line block ×4, first 2 shown]
	v_or3_b32 v56, v41, v43, v40
	v_lshrrev_b32_e32 v40, 12, v59
	v_lshrrev_b32_e32 v41, 5, v59
	v_or3_b32 v30, v30, v31, v42
	v_lshlrev_b32_e32 v31, 2, v59
	v_ashrrev_i32_e32 v49, v24, v49
	v_and_b32_e32 v40, 16, v40
	v_and_b32_e32 v41, 0x1000, v41
	v_and_b32_e32 v31, 0x100000, v31
	v_lshlrev_b32_e32 v42, 4, v49
	v_or3_b32 v40, v41, v40, v31
	v_lshlrev_b32_e32 v31, 11, v49
	v_lshlrev_b32_e32 v41, 18, v49
	v_and_b32_e32 v42, 16, v42
	v_and_b32_e32 v31, 0x1000, v31
	;; [unrolled: 1-line block ×3, first 2 shown]
	v_or3_b32 v41, v31, v42, v41
	v_lshlrev_b32_e32 v31, 18, v59
	v_lshlrev_b32_e32 v42, 25, v59
	v_and_b32_e32 v31, 0x100000, v31
	v_and_b32_e32 v42, 0x10000000, v42
	v_or3_b32 v58, v30, v31, v42
	v_lshl_add_u64 v[30:31], v[34:35], 0, v[18:19]
	v_lshrrev_b32_e32 v34, 4, v50
	v_lshlrev_b32_e32 v35, 9, v59
	v_and_b32_e32 v34, 0xf0f0f0f, v34
	v_and_b32_e32 v35, 0x10000000, v35
	v_or3_b32 v50, v40, v35, v34
	v_lshlrev_b32_e32 v35, 25, v49
	v_and_b32_e32 v34, 0xf0f0f0f, v51
	v_and_b32_e32 v35, 0x10000000, v35
	v_or3_b32 v59, v41, v35, v34
	global_load_dwordx2 v[34:35], v[44:45], off offset:20
	global_load_dword v62, v[32:33], off
	global_load_dword v63, v[36:37], off
	v_lshl_add_u64 v[32:33], v[36:37], 0, v[18:19]
	global_load_dwordx2 v[36:37], v[44:45], off offset:4
	v_dot4c_i32_i8_e32 v25, v60, v26
	v_dot4c_i32_i8_e32 v53, v58, v26
	;; [unrolled: 1-line block ×6, first 2 shown]
	v_lshl_add_u64 v[26:27], v[38:39], 0, v[18:19]
	s_waitcnt vmcnt(1)
	v_pk_mul_f16 v45, v48, v63
	s_waitcnt vmcnt(0)
	v_dot4c_i32_i8_e32 v52, v60, v36
	v_dot4c_i32_i8_e32 v55, v58, v36
	v_dot4c_i32_i8_e32 v52, v46, v34
	v_dot4c_i32_i8_e32 v55, v50, v34
	v_dot4c_i32_i8_e32 v52, v56, v37
	v_dot4c_i32_i8_e32 v55, v59, v37
	global_load_dwordx2 v[36:37], v[30:31], off offset:4
	global_load_dwordx2 v[40:41], v[30:31], off offset:20
	v_pk_mul_f16 v34, v48, v62
	s_waitcnt vmcnt(1)
	v_dot4c_i32_i8_e32 v54, v60, v36
	v_dot4c_i32_i8_e32 v57, v58, v36
	s_waitcnt vmcnt(0)
	v_dot4c_i32_i8_e32 v54, v46, v40
	v_dot4c_i32_i8_e32 v57, v50, v40
	;; [unrolled: 1-line block ×4, first 2 shown]
	global_load_dwordx2 v[30:31], v[26:27], off offset:20
	global_load_dword v28, v[38:39], off
	global_load_dwordx2 v[36:37], v[32:33], off offset:4
	global_load_dwordx2 v[42:43], v[32:33], off offset:20
	s_waitcnt vmcnt(2)
	v_pk_mul_f16 v44, v20, v28
	global_load_dwordx2 v[26:27], v[26:27], off offset:4
	s_waitcnt vmcnt(2)
	v_dot4c_i32_i8_e32 v64, v60, v36
	v_dot4c_i32_i8_e32 v65, v58, v36
	s_waitcnt vmcnt(1)
	v_dot4c_i32_i8_e32 v64, v46, v42
	v_dot4c_i32_i8_e32 v65, v50, v42
	;; [unrolled: 1-line block ×4, first 2 shown]
	v_pk_mul_f16 v42, v20, v63
	s_waitcnt vmcnt(0)
	v_dot4c_i32_i8_e32 v66, v60, v26
	v_dot4c_i32_i8_e32 v67, v58, v26
	;; [unrolled: 1-line block ×4, first 2 shown]
	v_add_u32_e32 v26, s24, v22
	v_dot4c_i32_i8_e32 v66, v56, v27
	v_dot4c_i32_i8_e32 v67, v59, v27
	v_mad_u64_u32 v[26:27], s[26:27], v26, 36, s[22:23]
	v_lshl_add_u64 v[32:33], v[26:27], 0, v[18:19]
	global_load_dwordx2 v[36:37], v[32:33], off offset:20
	global_load_dword v30, v[26:27], off
	global_load_dwordx2 v[38:39], v[32:33], off offset:4
	v_pk_mul_f16 v32, v20, v62
	global_load_dword v26, v[16:17], off
	v_cvt_f32_f16_e32 v40, v42
	v_cvt_f32_f16_sdwa v42, v42 dst_sel:DWORD dst_unused:UNUSED_PAD src0_sel:WORD_1
	v_add_u32_e32 v22, 32, v22
	v_cmp_le_u32_e32 vcc, s5, v22
	v_lshl_add_u64 v[16:17], v[16:17], 0, s[16:17]
	s_or_b64 s[12:13], vcc, s[12:13]
	s_waitcnt vmcnt(1)
	v_dot4c_i32_i8_e32 v68, v60, v38
	v_mov_b32_e32 v60, 0
	v_dot4c_i32_i8_e32 v60, v58, v38
	v_dot4c_i32_i8_e32 v68, v46, v36
	;; [unrolled: 1-line block ×3, first 2 shown]
	s_waitcnt vmcnt(0)
	v_pk_mul_f16 v27, v20, v26
	v_pk_mul_f16 v36, v20, v61
	;; [unrolled: 1-line block ×5, first 2 shown]
	v_lshrrev_b32_e32 v20, 12, v21
	v_lshrrev_b32_e32 v26, 5, v21
	v_lshlrev_b32_e32 v28, 2, v21
	v_and_b32_e32 v20, 16, v20
	v_and_b32_e32 v26, 0x1000, v26
	;; [unrolled: 1-line block ×3, first 2 shown]
	v_or3_b32 v20, v26, v20, v28
	v_lshrrev_b32_e32 v26, 4, v47
	v_lshlrev_b32_e32 v21, 9, v21
	v_and_b32_e32 v26, 0xf0f0f0f, v26
	v_and_b32_e32 v21, 0x10000000, v21
	v_dot4c_i32_i8_e32 v68, v56, v39
	v_or3_b32 v56, v20, v21, v26
	v_lshrrev_b32_e32 v20, 12, v49
	v_lshrrev_b32_e32 v21, 5, v49
	v_lshlrev_b32_e32 v26, 2, v49
	v_and_b32_e32 v20, 16, v20
	v_and_b32_e32 v21, 0x1000, v21
	v_and_b32_e32 v26, 0x100000, v26
	v_or3_b32 v20, v21, v20, v26
	v_lshrrev_b32_e32 v21, 4, v51
	v_lshlrev_b32_e32 v26, 9, v49
	v_and_b32_e32 v21, 0xf0f0f0f, v21
	v_and_b32_e32 v26, 0x10000000, v26
	v_dot4c_i32_i8_e32 v60, v59, v39
	v_or3_b32 v51, v20, v26, v21
	v_pk_mul_f16 v38, v48, v61
	v_pk_mul_f16 v48, v48, v30
	v_dot4c_i32_i8_e32 v25, v56, v29
	v_dot4c_i32_i8_e32 v53, v51, v29
	;; [unrolled: 1-line block ×12, first 2 shown]
	v_cvt_f32_f16_e32 v20, v27
	v_cvt_f32_f16_sdwa v26, v27 dst_sel:DWORD dst_unused:UNUSED_PAD src0_sel:WORD_1
	v_cvt_f32_f16_e32 v21, v33
	v_cvt_f32_f16_sdwa v27, v33 dst_sel:DWORD dst_unused:UNUSED_PAD src0_sel:WORD_1
	v_cvt_f32_f16_e32 v29, v34
	v_cvt_f32_f16_e32 v28, v32
	v_cvt_f32_f16_sdwa v33, v34 dst_sel:DWORD dst_unused:UNUSED_PAD src0_sel:WORD_1
	v_cvt_f32_f16_e32 v35, v38
	v_cvt_f32_f16_e32 v34, v36
	v_cvt_f32_f16_sdwa v39, v38 dst_sel:DWORD dst_unused:UNUSED_PAD src0_sel:WORD_1
	v_cvt_f32_f16_sdwa v38, v36 dst_sel:DWORD dst_unused:UNUSED_PAD src0_sel:WORD_1
	v_cvt_f32_f16_e32 v41, v45
	v_cvt_f32_f16_sdwa v43, v45 dst_sel:DWORD dst_unused:UNUSED_PAD src0_sel:WORD_1
	v_cvt_f32_f16_e32 v31, v46
	v_cvt_f32_f16_e32 v30, v44
	v_cvt_f32_f16_sdwa v45, v46 dst_sel:DWORD dst_unused:UNUSED_PAD src0_sel:WORD_1
	v_cvt_f32_f16_e32 v47, v48
	v_cvt_f32_f16_e32 v46, v50
	v_cvt_f32_f16_sdwa v49, v48 dst_sel:DWORD dst_unused:UNUSED_PAD src0_sel:WORD_1
	v_cvt_f32_f16_sdwa v48, v50 dst_sel:DWORD dst_unused:UNUSED_PAD src0_sel:WORD_1
	v_cvt_f32_i32_e32 v36, v25
	v_cvt_f32_i32_e32 v50, v52
	;; [unrolled: 1-line block ×12, first 2 shown]
	v_cvt_f32_f16_sdwa v32, v32 dst_sel:DWORD dst_unused:UNUSED_PAD src0_sel:WORD_1
	v_cvt_f32_f16_sdwa v44, v44 dst_sel:DWORD dst_unused:UNUSED_PAD src0_sel:WORD_1
	v_pk_mul_f32 v[20:21], v[20:21], v[36:37]
	v_pk_mul_f32 v[28:29], v[28:29], v[50:51]
	v_pk_mul_f32 v[34:35], v[34:35], v[52:53]
	v_pk_mul_f32 v[36:37], v[40:41], v[54:55]
	v_pk_mul_f32 v[30:31], v[30:31], v[56:57]
	v_pk_mul_f32 v[40:41], v[46:47], v[58:59]
	v_pk_fma_f32 v[20:21], v[26:27], 0.5, v[20:21] op_sel_hi:[1,0,1]
	v_pk_fma_f32 v[26:27], v[32:33], 0.5, v[28:29] op_sel_hi:[1,0,1]
	;; [unrolled: 1-line block ×6, first 2 shown]
	v_pk_add_f32 v[8:9], v[8:9], v[20:21]
	v_pk_add_f32 v[10:11], v[10:11], v[26:27]
	;; [unrolled: 1-line block ×6, first 2 shown]
	s_andn2_b64 exec, exec, s[12:13]
	s_cbranch_execnz .LBB57_2
; %bb.3:
	s_or_b64 exec, exec, s[12:13]
	scratch_store_dwordx4 off, v[8:11], off
	scratch_store_dwordx4 off, v[4:7], off offset:16
	scratch_store_dwordx4 off, v[0:3], off offset:32
.LBB57_4:
	s_or_b64 exec, exec, s[6:7]
	s_mov_b32 s5, 0
	v_cmp_eq_u32_e32 vcc, 0, v13
	s_waitcnt lgkmcnt(0)
	; wave barrier
	s_and_saveexec_b64 s[6:7], vcc
	s_cbranch_execz .LBB57_17
; %bb.5:
	scratch_load_dwordx2 v[2:3], off, off
	v_mbcnt_lo_u32_b32 v0, -1, 0
	v_mbcnt_hi_u32_b32 v13, -1, v0
	s_load_dwordx2 s[6:7], s[0:1], 0x38
	s_mul_i32 s0, s3, s14
	v_or_b32_e32 v1, s2, v12
	v_and_b32_e32 v0, 64, v13
	s_mul_i32 s4, s4, s18
	s_add_i32 s2, s0, s2
	v_cmp_gt_u32_e64 s[0:1], s10, v1
	v_xor_b32_e32 v1, 32, v13
	v_add_u32_e32 v14, 64, v0
	s_add_i32 s4, s2, s4
	v_cmp_lt_i32_e64 s[2:3], v1, v14
	v_cmp_gt_u32_e32 vcc, 2, v12
	s_nop 0
	v_cndmask_b32_e64 v0, v13, v1, s[2:3]
	v_lshlrev_b32_e32 v0, 2, v0
	v_xor_b32_e32 v1, 16, v13
	v_cmp_lt_i32_e64 s[2:3], v1, v14
	s_waitcnt vmcnt(0)
	ds_bpermute_b32 v4, v0, v2
	ds_bpermute_b32 v5, v0, v3
	v_cndmask_b32_e64 v1, v13, v1, s[2:3]
	v_lshlrev_b32_e32 v1, 2, v1
	s_waitcnt lgkmcnt(0)
	v_pk_add_f32 v[4:5], v[2:3], v[4:5]
	ds_bpermute_b32 v6, v1, v4
	ds_bpermute_b32 v7, v1, v5
	v_xor_b32_e32 v2, 8, v13
	v_cmp_lt_i32_e64 s[2:3], v2, v14
	v_xor_b32_e32 v3, 4, v13
	s_waitcnt lgkmcnt(0)
	v_pk_add_f32 v[4:5], v[4:5], v[6:7]
	v_cndmask_b32_e64 v2, v13, v2, s[2:3]
	v_lshlrev_b32_e32 v2, 2, v2
	ds_bpermute_b32 v6, v2, v4
	ds_bpermute_b32 v7, v2, v5
	v_cmp_lt_i32_e64 s[2:3], v3, v14
	s_waitcnt lgkmcnt(0)
	v_pk_add_f32 v[6:7], v[4:5], v[6:7]
	v_cndmask_b32_e64 v3, v13, v3, s[2:3]
	v_lshlrev_b32_e32 v3, 2, v3
	ds_bpermute_b32 v8, v3, v6
	ds_bpermute_b32 v9, v3, v7
	v_xor_b32_e32 v4, 2, v13
	v_cmp_lt_i32_e64 s[2:3], v4, v14
	v_xor_b32_e32 v5, 1, v13
	s_waitcnt lgkmcnt(0)
	v_pk_add_f32 v[8:9], v[6:7], v[8:9]
	v_cndmask_b32_e64 v4, v13, v4, s[2:3]
	v_lshlrev_b32_e32 v4, 2, v4
	ds_bpermute_b32 v10, v4, v8
	ds_bpermute_b32 v11, v4, v9
	v_cmp_lt_i32_e64 s[2:3], v5, v14
	s_waitcnt lgkmcnt(0)
	v_pk_add_f32 v[8:9], v[8:9], v[10:11]
	v_cndmask_b32_e64 v5, v13, v5, s[2:3]
	v_lshlrev_b32_e32 v6, 2, v5
	ds_bpermute_b32 v10, v6, v8
	ds_bpermute_b32 v11, v6, v9
	s_lshl_b64 s[2:3], s[4:5], 2
	s_add_u32 s2, s6, s2
	s_addc_u32 s3, s7, s3
	s_and_b64 s[0:1], vcc, s[0:1]
	s_waitcnt lgkmcnt(0)
	v_pk_add_f32 v[8:9], v[8:9], v[10:11]
	v_lshlrev_b32_e32 v5, 2, v12
	scratch_store_dwordx2 off, v[8:9], off
	s_and_saveexec_b64 s[4:5], s[0:1]
	s_cbranch_execz .LBB57_7
; %bb.6:
	scratch_load_dword v7, v5, off
	s_waitcnt vmcnt(0)
	global_store_dword v5, v7, s[2:3]
.LBB57_7:
	s_or_b64 exec, exec, s[4:5]
	scratch_load_dwordx2 v[8:9], off, off offset:8
	s_waitcnt vmcnt(0)
	ds_bpermute_b32 v10, v0, v8
	ds_bpermute_b32 v11, v0, v9
	s_waitcnt lgkmcnt(0)
	v_pk_add_f32 v[8:9], v[8:9], v[10:11]
	ds_bpermute_b32 v10, v1, v8
	ds_bpermute_b32 v11, v1, v9
	s_waitcnt lgkmcnt(0)
	v_pk_add_f32 v[8:9], v[8:9], v[10:11]
	;; [unrolled: 4-line block ×6, first 2 shown]
	scratch_store_dwordx2 off, v[8:9], off offset:8
	s_and_saveexec_b64 s[4:5], s[0:1]
	s_cbranch_execz .LBB57_9
; %bb.8:
	scratch_load_dword v7, v5, off offset:8
	v_add_u32_e32 v8, s10, v12
	v_mov_b32_e32 v9, 0
	v_lshl_add_u64 v[8:9], v[8:9], 2, s[2:3]
	s_waitcnt vmcnt(0)
	global_store_dword v[8:9], v7, off
.LBB57_9:
	s_or_b64 exec, exec, s[4:5]
	scratch_load_dwordx2 v[8:9], off, off offset:16
	s_waitcnt vmcnt(0)
	ds_bpermute_b32 v10, v0, v8
	ds_bpermute_b32 v11, v0, v9
	s_waitcnt lgkmcnt(0)
	v_pk_add_f32 v[8:9], v[8:9], v[10:11]
	ds_bpermute_b32 v10, v1, v8
	ds_bpermute_b32 v11, v1, v9
	s_waitcnt lgkmcnt(0)
	v_pk_add_f32 v[8:9], v[8:9], v[10:11]
	ds_bpermute_b32 v10, v2, v8
	ds_bpermute_b32 v11, v2, v9
	s_waitcnt lgkmcnt(0)
	v_pk_add_f32 v[8:9], v[8:9], v[10:11]
	ds_bpermute_b32 v10, v3, v8
	ds_bpermute_b32 v11, v3, v9
	s_waitcnt lgkmcnt(0)
	v_pk_add_f32 v[8:9], v[8:9], v[10:11]
	ds_bpermute_b32 v10, v4, v8
	ds_bpermute_b32 v11, v4, v9
	s_waitcnt lgkmcnt(0)
	v_pk_add_f32 v[8:9], v[8:9], v[10:11]
	ds_bpermute_b32 v10, v6, v8
	ds_bpermute_b32 v11, v6, v9
	s_waitcnt lgkmcnt(0)
	v_pk_add_f32 v[8:9], v[8:9], v[10:11]
	scratch_store_dwordx2 off, v[8:9], off offset:16
	s_and_saveexec_b64 s[4:5], s[0:1]
	s_cbranch_execz .LBB57_11
; %bb.10:
	scratch_load_dword v7, v5, off offset:16
	v_lshl_or_b32 v8, s10, 1, v12
	v_mov_b32_e32 v9, 0
	v_lshl_add_u64 v[8:9], v[8:9], 2, s[2:3]
	s_waitcnt vmcnt(0)
	global_store_dword v[8:9], v7, off
.LBB57_11:
	s_or_b64 exec, exec, s[4:5]
	scratch_load_dwordx2 v[8:9], off, off offset:24
	s_waitcnt vmcnt(0)
	ds_bpermute_b32 v10, v0, v8
	ds_bpermute_b32 v11, v0, v9
	s_waitcnt lgkmcnt(0)
	v_pk_add_f32 v[8:9], v[8:9], v[10:11]
	ds_bpermute_b32 v10, v1, v8
	ds_bpermute_b32 v11, v1, v9
	s_waitcnt lgkmcnt(0)
	v_pk_add_f32 v[8:9], v[8:9], v[10:11]
	;; [unrolled: 4-line block ×6, first 2 shown]
	scratch_store_dwordx2 off, v[8:9], off offset:24
	s_and_saveexec_b64 s[4:5], s[0:1]
	s_cbranch_execz .LBB57_13
; %bb.12:
	scratch_load_dword v7, v5, off offset:24
	v_mad_u64_u32 v[8:9], s[6:7], s10, 3, v[12:13]
	v_mov_b32_e32 v9, 0
	v_lshl_add_u64 v[8:9], v[8:9], 2, s[2:3]
	s_waitcnt vmcnt(0)
	global_store_dword v[8:9], v7, off
.LBB57_13:
	s_or_b64 exec, exec, s[4:5]
	scratch_load_dwordx2 v[8:9], off, off offset:32
	s_waitcnt vmcnt(0)
	ds_bpermute_b32 v10, v0, v8
	ds_bpermute_b32 v11, v0, v9
	s_waitcnt lgkmcnt(0)
	v_pk_add_f32 v[8:9], v[8:9], v[10:11]
	ds_bpermute_b32 v10, v1, v8
	ds_bpermute_b32 v11, v1, v9
	s_waitcnt lgkmcnt(0)
	v_pk_add_f32 v[8:9], v[8:9], v[10:11]
	;; [unrolled: 4-line block ×6, first 2 shown]
	scratch_store_dwordx2 off, v[8:9], off offset:32
	s_and_saveexec_b64 s[4:5], s[0:1]
	s_cbranch_execz .LBB57_15
; %bb.14:
	scratch_load_dword v7, v5, off offset:32
	v_lshl_or_b32 v8, s10, 2, v12
	v_mov_b32_e32 v9, 0
	v_lshl_add_u64 v[8:9], v[8:9], 2, s[2:3]
	s_waitcnt vmcnt(0)
	global_store_dword v[8:9], v7, off
.LBB57_15:
	s_or_b64 exec, exec, s[4:5]
	scratch_load_dwordx2 v[8:9], off, off offset:40
	s_waitcnt vmcnt(0)
	ds_bpermute_b32 v10, v0, v8
	ds_bpermute_b32 v11, v0, v9
	s_waitcnt lgkmcnt(0)
	v_pk_add_f32 v[8:9], v[8:9], v[10:11]
	ds_bpermute_b32 v0, v1, v8
	ds_bpermute_b32 v1, v1, v9
	s_waitcnt lgkmcnt(0)
	v_pk_add_f32 v[0:1], v[8:9], v[0:1]
	;; [unrolled: 4-line block ×6, first 2 shown]
	scratch_store_dwordx2 off, v[0:1], off offset:40
	s_and_b64 exec, exec, s[0:1]
	s_cbranch_execz .LBB57_17
; %bb.16:
	scratch_load_dword v2, v5, off offset:40
	v_mad_u64_u32 v[0:1], s[0:1], s10, 5, v[12:13]
	v_mov_b32_e32 v1, 0
	v_lshl_add_u64 v[0:1], v[0:1], 2, s[2:3]
	s_waitcnt vmcnt(0)
	global_store_dword v[0:1], v2, off
.LBB57_17:
	s_endpgm
	.section	.rodata,"a",@progbits
	.p2align	6, 0x0
	.amdhsa_kernel _ZL13mul_mat_vec_qIL9ggml_type7ELi6ELb0ELb0EEvPKvS2_PKi31ggml_cuda_mm_fusion_args_devicePfj15HIP_vector_typeIjLj3EEjjjS8_jjjS8_jjjj
		.amdhsa_group_segment_fixed_size 0
		.amdhsa_private_segment_fixed_size 64
		.amdhsa_kernarg_size 144
		.amdhsa_user_sgpr_count 2
		.amdhsa_user_sgpr_dispatch_ptr 0
		.amdhsa_user_sgpr_queue_ptr 0
		.amdhsa_user_sgpr_kernarg_segment_ptr 1
		.amdhsa_user_sgpr_dispatch_id 0
		.amdhsa_user_sgpr_kernarg_preload_length 0
		.amdhsa_user_sgpr_kernarg_preload_offset 0
		.amdhsa_user_sgpr_private_segment_size 0
		.amdhsa_uses_dynamic_stack 0
		.amdhsa_enable_private_segment 1
		.amdhsa_system_sgpr_workgroup_id_x 1
		.amdhsa_system_sgpr_workgroup_id_y 1
		.amdhsa_system_sgpr_workgroup_id_z 1
		.amdhsa_system_sgpr_workgroup_info 0
		.amdhsa_system_vgpr_workitem_id 1
		.amdhsa_next_free_vgpr 69
		.amdhsa_next_free_sgpr 28
		.amdhsa_accum_offset 72
		.amdhsa_reserve_vcc 1
		.amdhsa_float_round_mode_32 0
		.amdhsa_float_round_mode_16_64 0
		.amdhsa_float_denorm_mode_32 3
		.amdhsa_float_denorm_mode_16_64 3
		.amdhsa_dx10_clamp 1
		.amdhsa_ieee_mode 1
		.amdhsa_fp16_overflow 0
		.amdhsa_tg_split 0
		.amdhsa_exception_fp_ieee_invalid_op 0
		.amdhsa_exception_fp_denorm_src 0
		.amdhsa_exception_fp_ieee_div_zero 0
		.amdhsa_exception_fp_ieee_overflow 0
		.amdhsa_exception_fp_ieee_underflow 0
		.amdhsa_exception_fp_ieee_inexact 0
		.amdhsa_exception_int_div_zero 0
	.end_amdhsa_kernel
	.section	.text._ZL13mul_mat_vec_qIL9ggml_type7ELi6ELb0ELb0EEvPKvS2_PKi31ggml_cuda_mm_fusion_args_devicePfj15HIP_vector_typeIjLj3EEjjjS8_jjjS8_jjjj,"axG",@progbits,_ZL13mul_mat_vec_qIL9ggml_type7ELi6ELb0ELb0EEvPKvS2_PKi31ggml_cuda_mm_fusion_args_devicePfj15HIP_vector_typeIjLj3EEjjjS8_jjjS8_jjjj,comdat
.Lfunc_end57:
	.size	_ZL13mul_mat_vec_qIL9ggml_type7ELi6ELb0ELb0EEvPKvS2_PKi31ggml_cuda_mm_fusion_args_devicePfj15HIP_vector_typeIjLj3EEjjjS8_jjjS8_jjjj, .Lfunc_end57-_ZL13mul_mat_vec_qIL9ggml_type7ELi6ELb0ELb0EEvPKvS2_PKi31ggml_cuda_mm_fusion_args_devicePfj15HIP_vector_typeIjLj3EEjjjS8_jjjS8_jjjj
                                        ; -- End function
	.section	.AMDGPU.csdata,"",@progbits
; Kernel info:
; codeLenInByte = 3748
; NumSgprs: 34
; NumVgprs: 69
; NumAgprs: 0
; TotalNumVgprs: 69
; ScratchSize: 64
; MemoryBound: 0
; FloatMode: 240
; IeeeMode: 1
; LDSByteSize: 0 bytes/workgroup (compile time only)
; SGPRBlocks: 4
; VGPRBlocks: 8
; NumSGPRsForWavesPerEU: 34
; NumVGPRsForWavesPerEU: 69
; AccumOffset: 72
; Occupancy: 7
; WaveLimiterHint : 0
; COMPUTE_PGM_RSRC2:SCRATCH_EN: 1
; COMPUTE_PGM_RSRC2:USER_SGPR: 2
; COMPUTE_PGM_RSRC2:TRAP_HANDLER: 0
; COMPUTE_PGM_RSRC2:TGID_X_EN: 1
; COMPUTE_PGM_RSRC2:TGID_Y_EN: 1
; COMPUTE_PGM_RSRC2:TGID_Z_EN: 1
; COMPUTE_PGM_RSRC2:TIDIG_COMP_CNT: 1
; COMPUTE_PGM_RSRC3_GFX90A:ACCUM_OFFSET: 17
; COMPUTE_PGM_RSRC3_GFX90A:TG_SPLIT: 0
	.section	.text._ZL13mul_mat_vec_qIL9ggml_type7ELi7ELb0ELb0EEvPKvS2_PKi31ggml_cuda_mm_fusion_args_devicePfj15HIP_vector_typeIjLj3EEjjjS8_jjjS8_jjjj,"axG",@progbits,_ZL13mul_mat_vec_qIL9ggml_type7ELi7ELb0ELb0EEvPKvS2_PKi31ggml_cuda_mm_fusion_args_devicePfj15HIP_vector_typeIjLj3EEjjjS8_jjjS8_jjjj,comdat
	.globl	_ZL13mul_mat_vec_qIL9ggml_type7ELi7ELb0ELb0EEvPKvS2_PKi31ggml_cuda_mm_fusion_args_devicePfj15HIP_vector_typeIjLj3EEjjjS8_jjjS8_jjjj ; -- Begin function _ZL13mul_mat_vec_qIL9ggml_type7ELi7ELb0ELb0EEvPKvS2_PKi31ggml_cuda_mm_fusion_args_devicePfj15HIP_vector_typeIjLj3EEjjjS8_jjjS8_jjjj
	.p2align	8
	.type	_ZL13mul_mat_vec_qIL9ggml_type7ELi7ELb0ELb0EEvPKvS2_PKi31ggml_cuda_mm_fusion_args_devicePfj15HIP_vector_typeIjLj3EEjjjS8_jjjS8_jjjj,@function
_ZL13mul_mat_vec_qIL9ggml_type7ELi7ELb0ELb0EEvPKvS2_PKi31ggml_cuda_mm_fusion_args_devicePfj15HIP_vector_typeIjLj3EEjjjS8_jjjS8_jjjj: ; @_ZL13mul_mat_vec_qIL9ggml_type7ELi7ELb0ELb0EEvPKvS2_PKi31ggml_cuda_mm_fusion_args_devicePfj15HIP_vector_typeIjLj3EEjjjS8_jjjS8_jjjj
; %bb.0:
	v_bfe_u32 v13, v0, 10, 10
	v_lshlrev_b32_e32 v1, 6, v13
	v_and_b32_e32 v12, 0x3ff, v0
	s_mov_b32 s20, 0
	s_load_dword s5, s[0:1], 0x40
	s_load_dwordx4 s[8:11], s[0:1], 0x50
	s_load_dword s25, s[0:1], 0x60
	s_load_dwordx4 s[12:15], s[0:1], 0x68
	;; [unrolled: 2-line block ×3, first 2 shown]
	s_mov_b32 s21, s20
	v_add_u16_e32 v0, v1, v12
	s_waitcnt lgkmcnt(0)
	s_lshr_b32 s5, s5, 5
	v_mov_b32_e32 v15, 0
	s_mov_b32 s22, s20
	s_mov_b32 s23, s20
	v_mov_b64_e32 v[2:3], s[20:21]
	v_lshrrev_b16_e32 v26, 1, v0
	s_lshl_b32 s2, s2, 1
	v_mov_b32_e32 v14, v15
	v_mov_b64_e32 v[4:5], s[22:23]
	v_cmp_gt_u32_e32 vcc, s5, v26
	scratch_store_dwordx2 off, v[14:15], off offset:48
	scratch_store_dwordx4 off, v[2:5], off offset:32
	scratch_store_dwordx4 off, v[2:5], off offset:16
	scratch_store_dwordx4 off, v[2:5], off
	s_and_saveexec_b64 s[6:7], vcc
	s_cbranch_execz .LBB58_4
; %bb.1:
	s_load_dwordx4 s[20:23], s[0:1], 0x0
	s_mul_i32 s17, s4, s17
	s_mul_hi_u32 s19, s17, 36
	s_mul_i32 s17, s17, 36
	s_mul_i32 s13, s3, s13
	s_waitcnt lgkmcnt(0)
	s_add_u32 s17, s22, s17
	s_addc_u32 s19, s23, s19
	s_mul_hi_u32 s23, s13, 36
	s_mul_i32 s13, s13, 36
	s_add_u32 s22, s17, s13
	s_mul_hi_u32 s11, s11, s3
	s_addc_u32 s23, s19, s23
	s_add_i32 s11, s3, s11
	v_and_b32_e32 v2, 1, v12
	s_lshr_b32 s11, s11, s25
	v_lshlrev_b32_e32 v14, 3, v2
	v_and_b32_e32 v2, v1, v12
	v_xor_b32_e32 v1, v1, v12
	s_mul_i32 s17, s11, s12
	s_mul_hi_u32 s11, s15, s4
	v_lshrrev_b16_e32 v1, 1, v1
	s_add_i32 s11, s4, s11
	v_add_u16_e32 v1, v2, v1
	s_lshr_b32 s11, s11, s24
	v_lshlrev_b32_e32 v0, 1, v12
	v_mad_u64_u32 v[16:17], s[12:13], v1, 36, s[22:23]
	s_mul_i32 s16, s11, s16
	v_and_b32_e32 v0, 2, v0
	s_add_i32 s13, s2, 1
	v_lshlrev_b32_e32 v27, 2, v0
	s_mul_i32 s26, s2, s8
	s_add_i32 s12, s16, s17
	s_mul_i32 s8, s8, s13
	v_or_b32_e32 v28, 4, v27
	s_lshl_b32 s11, s9, 1
	s_mul_i32 s15, s9, 3
	s_lshl_b32 s19, s9, 2
	s_mul_i32 s24, s9, 5
	s_mul_i32 s25, s9, 6
	s_add_i32 s8, s12, s8
	s_add_i32 s26, s12, s26
	s_mov_b64 s[12:13], 0
	v_lshlrev_b32_e32 v20, 2, v0
	v_mov_b32_e32 v21, v15
	s_mov_b64 s[16:17], 0x480
	v_mov_b32_e32 v8, v15
	v_mov_b32_e32 v9, v15
	;; [unrolled: 1-line block ×14, first 2 shown]
.LBB58_2:                               ; =>This Inner Loop Header: Depth=1
	v_add_u32_e32 v24, s26, v26
	v_lshl_add_u64 v[22:23], v[16:17], 0, v[14:15]
	v_mad_i64_i32 v[24:25], s[28:29], v24, 24, s[20:21]
	global_load_dwordx2 v[34:35], v[22:23], off offset:4
	global_load_dwordx2 v[36:37], v[22:23], off offset:20
	global_load_dword v40, v[16:17], off
	v_mov_b32_e32 v42, 0
	global_load_dwordx2 v[22:23], v[24:25], off
	v_lshl_add_u64 v[24:25], v[24:25], 0, v[20:21]
	global_load_dwordx2 v[24:25], v[24:25], off offset:8
	v_lshl_add_u64 v[16:17], v[16:17], 0, s[16:17]
	s_waitcnt vmcnt(1)
	v_ashrrev_i32_e32 v29, v27, v23
	v_lshlrev_b32_e32 v30, 4, v29
	v_lshlrev_b32_e32 v32, 11, v29
	v_ashrrev_i32_e32 v31, v28, v23
	s_waitcnt vmcnt(0)
	v_and_b32_e32 v23, 0xf0f0f0f, v24
	v_and_b32_e32 v30, 16, v30
	;; [unrolled: 1-line block ×3, first 2 shown]
	v_or3_b32 v23, v30, v23, v32
	v_lshlrev_b32_e32 v30, 18, v29
	v_lshlrev_b32_e32 v32, 25, v29
	v_and_b32_e32 v30, 0x100000, v30
	v_and_b32_e32 v32, 0x10000000, v32
	v_or3_b32 v23, v23, v30, v32
	v_lshrrev_b32_e32 v30, 12, v29
	v_lshrrev_b32_e32 v32, 5, v29
	v_lshlrev_b32_e32 v33, 2, v29
	v_lshrrev_b32_e32 v24, 4, v24
	v_and_b32_e32 v30, 16, v30
	v_and_b32_e32 v32, 0x1000, v32
	;; [unrolled: 1-line block ×3, first 2 shown]
	v_lshlrev_b32_e32 v29, 9, v29
	v_and_b32_e32 v24, 0xf0f0f0f, v24
	v_and_b32_e32 v29, 0x10000000, v29
	v_or3_b32 v30, v32, v30, v33
	v_or3_b32 v29, v30, v29, v24
	v_lshlrev_b32_e32 v30, 4, v31
	v_lshlrev_b32_e32 v32, 11, v31
	;; [unrolled: 1-line block ×3, first 2 shown]
	v_and_b32_e32 v30, 16, v30
	v_and_b32_e32 v32, 0x1000, v32
	;; [unrolled: 1-line block ×3, first 2 shown]
	v_lshlrev_b32_e32 v38, 25, v31
	v_and_b32_e32 v24, 0xf0f0f0f, v25
	v_and_b32_e32 v38, 0x10000000, v38
	v_or3_b32 v30, v32, v30, v33
	v_or3_b32 v30, v30, v38, v24
	v_lshrrev_b32_e32 v24, 4, v25
	v_lshrrev_b32_e32 v25, 12, v31
	;; [unrolled: 1-line block ×3, first 2 shown]
	v_lshlrev_b32_e32 v33, 2, v31
	v_and_b32_e32 v25, 16, v25
	v_and_b32_e32 v32, 0x1000, v32
	;; [unrolled: 1-line block ×3, first 2 shown]
	v_lshlrev_b32_e32 v31, 9, v31
	v_and_b32_e32 v24, 0xf0f0f0f, v24
	v_and_b32_e32 v31, 0x10000000, v31
	v_or3_b32 v25, v32, v25, v33
	v_or3_b32 v31, v25, v31, v24
	v_add_u32_e32 v24, s8, v26
	v_mad_i64_i32 v[32:33], s[28:29], v24, 24, s[20:21]
	global_load_dwordx2 v[24:25], v[32:33], off
	v_lshl_add_u64 v[32:33], v[32:33], 0, v[20:21]
	global_load_dwordx2 v[38:39], v[32:33], off offset:8
	v_dot4c_i32_i8_e32 v42, v23, v34
	v_dot4c_i32_i8_e32 v42, v29, v36
	;; [unrolled: 1-line block ×4, first 2 shown]
	v_pk_mul_f16 v41, v22, v40
	s_waitcnt vmcnt(1)
	v_ashrrev_i32_e32 v32, v27, v25
	v_lshlrev_b32_e32 v33, 4, v32
	v_lshlrev_b32_e32 v44, 11, v32
	v_ashrrev_i32_e32 v43, v28, v25
	s_waitcnt vmcnt(0)
	v_and_b32_e32 v25, 0xf0f0f0f, v38
	v_and_b32_e32 v33, 16, v33
	;; [unrolled: 1-line block ×3, first 2 shown]
	v_or3_b32 v25, v33, v25, v44
	v_lshlrev_b32_e32 v33, 18, v32
	v_lshlrev_b32_e32 v44, 25, v32
	v_and_b32_e32 v33, 0x100000, v33
	v_and_b32_e32 v44, 0x10000000, v44
	v_or3_b32 v25, v25, v33, v44
	v_mov_b32_e32 v44, 0
	v_dot4c_i32_i8_e32 v44, v25, v34
	v_lshrrev_b32_e32 v33, 4, v38
	v_lshrrev_b32_e32 v34, 12, v32
	;; [unrolled: 1-line block ×3, first 2 shown]
	v_lshlrev_b32_e32 v45, 2, v32
	v_and_b32_e32 v34, 16, v34
	v_and_b32_e32 v38, 0x1000, v38
	;; [unrolled: 1-line block ×3, first 2 shown]
	v_lshlrev_b32_e32 v32, 9, v32
	v_and_b32_e32 v33, 0xf0f0f0f, v33
	v_and_b32_e32 v32, 0x10000000, v32
	v_or3_b32 v34, v38, v34, v45
	v_or3_b32 v32, v34, v32, v33
	v_dot4c_i32_i8_e32 v44, v32, v36
	v_lshlrev_b32_e32 v34, 4, v43
	v_lshlrev_b32_e32 v36, 11, v43
	;; [unrolled: 1-line block ×3, first 2 shown]
	v_and_b32_e32 v34, 16, v34
	v_and_b32_e32 v36, 0x1000, v36
	;; [unrolled: 1-line block ×3, first 2 shown]
	v_lshlrev_b32_e32 v45, 25, v43
	v_and_b32_e32 v33, 0xf0f0f0f, v39
	v_and_b32_e32 v45, 0x10000000, v45
	v_or3_b32 v34, v36, v34, v38
	v_or3_b32 v33, v34, v45, v33
	v_dot4c_i32_i8_e32 v44, v33, v35
	v_lshrrev_b32_e32 v35, 12, v43
	v_lshrrev_b32_e32 v36, 5, v43
	v_lshlrev_b32_e32 v38, 2, v43
	v_lshrrev_b32_e32 v34, 4, v39
	v_and_b32_e32 v35, 16, v35
	v_and_b32_e32 v36, 0x1000, v36
	;; [unrolled: 1-line block ×3, first 2 shown]
	v_lshlrev_b32_e32 v39, 9, v43
	v_and_b32_e32 v34, 0xf0f0f0f, v34
	v_and_b32_e32 v39, 0x10000000, v39
	v_or3_b32 v35, v36, v35, v38
	v_or3_b32 v34, v35, v39, v34
	v_dot4c_i32_i8_e32 v44, v34, v37
	v_pk_mul_f16 v35, v24, v40
	v_cvt_f32_f16_e32 v36, v41
	v_cvt_f32_f16_e32 v37, v35
	v_cvt_f32_f16_sdwa v38, v41 dst_sel:DWORD dst_unused:UNUSED_PAD src0_sel:WORD_1
	v_cvt_f32_i32_e32 v41, v44
	v_cvt_f32_i32_e32 v40, v42
	v_cvt_f32_f16_sdwa v39, v35 dst_sel:DWORD dst_unused:UNUSED_PAD src0_sel:WORD_1
	v_add_u32_e32 v35, s9, v26
	v_mov_b32_e32 v44, 0
	v_pk_mul_f32 v[36:37], v[36:37], v[40:41]
	v_mov_b32_e32 v45, 0
	v_pk_fma_f32 v[36:37], v[38:39], 0.5, v[36:37] op_sel_hi:[1,0,1]
	s_nop 0
	v_pk_add_f32 v[8:9], v[8:9], v[36:37]
	v_mad_u64_u32 v[36:37], s[28:29], v35, 36, s[22:23]
	v_lshl_add_u64 v[38:39], v[36:37], 0, v[20:21]
	global_load_dwordx2 v[40:41], v[38:39], off offset:4
	global_load_dwordx2 v[42:43], v[38:39], off offset:20
	global_load_dword v35, v[36:37], off
	s_waitcnt vmcnt(2)
	v_dot4c_i32_i8_e32 v44, v23, v40
	v_dot4c_i32_i8_e32 v45, v25, v40
	s_waitcnt vmcnt(1)
	v_dot4c_i32_i8_e32 v44, v29, v42
	v_dot4c_i32_i8_e32 v45, v32, v42
	v_dot4c_i32_i8_e32 v44, v30, v41
	v_dot4c_i32_i8_e32 v45, v33, v41
	v_dot4c_i32_i8_e32 v44, v31, v43
	s_waitcnt vmcnt(0)
	v_pk_mul_f16 v38, v22, v35
	v_dot4c_i32_i8_e32 v45, v34, v43
	v_pk_mul_f16 v35, v24, v35
	v_cvt_f32_f16_e32 v36, v38
	v_cvt_f32_f16_e32 v37, v35
	v_cvt_f32_i32_e32 v41, v45
	v_cvt_f32_i32_e32 v40, v44
	v_cvt_f32_f16_sdwa v39, v35 dst_sel:DWORD dst_unused:UNUSED_PAD src0_sel:WORD_1
	v_cvt_f32_f16_sdwa v38, v38 dst_sel:DWORD dst_unused:UNUSED_PAD src0_sel:WORD_1
	v_add_u32_e32 v35, s11, v26
	v_pk_mul_f32 v[36:37], v[36:37], v[40:41]
	v_mov_b32_e32 v44, 0
	v_pk_fma_f32 v[36:37], v[38:39], 0.5, v[36:37] op_sel_hi:[1,0,1]
	v_mov_b32_e32 v45, 0
	v_pk_add_f32 v[10:11], v[10:11], v[36:37]
	v_mad_u64_u32 v[36:37], s[28:29], v35, 36, s[22:23]
	v_lshl_add_u64 v[38:39], v[36:37], 0, v[20:21]
	global_load_dwordx2 v[40:41], v[38:39], off offset:4
	global_load_dwordx2 v[42:43], v[38:39], off offset:20
	global_load_dword v35, v[36:37], off
	s_waitcnt vmcnt(2)
	v_dot4c_i32_i8_e32 v44, v23, v40
	v_dot4c_i32_i8_e32 v45, v25, v40
	s_waitcnt vmcnt(1)
	v_dot4c_i32_i8_e32 v44, v29, v42
	v_dot4c_i32_i8_e32 v45, v32, v42
	v_dot4c_i32_i8_e32 v44, v30, v41
	v_dot4c_i32_i8_e32 v45, v33, v41
	v_dot4c_i32_i8_e32 v44, v31, v43
	s_waitcnt vmcnt(0)
	v_pk_mul_f16 v38, v22, v35
	v_dot4c_i32_i8_e32 v45, v34, v43
	v_pk_mul_f16 v35, v24, v35
	v_cvt_f32_f16_e32 v36, v38
	v_cvt_f32_f16_e32 v37, v35
	v_cvt_f32_i32_e32 v41, v45
	v_cvt_f32_i32_e32 v40, v44
	v_cvt_f32_f16_sdwa v39, v35 dst_sel:DWORD dst_unused:UNUSED_PAD src0_sel:WORD_1
	v_cvt_f32_f16_sdwa v38, v38 dst_sel:DWORD dst_unused:UNUSED_PAD src0_sel:WORD_1
	v_add_u32_e32 v35, s15, v26
	v_pk_mul_f32 v[36:37], v[36:37], v[40:41]
	v_mov_b32_e32 v44, 0
	v_pk_fma_f32 v[36:37], v[38:39], 0.5, v[36:37] op_sel_hi:[1,0,1]
	v_mov_b32_e32 v45, 0
	;; [unrolled: 30-line block ×4, first 2 shown]
	v_pk_add_f32 v[0:1], v[0:1], v[36:37]
	v_mad_u64_u32 v[36:37], s[28:29], v35, 36, s[22:23]
	v_lshl_add_u64 v[38:39], v[36:37], 0, v[20:21]
	global_load_dwordx2 v[40:41], v[38:39], off offset:4
	global_load_dwordx2 v[42:43], v[38:39], off offset:20
	global_load_dword v35, v[36:37], off
	s_waitcnt vmcnt(2)
	v_dot4c_i32_i8_e32 v44, v23, v40
	v_dot4c_i32_i8_e32 v45, v25, v40
	s_waitcnt vmcnt(1)
	v_dot4c_i32_i8_e32 v44, v29, v42
	v_dot4c_i32_i8_e32 v45, v32, v42
	;; [unrolled: 1-line block ×5, first 2 shown]
	s_waitcnt vmcnt(0)
	v_pk_mul_f16 v38, v22, v35
	v_dot4c_i32_i8_e32 v45, v34, v43
	v_pk_mul_f16 v35, v24, v35
	v_cvt_f32_f16_e32 v36, v38
	v_cvt_f32_f16_e32 v37, v35
	v_cvt_f32_i32_e32 v41, v45
	v_cvt_f32_i32_e32 v40, v44
	v_cvt_f32_f16_sdwa v39, v35 dst_sel:DWORD dst_unused:UNUSED_PAD src0_sel:WORD_1
	v_cvt_f32_f16_sdwa v38, v38 dst_sel:DWORD dst_unused:UNUSED_PAD src0_sel:WORD_1
	v_add_u32_e32 v35, s25, v26
	v_pk_mul_f32 v[36:37], v[36:37], v[40:41]
	v_add_u32_e32 v26, 32, v26
	v_pk_fma_f32 v[36:37], v[38:39], 0.5, v[36:37] op_sel_hi:[1,0,1]
	v_cmp_le_u32_e32 vcc, s5, v26
	v_pk_add_f32 v[2:3], v[2:3], v[36:37]
	v_mad_u64_u32 v[36:37], s[28:29], v35, 36, s[22:23]
	v_lshl_add_u64 v[38:39], v[36:37], 0, v[20:21]
	global_load_dwordx2 v[40:41], v[38:39], off offset:4
	global_load_dwordx2 v[42:43], v[38:39], off offset:20
	global_load_dword v35, v[36:37], off
	v_mov_b32_e32 v36, 0
	s_or_b64 s[12:13], vcc, s[12:13]
	s_waitcnt vmcnt(2)
	v_dot4c_i32_i8_e32 v36, v23, v40
	s_waitcnt vmcnt(1)
	v_dot4c_i32_i8_e32 v36, v29, v42
	v_dot4c_i32_i8_e32 v36, v30, v41
	v_mov_b32_e32 v30, 0
	v_dot4c_i32_i8_e32 v30, v25, v40
	v_dot4c_i32_i8_e32 v30, v32, v42
	;; [unrolled: 1-line block ×4, first 2 shown]
	s_waitcnt vmcnt(0)
	v_pk_mul_f16 v29, v22, v35
	v_dot4c_i32_i8_e32 v30, v34, v43
	v_pk_mul_f16 v24, v24, v35
	v_cvt_f32_f16_e32 v22, v29
	v_cvt_f32_f16_e32 v23, v24
	v_cvt_f32_i32_e32 v31, v30
	v_cvt_f32_i32_e32 v30, v36
	v_cvt_f32_f16_sdwa v25, v24 dst_sel:DWORD dst_unused:UNUSED_PAD src0_sel:WORD_1
	v_cvt_f32_f16_sdwa v24, v29 dst_sel:DWORD dst_unused:UNUSED_PAD src0_sel:WORD_1
	v_pk_mul_f32 v[22:23], v[22:23], v[30:31]
	s_nop 0
	v_pk_fma_f32 v[22:23], v[24:25], 0.5, v[22:23] op_sel_hi:[1,0,1]
	s_nop 0
	v_pk_add_f32 v[18:19], v[18:19], v[22:23]
	s_andn2_b64 exec, exec, s[12:13]
	s_cbranch_execnz .LBB58_2
; %bb.3:
	s_or_b64 exec, exec, s[12:13]
	scratch_store_dwordx4 off, v[8:11], off
	scratch_store_dwordx4 off, v[4:7], off offset:16
	scratch_store_dwordx4 off, v[0:3], off offset:32
	scratch_store_dwordx2 off, v[18:19], off offset:48
.LBB58_4:
	s_or_b64 exec, exec, s[6:7]
	s_mov_b32 s5, 0
	v_cmp_eq_u32_e32 vcc, 0, v13
	s_waitcnt lgkmcnt(0)
	; wave barrier
	s_and_saveexec_b64 s[6:7], vcc
	s_cbranch_execz .LBB58_19
; %bb.5:
	scratch_load_dwordx2 v[2:3], off, off
	v_mbcnt_lo_u32_b32 v0, -1, 0
	v_mbcnt_hi_u32_b32 v13, -1, v0
	s_load_dwordx2 s[6:7], s[0:1], 0x38
	s_mul_i32 s0, s3, s14
	v_or_b32_e32 v1, s2, v12
	v_and_b32_e32 v0, 64, v13
	s_mul_i32 s4, s4, s18
	s_add_i32 s2, s0, s2
	v_cmp_gt_u32_e64 s[0:1], s10, v1
	v_xor_b32_e32 v1, 32, v13
	v_add_u32_e32 v14, 64, v0
	s_add_i32 s4, s2, s4
	v_cmp_lt_i32_e64 s[2:3], v1, v14
	v_cmp_gt_u32_e32 vcc, 2, v12
	s_nop 0
	v_cndmask_b32_e64 v0, v13, v1, s[2:3]
	v_lshlrev_b32_e32 v0, 2, v0
	v_xor_b32_e32 v1, 16, v13
	v_cmp_lt_i32_e64 s[2:3], v1, v14
	s_waitcnt vmcnt(0)
	ds_bpermute_b32 v4, v0, v2
	ds_bpermute_b32 v5, v0, v3
	v_cndmask_b32_e64 v1, v13, v1, s[2:3]
	v_lshlrev_b32_e32 v1, 2, v1
	s_waitcnt lgkmcnt(0)
	v_pk_add_f32 v[4:5], v[2:3], v[4:5]
	ds_bpermute_b32 v6, v1, v4
	ds_bpermute_b32 v7, v1, v5
	v_xor_b32_e32 v2, 8, v13
	v_cmp_lt_i32_e64 s[2:3], v2, v14
	v_xor_b32_e32 v3, 4, v13
	s_waitcnt lgkmcnt(0)
	v_pk_add_f32 v[4:5], v[4:5], v[6:7]
	v_cndmask_b32_e64 v2, v13, v2, s[2:3]
	v_lshlrev_b32_e32 v2, 2, v2
	ds_bpermute_b32 v6, v2, v4
	ds_bpermute_b32 v7, v2, v5
	v_cmp_lt_i32_e64 s[2:3], v3, v14
	s_waitcnt lgkmcnt(0)
	v_pk_add_f32 v[6:7], v[4:5], v[6:7]
	v_cndmask_b32_e64 v3, v13, v3, s[2:3]
	v_lshlrev_b32_e32 v3, 2, v3
	ds_bpermute_b32 v8, v3, v6
	ds_bpermute_b32 v9, v3, v7
	v_xor_b32_e32 v4, 2, v13
	v_cmp_lt_i32_e64 s[2:3], v4, v14
	v_xor_b32_e32 v5, 1, v13
	s_waitcnt lgkmcnt(0)
	v_pk_add_f32 v[8:9], v[6:7], v[8:9]
	v_cndmask_b32_e64 v4, v13, v4, s[2:3]
	v_lshlrev_b32_e32 v4, 2, v4
	ds_bpermute_b32 v10, v4, v8
	ds_bpermute_b32 v11, v4, v9
	v_cmp_lt_i32_e64 s[2:3], v5, v14
	s_waitcnt lgkmcnt(0)
	v_pk_add_f32 v[8:9], v[8:9], v[10:11]
	v_cndmask_b32_e64 v5, v13, v5, s[2:3]
	v_lshlrev_b32_e32 v6, 2, v5
	ds_bpermute_b32 v10, v6, v8
	ds_bpermute_b32 v11, v6, v9
	s_lshl_b64 s[2:3], s[4:5], 2
	s_add_u32 s2, s6, s2
	s_addc_u32 s3, s7, s3
	s_and_b64 s[0:1], vcc, s[0:1]
	s_waitcnt lgkmcnt(0)
	v_pk_add_f32 v[8:9], v[8:9], v[10:11]
	v_lshlrev_b32_e32 v5, 2, v12
	scratch_store_dwordx2 off, v[8:9], off
	s_and_saveexec_b64 s[4:5], s[0:1]
	s_cbranch_execz .LBB58_7
; %bb.6:
	scratch_load_dword v7, v5, off
	s_waitcnt vmcnt(0)
	global_store_dword v5, v7, s[2:3]
.LBB58_7:
	s_or_b64 exec, exec, s[4:5]
	scratch_load_dwordx2 v[8:9], off, off offset:8
	s_waitcnt vmcnt(0)
	ds_bpermute_b32 v10, v0, v8
	ds_bpermute_b32 v11, v0, v9
	s_waitcnt lgkmcnt(0)
	v_pk_add_f32 v[8:9], v[8:9], v[10:11]
	ds_bpermute_b32 v10, v1, v8
	ds_bpermute_b32 v11, v1, v9
	s_waitcnt lgkmcnt(0)
	v_pk_add_f32 v[8:9], v[8:9], v[10:11]
	;; [unrolled: 4-line block ×6, first 2 shown]
	scratch_store_dwordx2 off, v[8:9], off offset:8
	s_and_saveexec_b64 s[4:5], s[0:1]
	s_cbranch_execz .LBB58_9
; %bb.8:
	scratch_load_dword v7, v5, off offset:8
	v_add_u32_e32 v8, s10, v12
	v_mov_b32_e32 v9, 0
	v_lshl_add_u64 v[8:9], v[8:9], 2, s[2:3]
	s_waitcnt vmcnt(0)
	global_store_dword v[8:9], v7, off
.LBB58_9:
	s_or_b64 exec, exec, s[4:5]
	scratch_load_dwordx2 v[8:9], off, off offset:16
	s_waitcnt vmcnt(0)
	ds_bpermute_b32 v10, v0, v8
	ds_bpermute_b32 v11, v0, v9
	s_waitcnt lgkmcnt(0)
	v_pk_add_f32 v[8:9], v[8:9], v[10:11]
	ds_bpermute_b32 v10, v1, v8
	ds_bpermute_b32 v11, v1, v9
	s_waitcnt lgkmcnt(0)
	v_pk_add_f32 v[8:9], v[8:9], v[10:11]
	;; [unrolled: 4-line block ×6, first 2 shown]
	scratch_store_dwordx2 off, v[8:9], off offset:16
	s_and_saveexec_b64 s[4:5], s[0:1]
	s_cbranch_execz .LBB58_11
; %bb.10:
	scratch_load_dword v7, v5, off offset:16
	v_lshl_or_b32 v8, s10, 1, v12
	v_mov_b32_e32 v9, 0
	v_lshl_add_u64 v[8:9], v[8:9], 2, s[2:3]
	s_waitcnt vmcnt(0)
	global_store_dword v[8:9], v7, off
.LBB58_11:
	s_or_b64 exec, exec, s[4:5]
	scratch_load_dwordx2 v[8:9], off, off offset:24
	s_waitcnt vmcnt(0)
	ds_bpermute_b32 v10, v0, v8
	ds_bpermute_b32 v11, v0, v9
	s_waitcnt lgkmcnt(0)
	v_pk_add_f32 v[8:9], v[8:9], v[10:11]
	ds_bpermute_b32 v10, v1, v8
	ds_bpermute_b32 v11, v1, v9
	s_waitcnt lgkmcnt(0)
	v_pk_add_f32 v[8:9], v[8:9], v[10:11]
	;; [unrolled: 4-line block ×6, first 2 shown]
	scratch_store_dwordx2 off, v[8:9], off offset:24
	s_and_saveexec_b64 s[4:5], s[0:1]
	s_cbranch_execz .LBB58_13
; %bb.12:
	scratch_load_dword v7, v5, off offset:24
	v_mad_u64_u32 v[8:9], s[6:7], s10, 3, v[12:13]
	v_mov_b32_e32 v9, 0
	v_lshl_add_u64 v[8:9], v[8:9], 2, s[2:3]
	s_waitcnt vmcnt(0)
	global_store_dword v[8:9], v7, off
.LBB58_13:
	s_or_b64 exec, exec, s[4:5]
	scratch_load_dwordx2 v[8:9], off, off offset:32
	s_waitcnt vmcnt(0)
	ds_bpermute_b32 v10, v0, v8
	ds_bpermute_b32 v11, v0, v9
	s_waitcnt lgkmcnt(0)
	v_pk_add_f32 v[8:9], v[8:9], v[10:11]
	ds_bpermute_b32 v10, v1, v8
	ds_bpermute_b32 v11, v1, v9
	s_waitcnt lgkmcnt(0)
	v_pk_add_f32 v[8:9], v[8:9], v[10:11]
	ds_bpermute_b32 v10, v2, v8
	ds_bpermute_b32 v11, v2, v9
	s_waitcnt lgkmcnt(0)
	v_pk_add_f32 v[8:9], v[8:9], v[10:11]
	ds_bpermute_b32 v10, v3, v8
	ds_bpermute_b32 v11, v3, v9
	s_waitcnt lgkmcnt(0)
	v_pk_add_f32 v[8:9], v[8:9], v[10:11]
	ds_bpermute_b32 v10, v4, v8
	ds_bpermute_b32 v11, v4, v9
	s_waitcnt lgkmcnt(0)
	v_pk_add_f32 v[8:9], v[8:9], v[10:11]
	ds_bpermute_b32 v10, v6, v8
	ds_bpermute_b32 v11, v6, v9
	s_waitcnt lgkmcnt(0)
	v_pk_add_f32 v[8:9], v[8:9], v[10:11]
	scratch_store_dwordx2 off, v[8:9], off offset:32
	s_and_saveexec_b64 s[4:5], s[0:1]
	s_cbranch_execz .LBB58_15
; %bb.14:
	scratch_load_dword v7, v5, off offset:32
	v_lshl_or_b32 v8, s10, 2, v12
	v_mov_b32_e32 v9, 0
	v_lshl_add_u64 v[8:9], v[8:9], 2, s[2:3]
	s_waitcnt vmcnt(0)
	global_store_dword v[8:9], v7, off
.LBB58_15:
	s_or_b64 exec, exec, s[4:5]
	scratch_load_dwordx2 v[8:9], off, off offset:40
	s_waitcnt vmcnt(0)
	ds_bpermute_b32 v10, v0, v8
	ds_bpermute_b32 v11, v0, v9
	s_waitcnt lgkmcnt(0)
	v_pk_add_f32 v[8:9], v[8:9], v[10:11]
	ds_bpermute_b32 v10, v1, v8
	ds_bpermute_b32 v11, v1, v9
	s_waitcnt lgkmcnt(0)
	v_pk_add_f32 v[8:9], v[8:9], v[10:11]
	;; [unrolled: 4-line block ×6, first 2 shown]
	scratch_store_dwordx2 off, v[8:9], off offset:40
	s_and_saveexec_b64 s[4:5], s[0:1]
	s_cbranch_execz .LBB58_17
; %bb.16:
	scratch_load_dword v7, v5, off offset:40
	v_mad_u64_u32 v[8:9], s[6:7], s10, 5, v[12:13]
	v_mov_b32_e32 v9, 0
	v_lshl_add_u64 v[8:9], v[8:9], 2, s[2:3]
	s_waitcnt vmcnt(0)
	global_store_dword v[8:9], v7, off
.LBB58_17:
	s_or_b64 exec, exec, s[4:5]
	scratch_load_dwordx2 v[8:9], off, off offset:48
	s_waitcnt vmcnt(0)
	ds_bpermute_b32 v10, v0, v8
	ds_bpermute_b32 v11, v0, v9
	s_waitcnt lgkmcnt(0)
	v_pk_add_f32 v[8:9], v[8:9], v[10:11]
	ds_bpermute_b32 v0, v1, v8
	ds_bpermute_b32 v1, v1, v9
	s_waitcnt lgkmcnt(0)
	v_pk_add_f32 v[0:1], v[8:9], v[0:1]
	;; [unrolled: 4-line block ×6, first 2 shown]
	scratch_store_dwordx2 off, v[0:1], off offset:48
	s_and_b64 exec, exec, s[0:1]
	s_cbranch_execz .LBB58_19
; %bb.18:
	scratch_load_dword v2, v5, off offset:48
	s_mul_i32 s0, s10, 6
	v_or_b32_e32 v0, s0, v12
	v_mov_b32_e32 v1, 0
	v_lshl_add_u64 v[0:1], v[0:1], 2, s[2:3]
	s_waitcnt vmcnt(0)
	global_store_dword v[0:1], v2, off
.LBB58_19:
	s_endpgm
	.section	.rodata,"a",@progbits
	.p2align	6, 0x0
	.amdhsa_kernel _ZL13mul_mat_vec_qIL9ggml_type7ELi7ELb0ELb0EEvPKvS2_PKi31ggml_cuda_mm_fusion_args_devicePfj15HIP_vector_typeIjLj3EEjjjS8_jjjS8_jjjj
		.amdhsa_group_segment_fixed_size 0
		.amdhsa_private_segment_fixed_size 64
		.amdhsa_kernarg_size 144
		.amdhsa_user_sgpr_count 2
		.amdhsa_user_sgpr_dispatch_ptr 0
		.amdhsa_user_sgpr_queue_ptr 0
		.amdhsa_user_sgpr_kernarg_segment_ptr 1
		.amdhsa_user_sgpr_dispatch_id 0
		.amdhsa_user_sgpr_kernarg_preload_length 0
		.amdhsa_user_sgpr_kernarg_preload_offset 0
		.amdhsa_user_sgpr_private_segment_size 0
		.amdhsa_uses_dynamic_stack 0
		.amdhsa_enable_private_segment 1
		.amdhsa_system_sgpr_workgroup_id_x 1
		.amdhsa_system_sgpr_workgroup_id_y 1
		.amdhsa_system_sgpr_workgroup_id_z 1
		.amdhsa_system_sgpr_workgroup_info 0
		.amdhsa_system_vgpr_workitem_id 1
		.amdhsa_next_free_vgpr 46
		.amdhsa_next_free_sgpr 30
		.amdhsa_accum_offset 48
		.amdhsa_reserve_vcc 1
		.amdhsa_float_round_mode_32 0
		.amdhsa_float_round_mode_16_64 0
		.amdhsa_float_denorm_mode_32 3
		.amdhsa_float_denorm_mode_16_64 3
		.amdhsa_dx10_clamp 1
		.amdhsa_ieee_mode 1
		.amdhsa_fp16_overflow 0
		.amdhsa_tg_split 0
		.amdhsa_exception_fp_ieee_invalid_op 0
		.amdhsa_exception_fp_denorm_src 0
		.amdhsa_exception_fp_ieee_div_zero 0
		.amdhsa_exception_fp_ieee_overflow 0
		.amdhsa_exception_fp_ieee_underflow 0
		.amdhsa_exception_fp_ieee_inexact 0
		.amdhsa_exception_int_div_zero 0
	.end_amdhsa_kernel
	.section	.text._ZL13mul_mat_vec_qIL9ggml_type7ELi7ELb0ELb0EEvPKvS2_PKi31ggml_cuda_mm_fusion_args_devicePfj15HIP_vector_typeIjLj3EEjjjS8_jjjS8_jjjj,"axG",@progbits,_ZL13mul_mat_vec_qIL9ggml_type7ELi7ELb0ELb0EEvPKvS2_PKi31ggml_cuda_mm_fusion_args_devicePfj15HIP_vector_typeIjLj3EEjjjS8_jjjS8_jjjj,comdat
.Lfunc_end58:
	.size	_ZL13mul_mat_vec_qIL9ggml_type7ELi7ELb0ELb0EEvPKvS2_PKi31ggml_cuda_mm_fusion_args_devicePfj15HIP_vector_typeIjLj3EEjjjS8_jjjS8_jjjj, .Lfunc_end58-_ZL13mul_mat_vec_qIL9ggml_type7ELi7ELb0ELb0EEvPKvS2_PKi31ggml_cuda_mm_fusion_args_devicePfj15HIP_vector_typeIjLj3EEjjjS8_jjjS8_jjjj
                                        ; -- End function
	.section	.AMDGPU.csdata,"",@progbits
; Kernel info:
; codeLenInByte = 4220
; NumSgprs: 36
; NumVgprs: 46
; NumAgprs: 0
; TotalNumVgprs: 46
; ScratchSize: 64
; MemoryBound: 0
; FloatMode: 240
; IeeeMode: 1
; LDSByteSize: 0 bytes/workgroup (compile time only)
; SGPRBlocks: 4
; VGPRBlocks: 5
; NumSGPRsForWavesPerEU: 36
; NumVGPRsForWavesPerEU: 46
; AccumOffset: 48
; Occupancy: 8
; WaveLimiterHint : 0
; COMPUTE_PGM_RSRC2:SCRATCH_EN: 1
; COMPUTE_PGM_RSRC2:USER_SGPR: 2
; COMPUTE_PGM_RSRC2:TRAP_HANDLER: 0
; COMPUTE_PGM_RSRC2:TGID_X_EN: 1
; COMPUTE_PGM_RSRC2:TGID_Y_EN: 1
; COMPUTE_PGM_RSRC2:TGID_Z_EN: 1
; COMPUTE_PGM_RSRC2:TIDIG_COMP_CNT: 1
; COMPUTE_PGM_RSRC3_GFX90A:ACCUM_OFFSET: 11
; COMPUTE_PGM_RSRC3_GFX90A:TG_SPLIT: 0
	.section	.text._ZL13mul_mat_vec_qIL9ggml_type7ELi8ELb0ELb0EEvPKvS2_PKi31ggml_cuda_mm_fusion_args_devicePfj15HIP_vector_typeIjLj3EEjjjS8_jjjS8_jjjj,"axG",@progbits,_ZL13mul_mat_vec_qIL9ggml_type7ELi8ELb0ELb0EEvPKvS2_PKi31ggml_cuda_mm_fusion_args_devicePfj15HIP_vector_typeIjLj3EEjjjS8_jjjS8_jjjj,comdat
	.globl	_ZL13mul_mat_vec_qIL9ggml_type7ELi8ELb0ELb0EEvPKvS2_PKi31ggml_cuda_mm_fusion_args_devicePfj15HIP_vector_typeIjLj3EEjjjS8_jjjS8_jjjj ; -- Begin function _ZL13mul_mat_vec_qIL9ggml_type7ELi8ELb0ELb0EEvPKvS2_PKi31ggml_cuda_mm_fusion_args_devicePfj15HIP_vector_typeIjLj3EEjjjS8_jjjS8_jjjj
	.p2align	8
	.type	_ZL13mul_mat_vec_qIL9ggml_type7ELi8ELb0ELb0EEvPKvS2_PKi31ggml_cuda_mm_fusion_args_devicePfj15HIP_vector_typeIjLj3EEjjjS8_jjjS8_jjjj,@function
_ZL13mul_mat_vec_qIL9ggml_type7ELi8ELb0ELb0EEvPKvS2_PKi31ggml_cuda_mm_fusion_args_devicePfj15HIP_vector_typeIjLj3EEjjjS8_jjjS8_jjjj: ; @_ZL13mul_mat_vec_qIL9ggml_type7ELi8ELb0ELb0EEvPKvS2_PKi31ggml_cuda_mm_fusion_args_devicePfj15HIP_vector_typeIjLj3EEjjjS8_jjjS8_jjjj
; %bb.0:
	v_bfe_u32 v17, v0, 10, 10
	v_lshlrev_b32_e32 v1, 6, v17
	v_and_b32_e32 v16, 0x3ff, v0
	s_mov_b32 s20, 0
	s_load_dword s5, s[0:1], 0x40
	s_load_dwordx4 s[8:11], s[0:1], 0x50
	s_load_dword s25, s[0:1], 0x60
	s_load_dwordx4 s[12:15], s[0:1], 0x68
	;; [unrolled: 2-line block ×3, first 2 shown]
	s_mov_b32 s21, s20
	v_add_u16_e32 v0, v1, v16
	s_waitcnt lgkmcnt(0)
	s_lshr_b32 s5, s5, 5
	s_mov_b32 s22, s20
	s_mov_b32 s23, s20
	v_mov_b64_e32 v[2:3], s[20:21]
	v_lshrrev_b16_e32 v28, 1, v0
	s_lshl_b32 s2, s2, 1
	v_mov_b64_e32 v[4:5], s[22:23]
	v_cmp_gt_u32_e32 vcc, s5, v28
	scratch_store_dwordx4 off, v[2:5], off offset:48
	scratch_store_dwordx4 off, v[2:5], off offset:32
	;; [unrolled: 1-line block ×3, first 2 shown]
	scratch_store_dwordx4 off, v[2:5], off
	s_and_saveexec_b64 s[6:7], vcc
	s_cbranch_execz .LBB59_4
; %bb.1:
	s_load_dwordx4 s[20:23], s[0:1], 0x0
	s_mul_i32 s17, s4, s17
	s_mul_hi_u32 s19, s17, 36
	s_mul_i32 s17, s17, 36
	s_mul_i32 s13, s3, s13
	s_waitcnt lgkmcnt(0)
	s_add_u32 s17, s22, s17
	s_addc_u32 s19, s23, s19
	s_mul_hi_u32 s23, s13, 36
	s_mul_i32 s13, s13, 36
	s_add_u32 s22, s17, s13
	s_mul_hi_u32 s11, s11, s3
	s_addc_u32 s23, s19, s23
	s_add_i32 s11, s3, s11
	v_and_b32_e32 v2, 1, v16
	s_lshr_b32 s11, s11, s25
	v_lshlrev_b32_e32 v18, 3, v2
	v_and_b32_e32 v2, v1, v16
	v_xor_b32_e32 v1, v1, v16
	s_mul_i32 s17, s11, s12
	s_mul_hi_u32 s11, s15, s4
	v_lshrrev_b16_e32 v1, 1, v1
	s_add_i32 s11, s4, s11
	v_add_u16_e32 v1, v2, v1
	s_lshr_b32 s11, s11, s24
	v_lshlrev_b32_e32 v0, 1, v16
	v_mad_u64_u32 v[20:21], s[12:13], v1, 36, s[22:23]
	s_mul_i32 s16, s11, s16
	v_and_b32_e32 v0, 2, v0
	s_add_i32 s13, s2, 1
	v_mov_b32_e32 v19, 0
	v_lshlrev_b32_e32 v29, 2, v0
	s_mul_i32 s27, s2, s8
	s_add_i32 s12, s16, s17
	s_mul_i32 s8, s8, s13
	v_or_b32_e32 v30, 4, v29
	s_lshl_b32 s11, s9, 1
	s_mul_i32 s15, s9, 3
	s_lshl_b32 s19, s9, 2
	s_mul_i32 s24, s9, 5
	s_mul_i32 s25, s9, 6
	;; [unrolled: 1-line block ×3, first 2 shown]
	s_add_i32 s8, s12, s8
	s_add_i32 s27, s12, s27
	s_mov_b64 s[12:13], 0
	v_lshlrev_b32_e32 v22, 2, v0
	v_mov_b32_e32 v23, v19
	s_mov_b64 s[16:17], 0x480
	v_mov_b32_e32 v12, v19
	v_mov_b32_e32 v13, v19
	;; [unrolled: 1-line block ×16, first 2 shown]
.LBB59_2:                               ; =>This Inner Loop Header: Depth=1
	v_add_u32_e32 v26, s27, v28
	v_lshl_add_u64 v[24:25], v[20:21], 0, v[18:19]
	v_mad_i64_i32 v[26:27], s[28:29], v26, 24, s[20:21]
	global_load_dwordx2 v[36:37], v[24:25], off offset:4
	global_load_dwordx2 v[38:39], v[24:25], off offset:20
	global_load_dword v42, v[20:21], off
	v_mov_b32_e32 v44, 0
	global_load_dwordx2 v[24:25], v[26:27], off
	v_lshl_add_u64 v[26:27], v[26:27], 0, v[22:23]
	global_load_dwordx2 v[26:27], v[26:27], off offset:8
	v_lshl_add_u64 v[20:21], v[20:21], 0, s[16:17]
	s_waitcnt vmcnt(1)
	v_ashrrev_i32_e32 v31, v29, v25
	v_lshlrev_b32_e32 v32, 4, v31
	v_lshlrev_b32_e32 v34, 11, v31
	v_ashrrev_i32_e32 v33, v30, v25
	s_waitcnt vmcnt(0)
	v_and_b32_e32 v25, 0xf0f0f0f, v26
	v_and_b32_e32 v32, 16, v32
	;; [unrolled: 1-line block ×3, first 2 shown]
	v_or3_b32 v25, v32, v25, v34
	v_lshlrev_b32_e32 v32, 18, v31
	v_lshlrev_b32_e32 v34, 25, v31
	v_and_b32_e32 v32, 0x100000, v32
	v_and_b32_e32 v34, 0x10000000, v34
	v_or3_b32 v25, v25, v32, v34
	v_lshrrev_b32_e32 v32, 12, v31
	v_lshrrev_b32_e32 v34, 5, v31
	v_lshlrev_b32_e32 v35, 2, v31
	v_lshrrev_b32_e32 v26, 4, v26
	v_and_b32_e32 v32, 16, v32
	v_and_b32_e32 v34, 0x1000, v34
	;; [unrolled: 1-line block ×3, first 2 shown]
	v_lshlrev_b32_e32 v31, 9, v31
	v_and_b32_e32 v26, 0xf0f0f0f, v26
	v_and_b32_e32 v31, 0x10000000, v31
	v_or3_b32 v32, v34, v32, v35
	v_or3_b32 v31, v32, v31, v26
	v_lshlrev_b32_e32 v32, 4, v33
	v_lshlrev_b32_e32 v34, 11, v33
	;; [unrolled: 1-line block ×3, first 2 shown]
	v_and_b32_e32 v32, 16, v32
	v_and_b32_e32 v34, 0x1000, v34
	;; [unrolled: 1-line block ×3, first 2 shown]
	v_lshlrev_b32_e32 v40, 25, v33
	v_and_b32_e32 v26, 0xf0f0f0f, v27
	v_and_b32_e32 v40, 0x10000000, v40
	v_or3_b32 v32, v34, v32, v35
	v_or3_b32 v32, v32, v40, v26
	v_lshrrev_b32_e32 v26, 4, v27
	v_lshrrev_b32_e32 v27, 12, v33
	;; [unrolled: 1-line block ×3, first 2 shown]
	v_lshlrev_b32_e32 v35, 2, v33
	v_and_b32_e32 v27, 16, v27
	v_and_b32_e32 v34, 0x1000, v34
	;; [unrolled: 1-line block ×3, first 2 shown]
	v_lshlrev_b32_e32 v33, 9, v33
	v_and_b32_e32 v26, 0xf0f0f0f, v26
	v_and_b32_e32 v33, 0x10000000, v33
	v_or3_b32 v27, v34, v27, v35
	v_or3_b32 v33, v27, v33, v26
	v_add_u32_e32 v26, s8, v28
	v_mad_i64_i32 v[34:35], s[28:29], v26, 24, s[20:21]
	global_load_dwordx2 v[26:27], v[34:35], off
	v_lshl_add_u64 v[34:35], v[34:35], 0, v[22:23]
	global_load_dwordx2 v[40:41], v[34:35], off offset:8
	v_dot4c_i32_i8_e32 v44, v25, v36
	v_dot4c_i32_i8_e32 v44, v31, v38
	;; [unrolled: 1-line block ×4, first 2 shown]
	v_pk_mul_f16 v43, v24, v42
	s_waitcnt vmcnt(1)
	v_ashrrev_i32_e32 v34, v29, v27
	v_lshlrev_b32_e32 v35, 4, v34
	v_lshlrev_b32_e32 v46, 11, v34
	v_ashrrev_i32_e32 v45, v30, v27
	s_waitcnt vmcnt(0)
	v_and_b32_e32 v27, 0xf0f0f0f, v40
	v_and_b32_e32 v35, 16, v35
	;; [unrolled: 1-line block ×3, first 2 shown]
	v_or3_b32 v27, v35, v27, v46
	v_lshlrev_b32_e32 v35, 18, v34
	v_lshlrev_b32_e32 v46, 25, v34
	v_and_b32_e32 v35, 0x100000, v35
	v_and_b32_e32 v46, 0x10000000, v46
	v_or3_b32 v27, v27, v35, v46
	v_mov_b32_e32 v46, 0
	v_dot4c_i32_i8_e32 v46, v27, v36
	v_lshrrev_b32_e32 v35, 4, v40
	v_lshrrev_b32_e32 v36, 12, v34
	;; [unrolled: 1-line block ×3, first 2 shown]
	v_lshlrev_b32_e32 v47, 2, v34
	v_and_b32_e32 v36, 16, v36
	v_and_b32_e32 v40, 0x1000, v40
	;; [unrolled: 1-line block ×3, first 2 shown]
	v_lshlrev_b32_e32 v34, 9, v34
	v_and_b32_e32 v35, 0xf0f0f0f, v35
	v_and_b32_e32 v34, 0x10000000, v34
	v_or3_b32 v36, v40, v36, v47
	v_or3_b32 v34, v36, v34, v35
	v_dot4c_i32_i8_e32 v46, v34, v38
	v_lshlrev_b32_e32 v36, 4, v45
	v_lshlrev_b32_e32 v38, 11, v45
	;; [unrolled: 1-line block ×3, first 2 shown]
	v_and_b32_e32 v36, 16, v36
	v_and_b32_e32 v38, 0x1000, v38
	;; [unrolled: 1-line block ×3, first 2 shown]
	v_lshlrev_b32_e32 v47, 25, v45
	v_and_b32_e32 v35, 0xf0f0f0f, v41
	v_and_b32_e32 v47, 0x10000000, v47
	v_or3_b32 v36, v38, v36, v40
	v_or3_b32 v35, v36, v47, v35
	v_dot4c_i32_i8_e32 v46, v35, v37
	v_lshrrev_b32_e32 v37, 12, v45
	v_lshrrev_b32_e32 v38, 5, v45
	v_lshlrev_b32_e32 v40, 2, v45
	v_lshrrev_b32_e32 v36, 4, v41
	v_and_b32_e32 v37, 16, v37
	v_and_b32_e32 v38, 0x1000, v38
	;; [unrolled: 1-line block ×3, first 2 shown]
	v_lshlrev_b32_e32 v41, 9, v45
	v_and_b32_e32 v36, 0xf0f0f0f, v36
	v_and_b32_e32 v41, 0x10000000, v41
	v_or3_b32 v37, v38, v37, v40
	v_or3_b32 v36, v37, v41, v36
	v_dot4c_i32_i8_e32 v46, v36, v39
	v_pk_mul_f16 v37, v26, v42
	v_cvt_f32_f16_e32 v38, v43
	v_cvt_f32_f16_e32 v39, v37
	v_cvt_f32_f16_sdwa v40, v43 dst_sel:DWORD dst_unused:UNUSED_PAD src0_sel:WORD_1
	v_cvt_f32_i32_e32 v43, v46
	v_cvt_f32_i32_e32 v42, v44
	v_cvt_f32_f16_sdwa v41, v37 dst_sel:DWORD dst_unused:UNUSED_PAD src0_sel:WORD_1
	v_add_u32_e32 v37, s9, v28
	v_mov_b32_e32 v46, 0
	v_pk_mul_f32 v[38:39], v[38:39], v[42:43]
	v_mov_b32_e32 v47, 0
	v_pk_fma_f32 v[38:39], v[40:41], 0.5, v[38:39] op_sel_hi:[1,0,1]
	s_nop 0
	v_pk_add_f32 v[12:13], v[12:13], v[38:39]
	v_mad_u64_u32 v[38:39], s[28:29], v37, 36, s[22:23]
	v_lshl_add_u64 v[40:41], v[38:39], 0, v[22:23]
	global_load_dwordx2 v[42:43], v[40:41], off offset:4
	global_load_dwordx2 v[44:45], v[40:41], off offset:20
	global_load_dword v37, v[38:39], off
	s_waitcnt vmcnt(2)
	v_dot4c_i32_i8_e32 v46, v25, v42
	v_dot4c_i32_i8_e32 v47, v27, v42
	s_waitcnt vmcnt(1)
	v_dot4c_i32_i8_e32 v46, v31, v44
	v_dot4c_i32_i8_e32 v47, v34, v44
	v_dot4c_i32_i8_e32 v46, v32, v43
	v_dot4c_i32_i8_e32 v47, v35, v43
	v_dot4c_i32_i8_e32 v46, v33, v45
	s_waitcnt vmcnt(0)
	v_pk_mul_f16 v40, v24, v37
	v_dot4c_i32_i8_e32 v47, v36, v45
	v_pk_mul_f16 v37, v26, v37
	v_cvt_f32_f16_e32 v38, v40
	v_cvt_f32_f16_e32 v39, v37
	v_cvt_f32_i32_e32 v43, v47
	v_cvt_f32_i32_e32 v42, v46
	v_cvt_f32_f16_sdwa v41, v37 dst_sel:DWORD dst_unused:UNUSED_PAD src0_sel:WORD_1
	v_cvt_f32_f16_sdwa v40, v40 dst_sel:DWORD dst_unused:UNUSED_PAD src0_sel:WORD_1
	v_add_u32_e32 v37, s11, v28
	v_pk_mul_f32 v[38:39], v[38:39], v[42:43]
	v_mov_b32_e32 v46, 0
	v_pk_fma_f32 v[38:39], v[40:41], 0.5, v[38:39] op_sel_hi:[1,0,1]
	v_mov_b32_e32 v47, 0
	v_pk_add_f32 v[14:15], v[14:15], v[38:39]
	v_mad_u64_u32 v[38:39], s[28:29], v37, 36, s[22:23]
	v_lshl_add_u64 v[40:41], v[38:39], 0, v[22:23]
	global_load_dwordx2 v[42:43], v[40:41], off offset:4
	global_load_dwordx2 v[44:45], v[40:41], off offset:20
	global_load_dword v37, v[38:39], off
	s_waitcnt vmcnt(2)
	v_dot4c_i32_i8_e32 v46, v25, v42
	v_dot4c_i32_i8_e32 v47, v27, v42
	s_waitcnt vmcnt(1)
	v_dot4c_i32_i8_e32 v46, v31, v44
	v_dot4c_i32_i8_e32 v47, v34, v44
	v_dot4c_i32_i8_e32 v46, v32, v43
	v_dot4c_i32_i8_e32 v47, v35, v43
	v_dot4c_i32_i8_e32 v46, v33, v45
	s_waitcnt vmcnt(0)
	v_pk_mul_f16 v40, v24, v37
	v_dot4c_i32_i8_e32 v47, v36, v45
	v_pk_mul_f16 v37, v26, v37
	v_cvt_f32_f16_e32 v38, v40
	v_cvt_f32_f16_e32 v39, v37
	v_cvt_f32_i32_e32 v43, v47
	v_cvt_f32_i32_e32 v42, v46
	v_cvt_f32_f16_sdwa v41, v37 dst_sel:DWORD dst_unused:UNUSED_PAD src0_sel:WORD_1
	v_cvt_f32_f16_sdwa v40, v40 dst_sel:DWORD dst_unused:UNUSED_PAD src0_sel:WORD_1
	v_add_u32_e32 v37, s15, v28
	v_pk_mul_f32 v[38:39], v[38:39], v[42:43]
	v_mov_b32_e32 v46, 0
	v_pk_fma_f32 v[38:39], v[40:41], 0.5, v[38:39] op_sel_hi:[1,0,1]
	v_mov_b32_e32 v47, 0
	;; [unrolled: 30-line block ×5, first 2 shown]
	v_pk_add_f32 v[6:7], v[6:7], v[38:39]
	v_mad_u64_u32 v[38:39], s[28:29], v37, 36, s[22:23]
	v_lshl_add_u64 v[40:41], v[38:39], 0, v[22:23]
	global_load_dwordx2 v[42:43], v[40:41], off offset:4
	global_load_dwordx2 v[44:45], v[40:41], off offset:20
	global_load_dword v37, v[38:39], off
	s_waitcnt vmcnt(2)
	v_dot4c_i32_i8_e32 v46, v25, v42
	v_dot4c_i32_i8_e32 v47, v27, v42
	s_waitcnt vmcnt(1)
	v_dot4c_i32_i8_e32 v46, v31, v44
	v_dot4c_i32_i8_e32 v47, v34, v44
	v_dot4c_i32_i8_e32 v46, v32, v43
	v_dot4c_i32_i8_e32 v47, v35, v43
	v_dot4c_i32_i8_e32 v46, v33, v45
	s_waitcnt vmcnt(0)
	v_pk_mul_f16 v40, v24, v37
	v_dot4c_i32_i8_e32 v47, v36, v45
	v_pk_mul_f16 v37, v26, v37
	v_cvt_f32_f16_e32 v38, v40
	v_cvt_f32_f16_e32 v39, v37
	v_cvt_f32_i32_e32 v43, v47
	v_cvt_f32_i32_e32 v42, v46
	v_cvt_f32_f16_sdwa v41, v37 dst_sel:DWORD dst_unused:UNUSED_PAD src0_sel:WORD_1
	v_cvt_f32_f16_sdwa v40, v40 dst_sel:DWORD dst_unused:UNUSED_PAD src0_sel:WORD_1
	v_add_u32_e32 v37, s26, v28
	v_pk_mul_f32 v[38:39], v[38:39], v[42:43]
	v_add_u32_e32 v28, 32, v28
	v_pk_fma_f32 v[38:39], v[40:41], 0.5, v[38:39] op_sel_hi:[1,0,1]
	v_cmp_le_u32_e32 vcc, s5, v28
	v_pk_add_f32 v[0:1], v[0:1], v[38:39]
	v_mad_u64_u32 v[38:39], s[28:29], v37, 36, s[22:23]
	v_lshl_add_u64 v[40:41], v[38:39], 0, v[22:23]
	global_load_dwordx2 v[42:43], v[40:41], off offset:4
	global_load_dwordx2 v[44:45], v[40:41], off offset:20
	global_load_dword v37, v[38:39], off
	v_mov_b32_e32 v38, 0
	s_or_b64 s[12:13], vcc, s[12:13]
	s_waitcnt vmcnt(2)
	v_dot4c_i32_i8_e32 v38, v25, v42
	s_waitcnt vmcnt(1)
	v_dot4c_i32_i8_e32 v38, v31, v44
	v_dot4c_i32_i8_e32 v38, v32, v43
	v_mov_b32_e32 v32, 0
	v_dot4c_i32_i8_e32 v32, v27, v42
	v_dot4c_i32_i8_e32 v32, v34, v44
	;; [unrolled: 1-line block ×4, first 2 shown]
	s_waitcnt vmcnt(0)
	v_pk_mul_f16 v31, v24, v37
	v_dot4c_i32_i8_e32 v32, v36, v45
	v_pk_mul_f16 v26, v26, v37
	v_cvt_f32_f16_e32 v24, v31
	v_cvt_f32_f16_e32 v25, v26
	v_cvt_f32_i32_e32 v33, v32
	v_cvt_f32_i32_e32 v32, v38
	v_cvt_f32_f16_sdwa v27, v26 dst_sel:DWORD dst_unused:UNUSED_PAD src0_sel:WORD_1
	v_cvt_f32_f16_sdwa v26, v31 dst_sel:DWORD dst_unused:UNUSED_PAD src0_sel:WORD_1
	v_pk_mul_f32 v[24:25], v[24:25], v[32:33]
	s_nop 0
	v_pk_fma_f32 v[24:25], v[26:27], 0.5, v[24:25] op_sel_hi:[1,0,1]
	s_nop 0
	v_pk_add_f32 v[2:3], v[2:3], v[24:25]
	s_andn2_b64 exec, exec, s[12:13]
	s_cbranch_execnz .LBB59_2
; %bb.3:
	s_or_b64 exec, exec, s[12:13]
	scratch_store_dwordx4 off, v[12:15], off
	scratch_store_dwordx4 off, v[8:11], off offset:16
	scratch_store_dwordx4 off, v[4:7], off offset:32
	;; [unrolled: 1-line block ×3, first 2 shown]
.LBB59_4:
	s_or_b64 exec, exec, s[6:7]
	s_mov_b32 s5, 0
	v_cmp_eq_u32_e32 vcc, 0, v17
	s_waitcnt lgkmcnt(0)
	; wave barrier
	s_and_saveexec_b64 s[6:7], vcc
	s_cbranch_execz .LBB59_21
; %bb.5:
	scratch_load_dwordx2 v[2:3], off, off
	v_mbcnt_lo_u32_b32 v0, -1, 0
	v_mbcnt_hi_u32_b32 v12, -1, v0
	s_load_dwordx2 s[6:7], s[0:1], 0x38
	s_mul_i32 s0, s3, s14
	v_or_b32_e32 v1, s2, v16
	v_and_b32_e32 v0, 64, v12
	s_mul_i32 s4, s4, s18
	s_add_i32 s2, s0, s2
	v_cmp_gt_u32_e64 s[0:1], s10, v1
	v_xor_b32_e32 v1, 32, v12
	v_add_u32_e32 v13, 64, v0
	s_add_i32 s4, s2, s4
	v_cmp_lt_i32_e64 s[2:3], v1, v13
	v_cmp_gt_u32_e32 vcc, 2, v16
	s_nop 0
	v_cndmask_b32_e64 v0, v12, v1, s[2:3]
	v_lshlrev_b32_e32 v0, 2, v0
	v_xor_b32_e32 v1, 16, v12
	v_cmp_lt_i32_e64 s[2:3], v1, v13
	s_waitcnt vmcnt(0)
	ds_bpermute_b32 v4, v0, v2
	ds_bpermute_b32 v5, v0, v3
	v_cndmask_b32_e64 v1, v12, v1, s[2:3]
	v_lshlrev_b32_e32 v1, 2, v1
	s_waitcnt lgkmcnt(0)
	v_pk_add_f32 v[4:5], v[2:3], v[4:5]
	ds_bpermute_b32 v6, v1, v4
	ds_bpermute_b32 v7, v1, v5
	v_xor_b32_e32 v2, 8, v12
	v_cmp_lt_i32_e64 s[2:3], v2, v13
	v_xor_b32_e32 v3, 4, v12
	s_waitcnt lgkmcnt(0)
	v_pk_add_f32 v[4:5], v[4:5], v[6:7]
	v_cndmask_b32_e64 v2, v12, v2, s[2:3]
	v_lshlrev_b32_e32 v2, 2, v2
	ds_bpermute_b32 v6, v2, v4
	ds_bpermute_b32 v7, v2, v5
	v_cmp_lt_i32_e64 s[2:3], v3, v13
	s_waitcnt lgkmcnt(0)
	v_pk_add_f32 v[6:7], v[4:5], v[6:7]
	v_cndmask_b32_e64 v3, v12, v3, s[2:3]
	v_lshlrev_b32_e32 v3, 2, v3
	ds_bpermute_b32 v8, v3, v6
	ds_bpermute_b32 v9, v3, v7
	v_xor_b32_e32 v4, 2, v12
	v_cmp_lt_i32_e64 s[2:3], v4, v13
	v_xor_b32_e32 v5, 1, v12
	s_waitcnt lgkmcnt(0)
	v_pk_add_f32 v[8:9], v[6:7], v[8:9]
	v_cndmask_b32_e64 v4, v12, v4, s[2:3]
	v_lshlrev_b32_e32 v4, 2, v4
	ds_bpermute_b32 v10, v4, v8
	ds_bpermute_b32 v11, v4, v9
	v_cmp_lt_i32_e64 s[2:3], v5, v13
	s_waitcnt lgkmcnt(0)
	v_pk_add_f32 v[8:9], v[8:9], v[10:11]
	v_cndmask_b32_e64 v5, v12, v5, s[2:3]
	v_lshlrev_b32_e32 v6, 2, v5
	ds_bpermute_b32 v10, v6, v8
	ds_bpermute_b32 v11, v6, v9
	s_lshl_b64 s[2:3], s[4:5], 2
	s_add_u32 s2, s6, s2
	s_addc_u32 s3, s7, s3
	s_and_b64 s[0:1], vcc, s[0:1]
	s_waitcnt lgkmcnt(0)
	v_pk_add_f32 v[8:9], v[8:9], v[10:11]
	v_lshlrev_b32_e32 v5, 2, v16
	scratch_store_dwordx2 off, v[8:9], off
	s_and_saveexec_b64 s[4:5], s[0:1]
	s_cbranch_execz .LBB59_7
; %bb.6:
	scratch_load_dword v7, v5, off
	s_waitcnt vmcnt(0)
	global_store_dword v5, v7, s[2:3]
.LBB59_7:
	s_or_b64 exec, exec, s[4:5]
	scratch_load_dwordx2 v[8:9], off, off offset:8
	s_waitcnt vmcnt(0)
	ds_bpermute_b32 v10, v0, v8
	ds_bpermute_b32 v11, v0, v9
	s_waitcnt lgkmcnt(0)
	v_pk_add_f32 v[8:9], v[8:9], v[10:11]
	ds_bpermute_b32 v10, v1, v8
	ds_bpermute_b32 v11, v1, v9
	s_waitcnt lgkmcnt(0)
	v_pk_add_f32 v[8:9], v[8:9], v[10:11]
	ds_bpermute_b32 v10, v2, v8
	ds_bpermute_b32 v11, v2, v9
	s_waitcnt lgkmcnt(0)
	v_pk_add_f32 v[8:9], v[8:9], v[10:11]
	ds_bpermute_b32 v10, v3, v8
	ds_bpermute_b32 v11, v3, v9
	s_waitcnt lgkmcnt(0)
	v_pk_add_f32 v[8:9], v[8:9], v[10:11]
	ds_bpermute_b32 v10, v4, v8
	ds_bpermute_b32 v11, v4, v9
	s_waitcnt lgkmcnt(0)
	v_pk_add_f32 v[8:9], v[8:9], v[10:11]
	ds_bpermute_b32 v10, v6, v8
	ds_bpermute_b32 v11, v6, v9
	s_waitcnt lgkmcnt(0)
	v_pk_add_f32 v[8:9], v[8:9], v[10:11]
	scratch_store_dwordx2 off, v[8:9], off offset:8
	s_and_saveexec_b64 s[4:5], s[0:1]
	s_cbranch_execz .LBB59_9
; %bb.8:
	scratch_load_dword v7, v5, off offset:8
	v_add_u32_e32 v8, s10, v16
	v_mov_b32_e32 v9, 0
	v_lshl_add_u64 v[8:9], v[8:9], 2, s[2:3]
	s_waitcnt vmcnt(0)
	global_store_dword v[8:9], v7, off
.LBB59_9:
	s_or_b64 exec, exec, s[4:5]
	scratch_load_dwordx2 v[8:9], off, off offset:16
	s_waitcnt vmcnt(0)
	ds_bpermute_b32 v10, v0, v8
	ds_bpermute_b32 v11, v0, v9
	s_waitcnt lgkmcnt(0)
	v_pk_add_f32 v[8:9], v[8:9], v[10:11]
	ds_bpermute_b32 v10, v1, v8
	ds_bpermute_b32 v11, v1, v9
	s_waitcnt lgkmcnt(0)
	v_pk_add_f32 v[8:9], v[8:9], v[10:11]
	;; [unrolled: 4-line block ×6, first 2 shown]
	scratch_store_dwordx2 off, v[8:9], off offset:16
	s_and_saveexec_b64 s[4:5], s[0:1]
	s_cbranch_execz .LBB59_11
; %bb.10:
	scratch_load_dword v7, v5, off offset:16
	v_lshl_or_b32 v8, s10, 1, v16
	v_mov_b32_e32 v9, 0
	v_lshl_add_u64 v[8:9], v[8:9], 2, s[2:3]
	s_waitcnt vmcnt(0)
	global_store_dword v[8:9], v7, off
.LBB59_11:
	s_or_b64 exec, exec, s[4:5]
	scratch_load_dwordx2 v[8:9], off, off offset:24
	s_waitcnt vmcnt(0)
	ds_bpermute_b32 v10, v0, v8
	ds_bpermute_b32 v11, v0, v9
	s_waitcnt lgkmcnt(0)
	v_pk_add_f32 v[8:9], v[8:9], v[10:11]
	ds_bpermute_b32 v10, v1, v8
	ds_bpermute_b32 v11, v1, v9
	s_waitcnt lgkmcnt(0)
	v_pk_add_f32 v[8:9], v[8:9], v[10:11]
	;; [unrolled: 4-line block ×6, first 2 shown]
	scratch_store_dwordx2 off, v[8:9], off offset:24
	s_and_saveexec_b64 s[4:5], s[0:1]
	s_cbranch_execz .LBB59_13
; %bb.12:
	scratch_load_dword v7, v5, off offset:24
	v_mad_u64_u32 v[8:9], s[6:7], s10, 3, v[16:17]
	v_mov_b32_e32 v9, 0
	v_lshl_add_u64 v[8:9], v[8:9], 2, s[2:3]
	s_waitcnt vmcnt(0)
	global_store_dword v[8:9], v7, off
.LBB59_13:
	s_or_b64 exec, exec, s[4:5]
	scratch_load_dwordx2 v[8:9], off, off offset:32
	s_waitcnt vmcnt(0)
	ds_bpermute_b32 v10, v0, v8
	ds_bpermute_b32 v11, v0, v9
	s_waitcnt lgkmcnt(0)
	v_pk_add_f32 v[8:9], v[8:9], v[10:11]
	ds_bpermute_b32 v10, v1, v8
	ds_bpermute_b32 v11, v1, v9
	s_waitcnt lgkmcnt(0)
	v_pk_add_f32 v[8:9], v[8:9], v[10:11]
	;; [unrolled: 4-line block ×6, first 2 shown]
	scratch_store_dwordx2 off, v[8:9], off offset:32
	s_and_saveexec_b64 s[4:5], s[0:1]
	s_cbranch_execz .LBB59_15
; %bb.14:
	scratch_load_dword v7, v5, off offset:32
	v_lshl_or_b32 v8, s10, 2, v16
	v_mov_b32_e32 v9, 0
	v_lshl_add_u64 v[8:9], v[8:9], 2, s[2:3]
	s_waitcnt vmcnt(0)
	global_store_dword v[8:9], v7, off
.LBB59_15:
	s_or_b64 exec, exec, s[4:5]
	scratch_load_dwordx2 v[8:9], off, off offset:40
	s_waitcnt vmcnt(0)
	ds_bpermute_b32 v10, v0, v8
	ds_bpermute_b32 v11, v0, v9
	s_waitcnt lgkmcnt(0)
	v_pk_add_f32 v[8:9], v[8:9], v[10:11]
	ds_bpermute_b32 v10, v1, v8
	ds_bpermute_b32 v11, v1, v9
	s_waitcnt lgkmcnt(0)
	v_pk_add_f32 v[8:9], v[8:9], v[10:11]
	;; [unrolled: 4-line block ×6, first 2 shown]
	scratch_store_dwordx2 off, v[8:9], off offset:40
	s_and_saveexec_b64 s[4:5], s[0:1]
	s_cbranch_execz .LBB59_17
; %bb.16:
	scratch_load_dword v7, v5, off offset:40
	v_mad_u64_u32 v[8:9], s[6:7], s10, 5, v[16:17]
	v_mov_b32_e32 v9, 0
	v_lshl_add_u64 v[8:9], v[8:9], 2, s[2:3]
	s_waitcnt vmcnt(0)
	global_store_dword v[8:9], v7, off
.LBB59_17:
	s_or_b64 exec, exec, s[4:5]
	scratch_load_dwordx2 v[8:9], off, off offset:48
	s_waitcnt vmcnt(0)
	ds_bpermute_b32 v10, v0, v8
	ds_bpermute_b32 v11, v0, v9
	s_waitcnt lgkmcnt(0)
	v_pk_add_f32 v[8:9], v[8:9], v[10:11]
	ds_bpermute_b32 v10, v1, v8
	ds_bpermute_b32 v11, v1, v9
	s_waitcnt lgkmcnt(0)
	v_pk_add_f32 v[8:9], v[8:9], v[10:11]
	;; [unrolled: 4-line block ×6, first 2 shown]
	scratch_store_dwordx2 off, v[8:9], off offset:48
	s_and_saveexec_b64 s[4:5], s[0:1]
	s_cbranch_execz .LBB59_19
; %bb.18:
	scratch_load_dword v7, v5, off offset:48
	s_mul_i32 s6, s10, 6
	v_or_b32_e32 v8, s6, v16
	v_mov_b32_e32 v9, 0
	v_lshl_add_u64 v[8:9], v[8:9], 2, s[2:3]
	s_waitcnt vmcnt(0)
	global_store_dword v[8:9], v7, off
.LBB59_19:
	s_or_b64 exec, exec, s[4:5]
	scratch_load_dwordx2 v[8:9], off, off offset:56
	s_waitcnt vmcnt(0)
	ds_bpermute_b32 v10, v0, v8
	ds_bpermute_b32 v11, v0, v9
	s_waitcnt lgkmcnt(0)
	v_pk_add_f32 v[8:9], v[8:9], v[10:11]
	ds_bpermute_b32 v0, v1, v8
	ds_bpermute_b32 v1, v1, v9
	s_waitcnt lgkmcnt(0)
	v_pk_add_f32 v[0:1], v[8:9], v[0:1]
	;; [unrolled: 4-line block ×6, first 2 shown]
	scratch_store_dwordx2 off, v[0:1], off offset:56
	s_and_b64 exec, exec, s[0:1]
	s_cbranch_execz .LBB59_21
; %bb.20:
	scratch_load_dword v2, v5, off offset:56
	v_mad_u64_u32 v[0:1], s[0:1], s10, 7, v[16:17]
	v_mov_b32_e32 v1, 0
	v_lshl_add_u64 v[0:1], v[0:1], 2, s[2:3]
	s_waitcnt vmcnt(0)
	global_store_dword v[0:1], v2, off
.LBB59_21:
	s_endpgm
	.section	.rodata,"a",@progbits
	.p2align	6, 0x0
	.amdhsa_kernel _ZL13mul_mat_vec_qIL9ggml_type7ELi8ELb0ELb0EEvPKvS2_PKi31ggml_cuda_mm_fusion_args_devicePfj15HIP_vector_typeIjLj3EEjjjS8_jjjS8_jjjj
		.amdhsa_group_segment_fixed_size 0
		.amdhsa_private_segment_fixed_size 80
		.amdhsa_kernarg_size 144
		.amdhsa_user_sgpr_count 2
		.amdhsa_user_sgpr_dispatch_ptr 0
		.amdhsa_user_sgpr_queue_ptr 0
		.amdhsa_user_sgpr_kernarg_segment_ptr 1
		.amdhsa_user_sgpr_dispatch_id 0
		.amdhsa_user_sgpr_kernarg_preload_length 0
		.amdhsa_user_sgpr_kernarg_preload_offset 0
		.amdhsa_user_sgpr_private_segment_size 0
		.amdhsa_uses_dynamic_stack 0
		.amdhsa_enable_private_segment 1
		.amdhsa_system_sgpr_workgroup_id_x 1
		.amdhsa_system_sgpr_workgroup_id_y 1
		.amdhsa_system_sgpr_workgroup_id_z 1
		.amdhsa_system_sgpr_workgroup_info 0
		.amdhsa_system_vgpr_workitem_id 1
		.amdhsa_next_free_vgpr 48
		.amdhsa_next_free_sgpr 30
		.amdhsa_accum_offset 48
		.amdhsa_reserve_vcc 1
		.amdhsa_float_round_mode_32 0
		.amdhsa_float_round_mode_16_64 0
		.amdhsa_float_denorm_mode_32 3
		.amdhsa_float_denorm_mode_16_64 3
		.amdhsa_dx10_clamp 1
		.amdhsa_ieee_mode 1
		.amdhsa_fp16_overflow 0
		.amdhsa_tg_split 0
		.amdhsa_exception_fp_ieee_invalid_op 0
		.amdhsa_exception_fp_denorm_src 0
		.amdhsa_exception_fp_ieee_div_zero 0
		.amdhsa_exception_fp_ieee_overflow 0
		.amdhsa_exception_fp_ieee_underflow 0
		.amdhsa_exception_fp_ieee_inexact 0
		.amdhsa_exception_int_div_zero 0
	.end_amdhsa_kernel
	.section	.text._ZL13mul_mat_vec_qIL9ggml_type7ELi8ELb0ELb0EEvPKvS2_PKi31ggml_cuda_mm_fusion_args_devicePfj15HIP_vector_typeIjLj3EEjjjS8_jjjS8_jjjj,"axG",@progbits,_ZL13mul_mat_vec_qIL9ggml_type7ELi8ELb0ELb0EEvPKvS2_PKi31ggml_cuda_mm_fusion_args_devicePfj15HIP_vector_typeIjLj3EEjjjS8_jjjS8_jjjj,comdat
.Lfunc_end59:
	.size	_ZL13mul_mat_vec_qIL9ggml_type7ELi8ELb0ELb0EEvPKvS2_PKi31ggml_cuda_mm_fusion_args_devicePfj15HIP_vector_typeIjLj3EEjjjS8_jjjS8_jjjj, .Lfunc_end59-_ZL13mul_mat_vec_qIL9ggml_type7ELi8ELb0ELb0EEvPKvS2_PKi31ggml_cuda_mm_fusion_args_devicePfj15HIP_vector_typeIjLj3EEjjjS8_jjjS8_jjjj
                                        ; -- End function
	.section	.AMDGPU.csdata,"",@progbits
; Kernel info:
; codeLenInByte = 4636
; NumSgprs: 36
; NumVgprs: 48
; NumAgprs: 0
; TotalNumVgprs: 48
; ScratchSize: 80
; MemoryBound: 0
; FloatMode: 240
; IeeeMode: 1
; LDSByteSize: 0 bytes/workgroup (compile time only)
; SGPRBlocks: 4
; VGPRBlocks: 5
; NumSGPRsForWavesPerEU: 36
; NumVGPRsForWavesPerEU: 48
; AccumOffset: 48
; Occupancy: 8
; WaveLimiterHint : 0
; COMPUTE_PGM_RSRC2:SCRATCH_EN: 1
; COMPUTE_PGM_RSRC2:USER_SGPR: 2
; COMPUTE_PGM_RSRC2:TRAP_HANDLER: 0
; COMPUTE_PGM_RSRC2:TGID_X_EN: 1
; COMPUTE_PGM_RSRC2:TGID_Y_EN: 1
; COMPUTE_PGM_RSRC2:TGID_Z_EN: 1
; COMPUTE_PGM_RSRC2:TIDIG_COMP_CNT: 1
; COMPUTE_PGM_RSRC3_GFX90A:ACCUM_OFFSET: 11
; COMPUTE_PGM_RSRC3_GFX90A:TG_SPLIT: 0
	.section	.text._ZL17mul_mat_vec_q_moeIL9ggml_type8ELi2EEvPKvS2_PKiPfj15HIP_vector_typeIjLj3EEjjjjjjjjj,"axG",@progbits,_ZL17mul_mat_vec_q_moeIL9ggml_type8ELi2EEvPKvS2_PKiPfj15HIP_vector_typeIjLj3EEjjjjjjjjj,comdat
	.globl	_ZL17mul_mat_vec_q_moeIL9ggml_type8ELi2EEvPKvS2_PKiPfj15HIP_vector_typeIjLj3EEjjjjjjjjj ; -- Begin function _ZL17mul_mat_vec_q_moeIL9ggml_type8ELi2EEvPKvS2_PKiPfj15HIP_vector_typeIjLj3EEjjjjjjjjj
	.p2align	8
	.type	_ZL17mul_mat_vec_q_moeIL9ggml_type8ELi2EEvPKvS2_PKiPfj15HIP_vector_typeIjLj3EEjjjjjjjjj,@function
_ZL17mul_mat_vec_q_moeIL9ggml_type8ELi2EEvPKvS2_PKiPfj15HIP_vector_typeIjLj3EEjjjjjjjjj: ; @_ZL17mul_mat_vec_q_moeIL9ggml_type8ELi2EEvPKvS2_PKiPfj15HIP_vector_typeIjLj3EEjjjjjjjjj
; %bb.0:
	s_load_dwordx8 s[4:11], s[0:1], 0x30
	v_bfe_u32 v8, v0, 10, 10
	s_waitcnt lgkmcnt(0)
	v_cmp_gt_u32_e32 vcc, s11, v8
	s_and_saveexec_b64 s[12:13], vcc
	s_cbranch_execz .LBB60_7
; %bb.1:
	s_load_dword s11, s[0:1], 0x20
	s_load_dword s20, s[0:1], 0x50
	s_load_dwordx8 s[12:19], s[0:1], 0x0
	v_and_b32_e32 v9, 0x3ff, v0
	v_lshrrev_b32_e32 v10, 2, v9
	s_waitcnt lgkmcnt(0)
	s_lshr_b32 s11, s11, 5
	v_mov_b32_e32 v1, 0
	s_lshl_b32 s2, s2, 1
	v_cmp_gt_u32_e32 vcc, s11, v10
	v_mov_b32_e32 v0, v1
	s_and_saveexec_b64 s[24:25], vcc
	s_cbranch_execz .LBB60_5
; %bb.2:
	v_mul_lo_u32 v2, v8, s20
	v_mov_b32_e32 v0, s16
	v_mov_b32_e32 v1, s17
	v_add_u32_e32 v2, s3, v2
	v_mov_b32_e32 v3, 0
	v_lshl_add_u64 v[0:1], v[2:3], 2, v[0:1]
	global_load_dword v1, v[0:1], off
	s_load_dwordx4 s[20:23], s[0:1], 0x24
	v_mul_lo_u32 v0, v8, s6
	v_lshlrev_b32_e32 v2, 2, v9
	v_lshrrev_b32_e32 v12, 2, v9
	v_mad_u64_u32 v[6:7], s[26:27], v0, 36, 0
	s_waitcnt lgkmcnt(0)
	s_mul_hi_u32 s20, s20, s3
	s_add_i32 s20, s3, s20
	s_lshr_b32 s20, s20, s21
	s_mul_i32 s20, s20, s22
	s_sub_i32 s20, s3, s20
	s_mul_i32 s9, s20, s9
	s_mul_hi_u32 s20, s9, 36
	s_mul_i32 s9, s9, 36
	s_add_u32 s14, s14, s9
	s_addc_u32 s15, s15, s20
	s_add_i32 s9, s2, 1
	s_mul_i32 s6, s2, s5
	v_and_b32_e32 v11, 3, v9
	v_and_b32_e32 v4, 12, v2
	v_mad_u64_u32 v[6:7], s[26:27], v12, 36, v[6:7]
	s_mul_i32 s5, s5, s9
	s_mov_b64 s[0:1], 0
	s_mov_b64 s[16:17], 0x240
	v_mov_b32_e32 v5, v3
	v_mov_b32_e32 v0, v3
	v_lshlrev_b32_e32 v2, 3, v11
	v_lshlrev_b32_e32 v4, 1, v4
	v_lshl_add_u64 v[6:7], s[14:15], 0, v[6:7]
	s_waitcnt vmcnt(0)
	v_mul_lo_u32 v1, v1, s8
	v_add_u32_e32 v11, s5, v1
	v_add_u32_e32 v12, s6, v1
	v_mov_b32_e32 v1, v3
.LBB60_3:                               ; =>This Inner Loop Header: Depth=1
	v_add_u32_e32 v16, v12, v10
	v_lshl_add_u64 v[14:15], v[6:7], 0, v[2:3]
	v_add_u32_e32 v18, v11, v10
	v_mad_i64_i32 v[16:17], s[8:9], v16, 34, s[12:13]
	global_load_dword v13, v[6:7], off
	v_mad_i64_i32 v[18:19], s[8:9], v18, 34, s[12:13]
	global_load_dwordx2 v[14:15], v[14:15], off offset:4
	v_lshl_add_u64 v[20:21], v[16:17], 0, v[4:5]
	v_lshl_add_u64 v[22:23], v[18:19], 0, v[4:5]
	global_load_dword v24, v[20:21], off offset:2
	global_load_dword v25, v[20:21], off offset:6
	global_load_dword v26, v[22:23], off offset:6
	global_load_dword v27, v[22:23], off offset:2
	global_load_ushort v28, v[18:19], off
	global_load_ushort v29, v[16:17], off
	v_mov_b32_e32 v17, 0
	v_mov_b32_e32 v20, 0
	v_add_u32_e32 v10, 16, v10
	v_cmp_le_u32_e32 vcc, s11, v10
	v_lshl_add_u64 v[6:7], v[6:7], 0, s[16:17]
	s_or_b64 s[0:1], vcc, s[0:1]
	s_waitcnt vmcnt(7)
	v_cvt_f32_f16_e32 v16, v13
	s_waitcnt vmcnt(5)
	v_dot4c_i32_i8_e32 v17, v24, v14
	s_waitcnt vmcnt(2)
	v_dot4c_i32_i8_e32 v20, v27, v14
	s_waitcnt vmcnt(1)
	v_cvt_f32_f16_e32 v19, v28
	s_waitcnt vmcnt(0)
	v_cvt_f32_f16_e32 v18, v29
	v_dot4c_i32_i8_e32 v17, v25, v15
	v_dot4c_i32_i8_e32 v20, v26, v15
	s_nop 1
	v_cvt_f32_i32_e32 v14, v17
	v_cvt_f32_i32_e32 v15, v20
	v_pk_mul_f32 v[16:17], v[16:17], v[18:19] op_sel_hi:[0,1]
	v_pk_fma_f32 v[0:1], v[16:17], v[14:15], v[0:1]
	s_andn2_b64 exec, exec, s[0:1]
	s_cbranch_execnz .LBB60_3
; %bb.4:
	s_or_b64 exec, exec, s[0:1]
.LBB60_5:
	s_or_b64 exec, exec, s[24:25]
	v_mbcnt_lo_u32_b32 v2, -1, 0
	v_mbcnt_hi_u32_b32 v4, -1, v2
	v_and_b32_e32 v2, 64, v4
	v_add_u32_e32 v5, 64, v2
	v_xor_b32_e32 v2, 32, v4
	v_cmp_lt_i32_e32 vcc, v2, v5
	v_xor_b32_e32 v6, 16, v4
	s_nop 0
	v_cndmask_b32_e32 v2, v4, v2, vcc
	v_lshlrev_b32_e32 v3, 2, v2
	ds_bpermute_b32 v2, v3, v0
	ds_bpermute_b32 v3, v3, v1
	v_cmp_lt_i32_e32 vcc, v6, v5
	s_waitcnt lgkmcnt(0)
	v_pk_add_f32 v[0:1], v[0:1], v[2:3]
	v_cndmask_b32_e32 v6, v4, v6, vcc
	v_lshlrev_b32_e32 v6, 2, v6
	ds_bpermute_b32 v2, v6, v0
	ds_bpermute_b32 v3, v6, v1
	v_xor_b32_e32 v6, 8, v4
	v_cmp_lt_i32_e32 vcc, v6, v5
	s_waitcnt lgkmcnt(0)
	v_pk_add_f32 v[0:1], v[0:1], v[2:3]
	v_cndmask_b32_e32 v6, v4, v6, vcc
	v_lshlrev_b32_e32 v6, 2, v6
	ds_bpermute_b32 v2, v6, v0
	ds_bpermute_b32 v3, v6, v1
	v_xor_b32_e32 v6, 4, v4
	;; [unrolled: 8-line block ×4, first 2 shown]
	v_cmp_lt_i32_e32 vcc, v6, v5
	s_waitcnt lgkmcnt(0)
	v_pk_add_f32 v[0:1], v[0:1], v[2:3]
	v_cndmask_b32_e32 v4, v4, v6, vcc
	v_lshlrev_b32_e32 v4, 2, v4
	ds_bpermute_b32 v2, v4, v0
	ds_bpermute_b32 v3, v4, v1
	v_add_u32_e32 v4, s2, v9
	v_cmp_gt_u32_e32 vcc, 2, v9
	v_cmp_gt_u32_e64 s[0:1], s4, v4
	s_and_b64 s[0:1], vcc, s[0:1]
	s_and_b64 exec, exec, s[0:1]
	s_cbranch_execz .LBB60_7
; %bb.6:
	v_cmp_eq_u32_e32 vcc, 1, v9
	s_mul_i32 s3, s3, s10
	v_mov_b32_e32 v4, s18
	s_waitcnt lgkmcnt(0)
	v_cndmask_b32_e32 v2, v2, v3, vcc
	v_cndmask_b32_e32 v0, v0, v1, vcc
	v_add_f32_e32 v2, v0, v2
	v_mul_lo_u32 v0, v8, s7
	v_or_b32_e32 v1, s2, v9
	v_mov_b32_e32 v5, s19
	v_add3_u32 v0, v1, v0, s3
	v_mov_b32_e32 v1, 0
	v_lshl_add_u64 v[0:1], v[0:1], 2, v[4:5]
	global_store_dword v[0:1], v2, off
.LBB60_7:
	s_endpgm
	.section	.rodata,"a",@progbits
	.p2align	6, 0x0
	.amdhsa_kernel _ZL17mul_mat_vec_q_moeIL9ggml_type8ELi2EEvPKvS2_PKiPfj15HIP_vector_typeIjLj3EEjjjjjjjjj
		.amdhsa_group_segment_fixed_size 0
		.amdhsa_private_segment_fixed_size 0
		.amdhsa_kernarg_size 84
		.amdhsa_user_sgpr_count 2
		.amdhsa_user_sgpr_dispatch_ptr 0
		.amdhsa_user_sgpr_queue_ptr 0
		.amdhsa_user_sgpr_kernarg_segment_ptr 1
		.amdhsa_user_sgpr_dispatch_id 0
		.amdhsa_user_sgpr_kernarg_preload_length 0
		.amdhsa_user_sgpr_kernarg_preload_offset 0
		.amdhsa_user_sgpr_private_segment_size 0
		.amdhsa_uses_dynamic_stack 0
		.amdhsa_enable_private_segment 0
		.amdhsa_system_sgpr_workgroup_id_x 1
		.amdhsa_system_sgpr_workgroup_id_y 1
		.amdhsa_system_sgpr_workgroup_id_z 0
		.amdhsa_system_sgpr_workgroup_info 0
		.amdhsa_system_vgpr_workitem_id 1
		.amdhsa_next_free_vgpr 30
		.amdhsa_next_free_sgpr 28
		.amdhsa_accum_offset 32
		.amdhsa_reserve_vcc 1
		.amdhsa_float_round_mode_32 0
		.amdhsa_float_round_mode_16_64 0
		.amdhsa_float_denorm_mode_32 3
		.amdhsa_float_denorm_mode_16_64 3
		.amdhsa_dx10_clamp 1
		.amdhsa_ieee_mode 1
		.amdhsa_fp16_overflow 0
		.amdhsa_tg_split 0
		.amdhsa_exception_fp_ieee_invalid_op 0
		.amdhsa_exception_fp_denorm_src 0
		.amdhsa_exception_fp_ieee_div_zero 0
		.amdhsa_exception_fp_ieee_overflow 0
		.amdhsa_exception_fp_ieee_underflow 0
		.amdhsa_exception_fp_ieee_inexact 0
		.amdhsa_exception_int_div_zero 0
	.end_amdhsa_kernel
	.section	.text._ZL17mul_mat_vec_q_moeIL9ggml_type8ELi2EEvPKvS2_PKiPfj15HIP_vector_typeIjLj3EEjjjjjjjjj,"axG",@progbits,_ZL17mul_mat_vec_q_moeIL9ggml_type8ELi2EEvPKvS2_PKiPfj15HIP_vector_typeIjLj3EEjjjjjjjjj,comdat
.Lfunc_end60:
	.size	_ZL17mul_mat_vec_q_moeIL9ggml_type8ELi2EEvPKvS2_PKiPfj15HIP_vector_typeIjLj3EEjjjjjjjjj, .Lfunc_end60-_ZL17mul_mat_vec_q_moeIL9ggml_type8ELi2EEvPKvS2_PKiPfj15HIP_vector_typeIjLj3EEjjjjjjjjj
                                        ; -- End function
	.section	.AMDGPU.csdata,"",@progbits
; Kernel info:
; codeLenInByte = 920
; NumSgprs: 34
; NumVgprs: 30
; NumAgprs: 0
; TotalNumVgprs: 30
; ScratchSize: 0
; MemoryBound: 0
; FloatMode: 240
; IeeeMode: 1
; LDSByteSize: 0 bytes/workgroup (compile time only)
; SGPRBlocks: 4
; VGPRBlocks: 3
; NumSGPRsForWavesPerEU: 34
; NumVGPRsForWavesPerEU: 30
; AccumOffset: 32
; Occupancy: 8
; WaveLimiterHint : 1
; COMPUTE_PGM_RSRC2:SCRATCH_EN: 0
; COMPUTE_PGM_RSRC2:USER_SGPR: 2
; COMPUTE_PGM_RSRC2:TRAP_HANDLER: 0
; COMPUTE_PGM_RSRC2:TGID_X_EN: 1
; COMPUTE_PGM_RSRC2:TGID_Y_EN: 1
; COMPUTE_PGM_RSRC2:TGID_Z_EN: 0
; COMPUTE_PGM_RSRC2:TIDIG_COMP_CNT: 1
; COMPUTE_PGM_RSRC3_GFX90A:ACCUM_OFFSET: 7
; COMPUTE_PGM_RSRC3_GFX90A:TG_SPLIT: 0
	.section	.text._ZL13mul_mat_vec_qIL9ggml_type8ELi1ELb1ELb1EEvPKvS2_PKi31ggml_cuda_mm_fusion_args_devicePfj15HIP_vector_typeIjLj3EEjjjS8_jjjS8_jjjj,"axG",@progbits,_ZL13mul_mat_vec_qIL9ggml_type8ELi1ELb1ELb1EEvPKvS2_PKi31ggml_cuda_mm_fusion_args_devicePfj15HIP_vector_typeIjLj3EEjjjS8_jjjS8_jjjj,comdat
	.globl	_ZL13mul_mat_vec_qIL9ggml_type8ELi1ELb1ELb1EEvPKvS2_PKi31ggml_cuda_mm_fusion_args_devicePfj15HIP_vector_typeIjLj3EEjjjS8_jjjS8_jjjj ; -- Begin function _ZL13mul_mat_vec_qIL9ggml_type8ELi1ELb1ELb1EEvPKvS2_PKi31ggml_cuda_mm_fusion_args_devicePfj15HIP_vector_typeIjLj3EEjjjS8_jjjS8_jjjj
	.p2align	8
	.type	_ZL13mul_mat_vec_qIL9ggml_type8ELi1ELb1ELb1EEvPKvS2_PKi31ggml_cuda_mm_fusion_args_devicePfj15HIP_vector_typeIjLj3EEjjjS8_jjjS8_jjjj,@function
_ZL13mul_mat_vec_qIL9ggml_type8ELi1ELb1ELb1EEvPKvS2_PKi31ggml_cuda_mm_fusion_args_devicePfj15HIP_vector_typeIjLj3EEjjjS8_jjjS8_jjjj: ; @_ZL13mul_mat_vec_qIL9ggml_type8ELi1ELb1ELb1EEvPKvS2_PKi31ggml_cuda_mm_fusion_args_devicePfj15HIP_vector_typeIjLj3EEjjjS8_jjjS8_jjjj
; %bb.0:
	s_load_dwordx8 s[16:23], s[2:3], 0x0
	s_load_dwordx4 s[36:39], s[2:3], 0x20
	s_load_dwordx4 s[40:43], s[2:3], 0x40
	;; [unrolled: 1-line block ×3, first 2 shown]
	s_mov_b32 s14, s5
	s_waitcnt lgkmcnt(0)
	s_cmp_lg_u64 s[20:21], 0
	s_cselect_b64 s[8:9], -1, 0
	s_cmp_eq_u64 s[20:21], 0
	s_mov_b64 s[10:11], 0
	s_cbranch_scc1 .LBB61_5
; %bb.1:
	s_mov_b32 s15, 0
	s_lshl_b64 s[12:13], s[14:15], 2
	s_add_u32 s12, s20, s12
	s_addc_u32 s13, s21, s13
	s_load_dword s33, s[12:13], 0x0
	s_load_dword s15, s[2:3], 0x50
	;; [unrolled: 1-line block ×3, first 2 shown]
	s_andn2_b64 vcc, exec, s[10:11]
	s_cbranch_vccnz .LBB61_3
.LBB61_2:
	s_load_dwordx2 s[10:11], s[2:3], 0x5c
	s_waitcnt lgkmcnt(0)
	s_mul_hi_u32 s5, s10, s14
	s_add_i32 s5, s14, s5
	s_lshr_b32 s33, s5, s11
.LBB61_3:
	s_andn2_b64 vcc, exec, s[8:9]
	s_cbranch_vccnz .LBB61_6
; %bb.4:
	s_mul_hi_u32 s5, s41, s14
	s_add_i32 s5, s14, s5
	s_lshr_b32 s5, s5, s42
	s_mul_i32 s5, s5, s43
	s_sub_i32 s41, s14, s5
	s_waitcnt lgkmcnt(0)
	s_mov_b32 s42, s33
	s_branch .LBB61_7
.LBB61_5:
                                        ; implicit-def: $sgpr33
	s_load_dword s15, s[2:3], 0x50
	s_load_dword s44, s[2:3], 0x78
	s_branch .LBB61_2
.LBB61_6:
	s_mov_b32 s42, s14
	s_mov_b32 s41, s14
.LBB61_7:
	s_load_dword s7, s[2:3], 0x58
	s_load_dwordx4 s[28:31], s[2:3], 0x80
	s_lshl_b32 s20, s4, 1
	s_cmp_eq_u64 s[22:23], 0
	v_and_b32_e32 v13, 0x3ff, v0
	v_bfe_u32 v18, v0, 10, 10
	s_cselect_b64 s[8:9], -1, 0
	s_and_b64 vcc, exec, s[8:9]
	v_mov_b32_e32 v14, 0
	v_cmp_gt_u32_e64 s[4:5], 2, v13
	v_cmp_eq_u32_e64 s[10:11], 0, v18
	v_or_b32_e32 v1, s20, v13
	v_mov_b32_e32 v15, 0
	s_cbranch_vccnz .LBB61_11
; %bb.8:
	s_waitcnt lgkmcnt(0)
	v_cmp_gt_u32_e32 vcc, s7, v1
	s_and_b64 s[4:5], s[4:5], vcc
	s_mov_b32 s13, 0
	s_and_b64 s[10:11], s[4:5], s[10:11]
	v_mov_b32_e32 v15, 0
	s_and_saveexec_b64 s[4:5], s[10:11]
	s_cbranch_execz .LBB61_10
; %bb.9:
	s_mul_i32 s12, s6, s30
	s_lshl_b64 s[10:11], s[12:13], 2
	s_add_u32 s21, s22, s10
	s_mul_i32 s12, s42, s26
	s_addc_u32 s22, s23, s11
	s_lshl_b64 s[10:11], s[12:13], 2
	s_add_u32 s12, s21, s10
	s_addc_u32 s13, s22, s11
	s_ashr_i32 s21, s20, 31
	s_lshl_b64 s[10:11], s[20:21], 2
	s_add_u32 s10, s12, s10
	s_addc_u32 s11, s13, s11
	v_lshlrev_b32_e32 v2, 2, v13
	global_load_dword v15, v2, s[10:11]
.LBB61_10:
	s_or_b64 exec, exec, s[4:5]
.LBB61_11:
	s_cmp_lg_u64 s[36:37], 0
	s_cselect_b64 s[22:23], -1, 0
	s_cmp_lg_u64 s[38:39], 0
	s_cselect_b64 s[4:5], -1, 0
	s_and_b64 s[10:11], s[4:5], s[22:23]
	s_andn2_b64 vcc, exec, s[10:11]
	s_cbranch_vccnz .LBB61_15
; %bb.12:
	v_cmp_gt_u32_e32 vcc, 2, v13
	s_waitcnt lgkmcnt(0)
	v_cmp_gt_u32_e64 s[12:13], s7, v1
	v_cmp_eq_u32_e64 s[10:11], 0, v18
	s_and_b64 s[12:13], vcc, s[12:13]
	s_mov_b32 s35, 0
	s_and_b64 s[12:13], s[12:13], s[10:11]
	v_mov_b32_e32 v14, 0
	s_and_saveexec_b64 s[10:11], s[12:13]
	s_cbranch_execz .LBB61_14
; %bb.13:
	s_mul_i32 s34, s6, s30
	s_lshl_b64 s[12:13], s[34:35], 2
	s_add_u32 s21, s38, s12
	s_mul_i32 s34, s42, s26
	s_addc_u32 s31, s39, s13
	s_lshl_b64 s[12:13], s[34:35], 2
	s_add_u32 s34, s21, s12
	s_addc_u32 s31, s31, s13
	s_ashr_i32 s21, s20, 31
	s_lshl_b64 s[12:13], s[20:21], 2
	s_add_u32 s12, s34, s12
	s_addc_u32 s13, s31, s13
	v_lshlrev_b32_e32 v1, 2, v13
	global_load_dword v14, v1, s[12:13]
.LBB61_14:
	s_or_b64 exec, exec, s[10:11]
.LBB61_15:
	s_load_dwordx2 s[0:1], s[0:1], 0x4
	v_bfe_u32 v0, v0, 20, 10
	v_lshl_add_u32 v2, v18, 6, v13
	s_lshr_b32 s21, s40, 5
	v_lshrrev_b32_e32 v19, 2, v2
	s_waitcnt lgkmcnt(0)
	s_lshr_b32 s0, s0, 16
	v_mul_u32_u24_e32 v1, s1, v18
	s_mul_i32 s0, s0, s1
	v_mad_u32_u24 v1, s0, v13, v1
	v_add_lshl_u32 v0, v1, v0, 3
	v_add_u32_e32 v17, 0x800, v0
	v_add_u32_e32 v16, 0x400, v0
	v_cndmask_b32_e64 v0, 0, 1, s[22:23]
	v_mov_b32_e32 v21, 0
	v_cmp_gt_u32_e32 vcc, s21, v19
	v_lshlrev_b32_e32 v12, 2, v13
	v_cmp_ne_u32_e64 s[10:11], 1, v0
	v_mov_b32_e32 v23, 0
	v_mov_b32_e32 v22, 0
	v_mov_b32_e32 v20, 0
	ds_write2_b32 v17, v21, v21 offset1:1
	ds_write2_b32 v16, v21, v21 offset1:1
	s_and_saveexec_b64 s[0:1], vcc
	s_cbranch_execz .LBB61_23
; %bb.16:
	s_mul_i32 s13, s41, s25
	s_mul_hi_u32 s25, s27, s6
	s_mul_i32 s12, s6, s29
	s_add_i32 s25, s6, s25
	s_lshr_b32 s25, s25, s44
	s_mul_hi_u32 s29, s12, 36
	s_mul_i32 s12, s12, 36
	s_add_u32 s12, s18, s12
	s_mul_i32 s25, s25, s28
	s_mul_hi_u32 s28, s13, 36
	s_mul_i32 s13, s13, 36
	s_addc_u32 s18, s19, s29
	s_add_u32 s12, s12, s13
	v_lshrrev_b32_e32 v2, 2, v2
	s_addc_u32 s13, s18, s28
	v_mad_u64_u32 v[2:3], s[12:13], v2, 36, s[12:13]
	s_mul_i32 s24, s33, s24
	s_add_i32 s12, s20, 1
	v_and_b32_e32 v4, 12, v12
	v_mov_b32_e32 v1, 0
	s_mul_i32 s27, s20, s15
	v_and_b32_e32 v0, 3, v13
	s_add_i32 s24, s25, s24
	s_mul_i32 s15, s15, s12
	v_lshlrev_b32_e32 v0, 3, v0
	s_add_i32 s15, s24, s15
	s_add_i32 s24, s24, s27
	s_mov_b64 s[12:13], 0
	v_lshlrev_b32_e32 v4, 1, v4
	v_mov_b32_e32 v5, v1
	s_mov_b64 s[18:19], 0x480
	v_mov_b32_e32 v20, v1
	v_mov_b32_e32 v22, v1
	;; [unrolled: 1-line block ×4, first 2 shown]
	s_branch .LBB61_18
.LBB61_17:                              ;   in Loop: Header=BB61_18 Depth=1
	v_mov_b32_e32 v27, 0
	s_waitcnt vmcnt(1)
	v_dot4c_i32_i8_e32 v27, v10, v6
	v_dot4c_i32_i8_e32 v27, v11, v7
	v_cvt_f32_f16_e32 v11, v25
	v_mov_b32_e32 v25, 0
	s_waitcnt vmcnt(0)
	v_cvt_f32_f16_e32 v26, v26
	v_dot4c_i32_i8_e32 v25, v8, v6
	v_cvt_f32_i32_e32 v10, v27
	v_dot4c_i32_i8_e32 v25, v9, v7
	v_mul_f32_e32 v7, v26, v24
	v_add_u32_e32 v19, 32, v19
	v_fmac_f32_e32 v22, v7, v10
	v_cvt_f32_i32_e32 v6, v25
	v_mul_f32_e32 v7, v11, v24
	v_cmp_le_u32_e32 vcc, s21, v19
	s_or_b64 s[12:13], vcc, s[12:13]
	v_fmac_f32_e32 v21, v7, v6
	v_lshl_add_u64 v[2:3], v[2:3], 0, s[18:19]
	s_andn2_b64 exec, exec, s[12:13]
	s_cbranch_execz .LBB61_22
.LBB61_18:                              ; =>This Inner Loop Header: Depth=1
	v_lshl_add_u64 v[8:9], v[2:3], 0, v[0:1]
	global_load_dwordx2 v[6:7], v[8:9], off offset:4
	global_load_dword v11, v[2:3], off
	v_add_u32_e32 v10, s24, v19
	v_mad_i64_i32 v[26:27], s[28:29], v10, 34, s[16:17]
	v_lshl_add_u64 v[28:29], v[26:27], 0, v[4:5]
	global_load_dwordx2 v[8:9], v[28:29], off offset:2
	global_load_ushort v25, v[26:27], off
	s_and_b64 vcc, exec, s[10:11]
	s_waitcnt vmcnt(2)
	v_cvt_f32_f16_e32 v24, v11
	s_cbranch_vccnz .LBB61_20
; %bb.19:                               ;   in Loop: Header=BB61_18 Depth=1
	v_mad_i64_i32 v[10:11], s[28:29], v10, 34, s[36:37]
	v_lshl_add_u64 v[26:27], v[10:11], 0, v[4:5]
	global_load_dword v28, v[26:27], off offset:6
	global_load_ushort v29, v[10:11], off
	global_load_dword v30, v[26:27], off offset:2
	v_mov_b32_e32 v10, 0
	s_waitcnt vmcnt(1)
	v_cvt_f32_f16_e32 v11, v29
	s_waitcnt vmcnt(0)
	v_dot4c_i32_i8_e32 v10, v30, v6
	v_dot4c_i32_i8_e32 v10, v28, v7
	v_mul_f32_e32 v11, v24, v11
	s_nop 1
	v_cvt_f32_i32_e32 v10, v10
	v_fmac_f32_e32 v23, v11, v10
.LBB61_20:                              ;   in Loop: Header=BB61_18 Depth=1
	v_add_u32_e32 v27, s15, v19
	v_mad_i64_i32 v[28:29], s[28:29], v27, 34, s[16:17]
	v_lshl_add_u64 v[30:31], v[28:29], 0, v[4:5]
	global_load_dwordx2 v[10:11], v[30:31], off offset:2
	global_load_ushort v26, v[28:29], off
	s_and_b64 vcc, exec, s[10:11]
	s_cbranch_vccnz .LBB61_17
; %bb.21:                               ;   in Loop: Header=BB61_18 Depth=1
	v_mad_i64_i32 v[28:29], s[28:29], v27, 34, s[36:37]
	v_lshl_add_u64 v[30:31], v[28:29], 0, v[4:5]
	global_load_dword v27, v[30:31], off offset:6
	global_load_ushort v32, v[28:29], off
	global_load_dword v33, v[30:31], off offset:2
	v_mov_b32_e32 v28, 0
	s_waitcnt vmcnt(1)
	v_cvt_f32_f16_e32 v29, v32
	s_waitcnt vmcnt(0)
	v_dot4c_i32_i8_e32 v28, v33, v6
	v_dot4c_i32_i8_e32 v28, v27, v7
	s_nop 2
	v_cvt_f32_i32_e32 v27, v28
	v_mul_f32_e32 v28, v24, v29
	v_fmac_f32_e32 v20, v28, v27
	s_branch .LBB61_17
.LBB61_22:
	s_or_b64 exec, exec, s[12:13]
	ds_write2_b32 v17, v21, v22 offset1:1
	ds_write2_b32 v16, v23, v20 offset1:1
.LBB61_23:
	s_or_b64 exec, exec, s[0:1]
	s_load_dword s15, s[2:3], 0x30
	s_mov_b32 s16, 0
	v_cmp_eq_u32_e64 s[0:1], 0, v18
	v_cmp_ne_u32_e32 vcc, 0, v18
	s_and_saveexec_b64 s[12:13], vcc
	s_cbranch_execz .LBB61_28
; %bb.24:
	v_add_u32_e32 v0, -1, v18
	v_lshl_or_b32 v1, v0, 9, v12
	s_and_b64 vcc, exec, s[22:23]
	ds_write_b32 v1, v21
	s_cbranch_vccz .LBB61_26
; %bb.25:
	s_movk_i32 s16, 0x200
	ds_write2st64_b32 v1, v22, v23 offset0:1 offset1:2
	s_branch .LBB61_27
.LBB61_26:
	v_mov_b32_e32 v20, v22
.LBB61_27:
	v_lshlrev_b32_e32 v0, 9, v0
	v_add3_u32 v0, s16, v0, v12
	ds_write_b32 v0, v20 offset:256
.LBB61_28:
	s_or_b64 exec, exec, s[12:13]
	s_waitcnt lgkmcnt(0)
	s_barrier
	s_and_saveexec_b64 s[12:13], s[0:1]
	s_cbranch_execz .LBB61_61
; %bb.29:
	ds_read_b32 v1, v12
	ds_read_b32 v2, v17
	s_and_b64 vcc, exec, s[10:11]
	s_cbranch_vccnz .LBB61_31
; %bb.30:
	ds_read_b32 v0, v12 offset:512
	ds_read_b32 v3, v16
	s_waitcnt lgkmcnt(0)
	v_add_f32_e32 v0, v0, v3
	ds_write_b32 v16, v0
.LBB61_31:
	v_mbcnt_lo_u32_b32 v0, -1, 0
	v_mbcnt_hi_u32_b32 v5, -1, v0
	v_and_b32_e32 v0, 64, v5
	v_add_u32_e32 v6, 64, v0
	v_xor_b32_e32 v0, 32, v5
	v_cmp_lt_i32_e32 vcc, v0, v6
	s_waitcnt lgkmcnt(0)
	v_add_f32_e32 v2, v1, v2
	v_xor_b32_e32 v1, 16, v5
	v_cndmask_b32_e32 v0, v5, v0, vcc
	v_lshlrev_b32_e32 v0, 2, v0
	ds_bpermute_b32 v3, v0, v2
	v_cmp_lt_i32_e32 vcc, v1, v6
	v_xor_b32_e32 v9, 1, v5
	s_waitcnt lgkmcnt(0)
	v_add_f32_e32 v3, v2, v3
	v_cndmask_b32_e32 v1, v5, v1, vcc
	v_lshlrev_b32_e32 v1, 2, v1
	ds_bpermute_b32 v4, v1, v3
	v_xor_b32_e32 v2, 8, v5
	v_cmp_lt_i32_e32 vcc, v2, v6
	s_waitcnt lgkmcnt(0)
	v_add_f32_e32 v4, v3, v4
	v_cndmask_b32_e32 v2, v5, v2, vcc
	v_lshlrev_b32_e32 v2, 2, v2
	ds_bpermute_b32 v7, v2, v4
	v_xor_b32_e32 v3, 4, v5
	v_cmp_lt_i32_e32 vcc, v3, v6
	;; [unrolled: 7-line block ×3, first 2 shown]
	s_waitcnt lgkmcnt(0)
	v_add_f32_e32 v7, v7, v8
	v_cndmask_b32_e32 v4, v5, v4, vcc
	v_lshlrev_b32_e32 v4, 2, v4
	ds_bpermute_b32 v8, v4, v7
	v_cmp_lt_i32_e32 vcc, v9, v6
	s_waitcnt lgkmcnt(0)
	v_add_f32_e32 v6, v7, v8
	v_cndmask_b32_e32 v5, v5, v9, vcc
	v_lshlrev_b32_e32 v5, 2, v5
	ds_bpermute_b32 v7, v5, v6
	s_and_b64 vcc, exec, s[10:11]
	s_waitcnt lgkmcnt(0)
	v_add_f32_e32 v6, v6, v7
	ds_write_b32 v17, v6
	s_cbranch_vccnz .LBB61_33
; %bb.32:
	ds_read_b32 v6, v16
	s_waitcnt lgkmcnt(0)
	ds_bpermute_b32 v7, v0, v6
	s_waitcnt lgkmcnt(0)
	v_add_f32_e32 v6, v6, v7
	ds_bpermute_b32 v7, v1, v6
	s_waitcnt lgkmcnt(0)
	v_add_f32_e32 v6, v6, v7
	;; [unrolled: 3-line block ×6, first 2 shown]
	ds_write_b32 v16, v6
.LBB61_33:
	ds_read_b32 v6, v12 offset:256
	ds_read_b32 v7, v17 offset:4
	s_and_b64 vcc, exec, s[10:11]
	s_cbranch_vccnz .LBB61_35
; %bb.34:
	ds_read_b32 v8, v12 offset:768
	ds_read_b32 v9, v16 offset:4
	s_waitcnt lgkmcnt(0)
	v_add_f32_e32 v8, v8, v9
	ds_write_b32 v16, v8 offset:4
.LBB61_35:
	s_waitcnt lgkmcnt(0)
	v_add_f32_e32 v6, v6, v7
	ds_bpermute_b32 v7, v0, v6
	s_and_b64 vcc, exec, s[10:11]
	s_waitcnt lgkmcnt(0)
	v_add_f32_e32 v6, v6, v7
	ds_bpermute_b32 v7, v1, v6
	s_waitcnt lgkmcnt(0)
	v_add_f32_e32 v6, v6, v7
	ds_bpermute_b32 v7, v2, v6
	s_waitcnt lgkmcnt(0)
	v_add_f32_e32 v6, v6, v7
	ds_bpermute_b32 v7, v3, v6
	s_waitcnt lgkmcnt(0)
	v_add_f32_e32 v6, v6, v7
	ds_bpermute_b32 v7, v4, v6
	s_waitcnt lgkmcnt(0)
	v_add_f32_e32 v6, v6, v7
	ds_bpermute_b32 v7, v5, v6
	s_waitcnt lgkmcnt(0)
	v_add_f32_e32 v6, v6, v7
	ds_write_b32 v17, v6 offset:4
	s_cbranch_vccnz .LBB61_37
; %bb.36:
	ds_read_b32 v6, v16 offset:4
	s_waitcnt lgkmcnt(0)
	ds_bpermute_b32 v0, v0, v6
	s_waitcnt lgkmcnt(0)
	v_add_f32_e32 v0, v6, v0
	ds_bpermute_b32 v1, v1, v0
	s_waitcnt lgkmcnt(0)
	v_add_f32_e32 v0, v0, v1
	;; [unrolled: 3-line block ×6, first 2 shown]
	ds_write_b32 v16, v0 offset:4
.LBB61_37:
	v_add_u32_e32 v0, s20, v13
	v_cmp_gt_u32_e32 vcc, 2, v13
	v_cmp_gt_u32_e64 s[0:1], s7, v0
	s_and_b64 s[0:1], vcc, s[0:1]
	s_and_b64 exec, exec, s[0:1]
	s_cbranch_execz .LBB61_61
; %bb.38:
	v_lshl_add_u32 v0, v13, 2, v17
	ds_read_b32 v0, v0
	s_and_b64 vcc, exec, s[10:11]
	s_waitcnt vmcnt(0) lgkmcnt(0)
	v_add_f32_e32 v1, v15, v0
	v_cndmask_b32_e64 v0, v1, v0, s[8:9]
	s_cbranch_vccnz .LBB61_60
; %bb.39:
	v_lshl_add_u32 v1, v13, 2, v16
	ds_read_b32 v1, v1
	s_cmp_lt_i32 s15, 2
	s_mov_b64 s[0:1], 0
	s_waitcnt lgkmcnt(0)
	v_add_f32_e32 v2, v14, v1
	v_cndmask_b32_e64 v1, v1, v2, s[4:5]
	s_cbranch_scc1 .LBB61_43
; %bb.40:
	s_cmp_gt_i32 s15, 2
	s_cbranch_scc0 .LBB61_44
; %bb.41:
	s_cmp_eq_u32 s15, 3
	s_cbranch_scc0 .LBB61_45
; %bb.42:
	v_max_f32_e32 v2, v1, v1
	v_min_f32_e32 v4, 0x40e00000, v2
	v_mul_f32_e32 v3, 0xbfd9db23, v4
	s_mov_b32 s4, 0x3fb8aa3b
	v_mul_f32_e32 v2, 0x3fb8aa3b, v3
	v_fma_f32 v5, v3, s4, -v2
	v_rndne_f32_e32 v6, v2
	v_fmamk_f32 v5, v3, 0x32a5705f, v5
	v_sub_f32_e32 v2, v2, v6
	v_add_f32_e32 v2, v2, v5
	v_exp_f32_e32 v5, v2
	v_cvt_i32_f32_e32 v6, v6
	s_mov_b32 s4, 0xc2ce8ed0
	v_max_f32_e32 v2, v0, v0
	v_cmp_ngt_f32_e32 vcc, s4, v3
	v_ldexp_f32 v5, v5, v6
	s_mov_b32 s4, 0x42b17218
	v_min_f32_e32 v2, 0x40e00000, v2
	v_cndmask_b32_e32 v5, 0, v5, vcc
	v_mov_b32_e32 v6, 0x7f800000
	v_cmp_nlt_f32_e32 vcc, s4, v3
	v_max_f32_e32 v2, 0xc0e00000, v2
	s_nop 0
	v_cndmask_b32_e32 v3, v6, v5, vcc
	v_pk_add_f32 v[2:3], v[2:3], 1.0 op_sel_hi:[1,0]
	s_nop 0
	v_div_scale_f32 v5, s[4:5], v3, v3, v4
	v_rcp_f32_e32 v6, v5
	s_mov_b64 s[4:5], 0
	v_fma_f32 v7, -v5, v6, 1.0
	v_fmac_f32_e32 v6, v7, v6
	v_div_scale_f32 v7, vcc, v4, v3, v4
	v_mul_f32_e32 v8, v7, v6
	v_fma_f32 v9, -v5, v8, v7
	v_fmac_f32_e32 v8, v9, v6
	v_fma_f32 v5, -v5, v8, v7
	v_div_fmas_f32 v5, v5, v6, v8
	v_div_fixup_f32 v3, v5, v3, v4
	v_mul_f32_e32 v2, v2, v3
	s_branch .LBB61_46
.LBB61_43:
                                        ; implicit-def: $vgpr2
	s_mov_b64 s[4:5], 0
	s_cbranch_execnz .LBB61_50
	s_branch .LBB61_51
.LBB61_44:
	s_mov_b64 s[8:9], -1
	s_mov_b64 s[4:5], 0
                                        ; implicit-def: $vgpr2
	s_branch .LBB61_47
.LBB61_45:
	s_mov_b64 s[4:5], -1
                                        ; implicit-def: $vgpr2
.LBB61_46:
	s_mov_b64 s[8:9], 0
.LBB61_47:
	s_and_b64 vcc, exec, s[8:9]
	s_cbranch_vccz .LBB61_49
; %bb.48:
	v_mul_f32_e32 v2, 0xbfb8aa3b, v1
	s_mov_b32 s7, 0xbfb8aa3b
	v_rndne_f32_e32 v3, v2
	v_sub_f32_e32 v4, v2, v3
	v_fma_f32 v2, v1, s7, -v2
	v_fmamk_f32 v2, v1, 0xb2a5705f, v2
	v_add_f32_e32 v2, v4, v2
	v_exp_f32_e32 v2, v2
	v_cvt_i32_f32_e32 v3, v3
	s_mov_b32 s7, 0x42ce8ed0
	v_cmp_nlt_f32_e32 vcc, s7, v1
	s_mov_b32 s7, 0xc2b17218
	v_ldexp_f32 v2, v2, v3
	v_cndmask_b32_e32 v2, 0, v2, vcc
	v_mov_b32_e32 v3, 0x7f800000
	v_cmp_ngt_f32_e32 vcc, s7, v1
	s_nop 1
	v_cndmask_b32_e32 v2, v3, v2, vcc
	v_add_f32_e32 v2, 1.0, v2
	v_div_scale_f32 v3, s[8:9], v2, v2, v1
	v_rcp_f32_e32 v4, v3
	s_nop 0
	v_fma_f32 v5, -v3, v4, 1.0
	v_fmac_f32_e32 v4, v5, v4
	v_div_scale_f32 v5, vcc, v1, v2, v1
	v_mul_f32_e32 v6, v5, v4
	v_fma_f32 v7, -v3, v6, v5
	v_fmac_f32_e32 v6, v7, v4
	v_fma_f32 v3, -v3, v6, v5
	v_div_fmas_f32 v3, v3, v4, v6
	v_div_fixup_f32 v2, v3, v2, v1
	v_mul_f32_e32 v2, v0, v2
.LBB61_49:
	s_branch .LBB61_51
.LBB61_50:
	s_cmp_lg_u32 s15, 1
	s_mov_b64 s[0:1], -1
	s_cselect_b64 s[4:5], -1, 0
                                        ; implicit-def: $vgpr2
.LBB61_51:
	s_andn2_b64 vcc, exec, s[4:5]
	s_cbranch_vccz .LBB61_53
; %bb.52:
	s_andn2_b64 vcc, exec, s[0:1]
	s_cbranch_vccz .LBB61_54
	s_branch .LBB61_59
.LBB61_53:
	v_mul_f32_e32 v2, v0, v1
	s_cbranch_execnz .LBB61_59
.LBB61_54:
	v_mul_f32_e32 v3, 0x3d372713, v1
	v_mul_f32_e32 v2, 0x3f4c422a, v1
	v_fma_f32 v3, v1, v3, 1.0
	v_mul_f32_e32 v2, v2, v3
	s_mov_b32 s0, 0x3f200000
	v_cmp_nlt_f32_e64 s[0:1], |v2|, s0
                                        ; implicit-def: $vgpr3
	s_and_saveexec_b64 s[4:5], s[0:1]
	s_xor_b64 s[0:1], exec, s[4:5]
	s_cbranch_execz .LBB61_56
; %bb.55:
	v_add_f32_e64 v3, |v2|, |v2|
	v_mul_f32_e32 v4, 0x3fb8aa3b, v3
	s_mov_b32 s4, 0x3fb8aa3b
	v_rndne_f32_e32 v5, v4
	v_sub_f32_e32 v6, v4, v5
	v_fma_f32 v4, v3, s4, -v4
	v_fmamk_f32 v4, v3, 0x32a5705f, v4
	v_add_f32_e32 v4, v6, v4
	v_exp_f32_e32 v4, v4
	v_cvt_i32_f32_e32 v5, v5
	s_mov_b32 s4, 0xc2ce8ed0
	v_cmp_ngt_f32_e32 vcc, s4, v3
	s_mov_b32 s4, 0x42b17218
	v_ldexp_f32 v4, v4, v5
	v_cndmask_b32_e32 v4, 0, v4, vcc
	v_mov_b32_e32 v5, 0x7f800000
	v_cmp_nlt_f32_e32 vcc, s4, v3
	s_nop 1
	v_cndmask_b32_e32 v3, v5, v4, vcc
	v_add_f32_e32 v3, 1.0, v3
	v_rcp_f32_e32 v3, v3
	s_nop 0
	v_fma_f32 v3, v3, -2.0, 1.0
.LBB61_56:
	s_andn2_saveexec_b64 s[0:1], s[0:1]
; %bb.57:
	v_mul_f32_e32 v3, v2, v2
	v_mov_b32_e32 v4, 0x3ca908c9
	v_fmac_f32_e32 v4, 0xbbbac73d, v3
	v_fmaak_f32 v4, v3, v4, 0xbd5c1c4e
	v_fmaak_f32 v4, v3, v4, 0x3e088382
	;; [unrolled: 1-line block ×3, first 2 shown]
	v_mul_f32_e64 v4, |v2|, v4
	v_fma_f32 v3, v3, v4, |v2|
; %bb.58:
	s_or_b64 exec, exec, s[0:1]
	s_brev_b32 s0, -2
	v_bfi_b32 v2, s0, v3, v2
	v_mul_f32_e32 v1, 0.5, v1
	v_add_f32_e32 v2, 1.0, v2
	v_mul_f32_e32 v1, v1, v2
	v_mul_f32_e32 v2, v0, v1
.LBB61_59:
	v_mov_b32_e32 v0, v2
.LBB61_60:
	s_load_dwordx2 s[0:1], s[2:3], 0x38
	s_mul_i32 s4, s14, s26
	s_mul_i32 s6, s6, s30
	s_add_i32 s2, s4, s20
	s_add_i32 s2, s2, s6
	s_mov_b32 s3, 0
	s_lshl_b64 s[2:3], s[2:3], 2
	s_waitcnt lgkmcnt(0)
	s_add_u32 s0, s0, s2
	s_addc_u32 s1, s1, s3
	global_store_dword v12, v0, s[0:1]
.LBB61_61:
	s_endpgm
	.section	.rodata,"a",@progbits
	.p2align	6, 0x0
	.amdhsa_kernel _ZL13mul_mat_vec_qIL9ggml_type8ELi1ELb1ELb1EEvPKvS2_PKi31ggml_cuda_mm_fusion_args_devicePfj15HIP_vector_typeIjLj3EEjjjS8_jjjS8_jjjj
		.amdhsa_group_segment_fixed_size 3072
		.amdhsa_private_segment_fixed_size 0
		.amdhsa_kernarg_size 144
		.amdhsa_user_sgpr_count 4
		.amdhsa_user_sgpr_dispatch_ptr 1
		.amdhsa_user_sgpr_queue_ptr 0
		.amdhsa_user_sgpr_kernarg_segment_ptr 1
		.amdhsa_user_sgpr_dispatch_id 0
		.amdhsa_user_sgpr_kernarg_preload_length 0
		.amdhsa_user_sgpr_kernarg_preload_offset 0
		.amdhsa_user_sgpr_private_segment_size 0
		.amdhsa_uses_dynamic_stack 0
		.amdhsa_enable_private_segment 0
		.amdhsa_system_sgpr_workgroup_id_x 1
		.amdhsa_system_sgpr_workgroup_id_y 1
		.amdhsa_system_sgpr_workgroup_id_z 1
		.amdhsa_system_sgpr_workgroup_info 0
		.amdhsa_system_vgpr_workitem_id 2
		.amdhsa_next_free_vgpr 34
		.amdhsa_next_free_sgpr 45
		.amdhsa_accum_offset 36
		.amdhsa_reserve_vcc 1
		.amdhsa_float_round_mode_32 0
		.amdhsa_float_round_mode_16_64 0
		.amdhsa_float_denorm_mode_32 3
		.amdhsa_float_denorm_mode_16_64 3
		.amdhsa_dx10_clamp 1
		.amdhsa_ieee_mode 1
		.amdhsa_fp16_overflow 0
		.amdhsa_tg_split 0
		.amdhsa_exception_fp_ieee_invalid_op 0
		.amdhsa_exception_fp_denorm_src 0
		.amdhsa_exception_fp_ieee_div_zero 0
		.amdhsa_exception_fp_ieee_overflow 0
		.amdhsa_exception_fp_ieee_underflow 0
		.amdhsa_exception_fp_ieee_inexact 0
		.amdhsa_exception_int_div_zero 0
	.end_amdhsa_kernel
	.section	.text._ZL13mul_mat_vec_qIL9ggml_type8ELi1ELb1ELb1EEvPKvS2_PKi31ggml_cuda_mm_fusion_args_devicePfj15HIP_vector_typeIjLj3EEjjjS8_jjjS8_jjjj,"axG",@progbits,_ZL13mul_mat_vec_qIL9ggml_type8ELi1ELb1ELb1EEvPKvS2_PKi31ggml_cuda_mm_fusion_args_devicePfj15HIP_vector_typeIjLj3EEjjjS8_jjjS8_jjjj,comdat
.Lfunc_end61:
	.size	_ZL13mul_mat_vec_qIL9ggml_type8ELi1ELb1ELb1EEvPKvS2_PKi31ggml_cuda_mm_fusion_args_devicePfj15HIP_vector_typeIjLj3EEjjjS8_jjjS8_jjjj, .Lfunc_end61-_ZL13mul_mat_vec_qIL9ggml_type8ELi1ELb1ELb1EEvPKvS2_PKi31ggml_cuda_mm_fusion_args_devicePfj15HIP_vector_typeIjLj3EEjjjS8_jjjS8_jjjj
                                        ; -- End function
	.section	.AMDGPU.csdata,"",@progbits
; Kernel info:
; codeLenInByte = 3020
; NumSgprs: 51
; NumVgprs: 34
; NumAgprs: 0
; TotalNumVgprs: 34
; ScratchSize: 0
; MemoryBound: 0
; FloatMode: 240
; IeeeMode: 1
; LDSByteSize: 3072 bytes/workgroup (compile time only)
; SGPRBlocks: 6
; VGPRBlocks: 4
; NumSGPRsForWavesPerEU: 51
; NumVGPRsForWavesPerEU: 34
; AccumOffset: 36
; Occupancy: 8
; WaveLimiterHint : 0
; COMPUTE_PGM_RSRC2:SCRATCH_EN: 0
; COMPUTE_PGM_RSRC2:USER_SGPR: 4
; COMPUTE_PGM_RSRC2:TRAP_HANDLER: 0
; COMPUTE_PGM_RSRC2:TGID_X_EN: 1
; COMPUTE_PGM_RSRC2:TGID_Y_EN: 1
; COMPUTE_PGM_RSRC2:TGID_Z_EN: 1
; COMPUTE_PGM_RSRC2:TIDIG_COMP_CNT: 2
; COMPUTE_PGM_RSRC3_GFX90A:ACCUM_OFFSET: 8
; COMPUTE_PGM_RSRC3_GFX90A:TG_SPLIT: 0
	.section	.text._ZL13mul_mat_vec_qIL9ggml_type8ELi1ELb0ELb1EEvPKvS2_PKi31ggml_cuda_mm_fusion_args_devicePfj15HIP_vector_typeIjLj3EEjjjS8_jjjS8_jjjj,"axG",@progbits,_ZL13mul_mat_vec_qIL9ggml_type8ELi1ELb0ELb1EEvPKvS2_PKi31ggml_cuda_mm_fusion_args_devicePfj15HIP_vector_typeIjLj3EEjjjS8_jjjS8_jjjj,comdat
	.globl	_ZL13mul_mat_vec_qIL9ggml_type8ELi1ELb0ELb1EEvPKvS2_PKi31ggml_cuda_mm_fusion_args_devicePfj15HIP_vector_typeIjLj3EEjjjS8_jjjS8_jjjj ; -- Begin function _ZL13mul_mat_vec_qIL9ggml_type8ELi1ELb0ELb1EEvPKvS2_PKi31ggml_cuda_mm_fusion_args_devicePfj15HIP_vector_typeIjLj3EEjjjS8_jjjS8_jjjj
	.p2align	8
	.type	_ZL13mul_mat_vec_qIL9ggml_type8ELi1ELb0ELb1EEvPKvS2_PKi31ggml_cuda_mm_fusion_args_devicePfj15HIP_vector_typeIjLj3EEjjjS8_jjjS8_jjjj,@function
_ZL13mul_mat_vec_qIL9ggml_type8ELi1ELb0ELb1EEvPKvS2_PKi31ggml_cuda_mm_fusion_args_devicePfj15HIP_vector_typeIjLj3EEjjjS8_jjjS8_jjjj: ; @_ZL13mul_mat_vec_qIL9ggml_type8ELi1ELb0ELb1EEvPKvS2_PKi31ggml_cuda_mm_fusion_args_devicePfj15HIP_vector_typeIjLj3EEjjjS8_jjjS8_jjjj
; %bb.0:
	s_load_dwordx2 s[8:9], s[2:3], 0x10
	s_load_dwordx4 s[16:19], s[2:3], 0x40
	s_mov_b32 s20, s5
	s_mov_b64 s[14:15], 0
	s_waitcnt lgkmcnt(0)
	s_cmp_lg_u64 s[8:9], 0
	s_cselect_b64 s[12:13], -1, 0
	s_cmp_eq_u64 s[8:9], 0
	s_cbranch_scc1 .LBB62_5
; %bb.1:
	s_mov_b32 s21, 0
	s_lshl_b64 s[10:11], s[20:21], 2
	s_add_u32 s8, s8, s10
	s_addc_u32 s9, s9, s11
	s_load_dword s21, s[8:9], 0x0
	s_nop 0
	s_load_dwordx4 s[8:11], s[2:3], 0x68
	s_load_dword s5, s[2:3], 0x50
	s_andn2_b64 vcc, exec, s[14:15]
	s_cbranch_vccnz .LBB62_3
.LBB62_2:
	s_load_dwordx2 s[14:15], s[2:3], 0x5c
	s_waitcnt lgkmcnt(0)
	s_mul_hi_u32 s7, s14, s20
	s_add_i32 s7, s20, s7
	s_lshr_b32 s21, s7, s15
.LBB62_3:
	s_load_dword s22, s[2:3], 0x78
	s_andn2_b64 vcc, exec, s[12:13]
	s_cbranch_vccnz .LBB62_6
; %bb.4:
	s_mul_hi_u32 s7, s17, s20
	s_add_i32 s7, s20, s7
	s_lshr_b32 s7, s7, s18
	s_mul_i32 s7, s7, s19
	s_sub_i32 s23, s20, s7
	s_branch .LBB62_7
.LBB62_5:
                                        ; implicit-def: $sgpr21
	s_load_dwordx4 s[8:11], s[2:3], 0x68
	s_load_dword s5, s[2:3], 0x50
	s_branch .LBB62_2
.LBB62_6:
	s_mov_b32 s23, s20
.LBB62_7:
	s_load_dwordx2 s[18:19], s[0:1], 0x4
	s_load_dwordx4 s[12:15], s[2:3], 0x80
	v_bfe_u32 v11, v0, 10, 10
	v_and_b32_e32 v10, 0x3ff, v0
	v_bfe_u32 v0, v0, 20, 10
	s_waitcnt lgkmcnt(0)
	s_lshr_b32 s0, s18, 16
	v_mul_u32_u24_e32 v1, s19, v11
	s_mul_i32 s0, s0, s19
	v_mad_u32_u24 v1, s0, v10, v1
	v_lshl_add_u32 v4, v11, 6, v10
	v_add_lshl_u32 v0, v1, v0, 3
	s_lshr_b32 s15, s16, 5
	v_mov_b32_e32 v1, 0
	v_lshrrev_b32_e32 v12, 2, v4
	v_add_u32_e32 v8, 0x200, v0
	s_lshl_b32 s7, s4, 1
	ds_write2_b32 v0, v1, v1 offset0:128 offset1:129
	v_cmp_gt_u32_e32 vcc, s15, v12
	v_lshlrev_b32_e32 v9, 2, v10
	v_mov_b32_e32 v0, v1
	s_and_saveexec_b64 s[0:1], vcc
	s_cbranch_execz .LBB62_11
; %bb.8:
	s_load_dwordx4 s[16:19], s[2:3], 0x0
	s_mul_i32 s4, s6, s13
	s_mul_i32 s13, s21, s8
	s_mul_hi_u32 s8, s11, s6
	s_add_i32 s8, s6, s8
	s_lshr_b32 s8, s8, s22
	s_mul_i32 s11, s8, s12
	s_mul_hi_u32 s8, s4, 36
	s_mul_i32 s4, s4, 36
	s_mul_i32 s9, s23, s9
	s_waitcnt lgkmcnt(0)
	s_add_u32 s4, s18, s4
	s_mul_hi_u32 s21, s9, 36
	s_mul_i32 s9, s9, 36
	s_addc_u32 s18, s19, s8
	v_and_b32_e32 v1, 3, v10
	s_add_u32 s8, s4, s9
	v_lshlrev_b32_e32 v2, 3, v1
	v_lshrrev_b32_e32 v1, 2, v4
	s_addc_u32 s9, s18, s21
	v_mad_u64_u32 v[4:5], s[8:9], v1, 36, s[8:9]
	s_add_i32 s8, s7, 1
	v_and_b32_e32 v0, 12, v9
	v_mov_b32_e32 v3, 0
	s_mul_i32 s12, s7, s5
	s_add_i32 s4, s11, s13
	s_mul_i32 s5, s5, s8
	s_add_i32 s11, s4, s5
	s_add_i32 s12, s4, s12
	s_mov_b64 s[4:5], 0
	v_lshlrev_b32_e32 v6, 1, v0
	v_mov_b32_e32 v7, v3
	s_mov_b64 s[8:9], 0x480
	v_mov_b32_e32 v0, v3
	v_mov_b32_e32 v1, v3
.LBB62_9:                               ; =>This Inner Loop Header: Depth=1
	v_add_u32_e32 v16, s12, v12
	v_lshl_add_u64 v[14:15], v[4:5], 0, v[2:3]
	v_add_u32_e32 v18, s11, v12
	v_mad_i64_i32 v[16:17], s[18:19], v16, 34, s[16:17]
	global_load_dword v13, v[4:5], off
	v_mad_i64_i32 v[18:19], s[18:19], v18, 34, s[16:17]
	global_load_dwordx2 v[14:15], v[14:15], off offset:4
	v_lshl_add_u64 v[20:21], v[16:17], 0, v[6:7]
	v_lshl_add_u64 v[22:23], v[18:19], 0, v[6:7]
	global_load_dword v24, v[20:21], off offset:2
	global_load_dword v25, v[20:21], off offset:6
	;; [unrolled: 1-line block ×4, first 2 shown]
	global_load_ushort v28, v[18:19], off
	global_load_ushort v29, v[16:17], off
	v_mov_b32_e32 v17, 0
	v_mov_b32_e32 v20, 0
	v_add_u32_e32 v12, 32, v12
	v_cmp_le_u32_e32 vcc, s15, v12
	v_lshl_add_u64 v[4:5], v[4:5], 0, s[8:9]
	s_or_b64 s[4:5], vcc, s[4:5]
	s_waitcnt vmcnt(7)
	v_cvt_f32_f16_e32 v16, v13
	s_waitcnt vmcnt(5)
	v_dot4c_i32_i8_e32 v17, v24, v14
	s_waitcnt vmcnt(2)
	v_dot4c_i32_i8_e32 v20, v27, v14
	s_waitcnt vmcnt(1)
	v_cvt_f32_f16_e32 v19, v28
	s_waitcnt vmcnt(0)
	v_cvt_f32_f16_e32 v18, v29
	v_dot4c_i32_i8_e32 v17, v25, v15
	v_dot4c_i32_i8_e32 v20, v26, v15
	s_nop 1
	v_cvt_f32_i32_e32 v14, v17
	v_cvt_f32_i32_e32 v15, v20
	v_pk_mul_f32 v[16:17], v[16:17], v[18:19] op_sel_hi:[0,1]
	v_pk_fma_f32 v[0:1], v[16:17], v[14:15], v[0:1]
	s_andn2_b64 exec, exec, s[4:5]
	s_cbranch_execnz .LBB62_9
; %bb.10:
	s_or_b64 exec, exec, s[4:5]
	ds_write2_b32 v8, v0, v1 offset1:1
.LBB62_11:
	s_or_b64 exec, exec, s[0:1]
	v_cmp_eq_u32_e32 vcc, 0, v11
	v_cmp_ne_u32_e64 s[0:1], 0, v11
	s_and_saveexec_b64 s[4:5], s[0:1]
	s_cbranch_execz .LBB62_13
; %bb.12:
	v_lshl_or_b32 v2, v11, 9, v9
	v_add_u32_e32 v2, 0xfffffe00, v2
	ds_write2st64_b32 v2, v0, v1 offset1:1
.LBB62_13:
	s_or_b64 exec, exec, s[4:5]
	s_waitcnt lgkmcnt(0)
	s_barrier
	s_and_saveexec_b64 s[0:1], vcc
	s_cbranch_execz .LBB62_16
; %bb.14:
	v_mbcnt_lo_u32_b32 v0, -1, 0
	v_mbcnt_hi_u32_b32 v4, -1, v0
	v_and_b32_e32 v0, 64, v4
	v_add_u32_e32 v5, 64, v0
	ds_read2st64_b32 v[0:1], v9 offset1:1
	ds_read2_b32 v[2:3], v8 offset1:1
	v_xor_b32_e32 v6, 32, v4
	v_cmp_lt_i32_e32 vcc, v6, v5
	s_load_dword s0, s[2:3], 0x58
	s_mov_b32 s5, 0
	v_cndmask_b32_e32 v6, v4, v6, vcc
	v_lshlrev_b32_e32 v6, 2, v6
	s_waitcnt lgkmcnt(0)
	v_pk_add_f32 v[0:1], v[0:1], v[2:3]
	ds_bpermute_b32 v2, v6, v0
	ds_bpermute_b32 v3, v6, v1
	v_xor_b32_e32 v6, 16, v4
	v_cmp_lt_i32_e32 vcc, v6, v5
	s_waitcnt lgkmcnt(0)
	v_pk_add_f32 v[0:1], v[0:1], v[2:3]
	v_cndmask_b32_e32 v6, v4, v6, vcc
	v_lshlrev_b32_e32 v6, 2, v6
	ds_bpermute_b32 v2, v6, v0
	ds_bpermute_b32 v3, v6, v1
	v_xor_b32_e32 v6, 8, v4
	v_cmp_lt_i32_e32 vcc, v6, v5
	s_waitcnt lgkmcnt(0)
	v_pk_add_f32 v[0:1], v[0:1], v[2:3]
	v_cndmask_b32_e32 v6, v4, v6, vcc
	v_lshlrev_b32_e32 v6, 2, v6
	;; [unrolled: 8-line block ×5, first 2 shown]
	ds_bpermute_b32 v2, v4, v0
	ds_bpermute_b32 v3, v4, v1
	v_cmp_gt_u32_e32 vcc, 2, v10
	s_waitcnt lgkmcnt(0)
	v_pk_add_f32 v[0:1], v[0:1], v[2:3]
	ds_write2_b32 v8, v0, v1 offset1:1
	v_or_b32_e32 v0, s7, v10
	v_cmp_gt_u32_e64 s[0:1], s0, v0
	s_and_b64 s[0:1], vcc, s[0:1]
	s_and_b64 exec, exec, s[0:1]
	s_cbranch_execz .LBB62_16
; %bb.15:
	s_load_dwordx2 s[0:1], s[2:3], 0x38
	s_mul_i32 s2, s20, s10
	v_add_u32_e32 v0, v8, v9
	s_add_i32 s2, s2, s7
	s_mul_i32 s6, s6, s14
	ds_read_b32 v0, v0
	s_add_i32 s4, s2, s6
	s_lshl_b64 s[2:3], s[4:5], 2
	s_waitcnt lgkmcnt(0)
	s_add_u32 s0, s0, s2
	s_addc_u32 s1, s1, s3
	global_store_dword v9, v0, s[0:1]
.LBB62_16:
	s_endpgm
	.section	.rodata,"a",@progbits
	.p2align	6, 0x0
	.amdhsa_kernel _ZL13mul_mat_vec_qIL9ggml_type8ELi1ELb0ELb1EEvPKvS2_PKi31ggml_cuda_mm_fusion_args_devicePfj15HIP_vector_typeIjLj3EEjjjS8_jjjS8_jjjj
		.amdhsa_group_segment_fixed_size 1536
		.amdhsa_private_segment_fixed_size 0
		.amdhsa_kernarg_size 144
		.amdhsa_user_sgpr_count 4
		.amdhsa_user_sgpr_dispatch_ptr 1
		.amdhsa_user_sgpr_queue_ptr 0
		.amdhsa_user_sgpr_kernarg_segment_ptr 1
		.amdhsa_user_sgpr_dispatch_id 0
		.amdhsa_user_sgpr_kernarg_preload_length 0
		.amdhsa_user_sgpr_kernarg_preload_offset 0
		.amdhsa_user_sgpr_private_segment_size 0
		.amdhsa_uses_dynamic_stack 0
		.amdhsa_enable_private_segment 0
		.amdhsa_system_sgpr_workgroup_id_x 1
		.amdhsa_system_sgpr_workgroup_id_y 1
		.amdhsa_system_sgpr_workgroup_id_z 1
		.amdhsa_system_sgpr_workgroup_info 0
		.amdhsa_system_vgpr_workitem_id 2
		.amdhsa_next_free_vgpr 30
		.amdhsa_next_free_sgpr 24
		.amdhsa_accum_offset 32
		.amdhsa_reserve_vcc 1
		.amdhsa_float_round_mode_32 0
		.amdhsa_float_round_mode_16_64 0
		.amdhsa_float_denorm_mode_32 3
		.amdhsa_float_denorm_mode_16_64 3
		.amdhsa_dx10_clamp 1
		.amdhsa_ieee_mode 1
		.amdhsa_fp16_overflow 0
		.amdhsa_tg_split 0
		.amdhsa_exception_fp_ieee_invalid_op 0
		.amdhsa_exception_fp_denorm_src 0
		.amdhsa_exception_fp_ieee_div_zero 0
		.amdhsa_exception_fp_ieee_overflow 0
		.amdhsa_exception_fp_ieee_underflow 0
		.amdhsa_exception_fp_ieee_inexact 0
		.amdhsa_exception_int_div_zero 0
	.end_amdhsa_kernel
	.section	.text._ZL13mul_mat_vec_qIL9ggml_type8ELi1ELb0ELb1EEvPKvS2_PKi31ggml_cuda_mm_fusion_args_devicePfj15HIP_vector_typeIjLj3EEjjjS8_jjjS8_jjjj,"axG",@progbits,_ZL13mul_mat_vec_qIL9ggml_type8ELi1ELb0ELb1EEvPKvS2_PKi31ggml_cuda_mm_fusion_args_devicePfj15HIP_vector_typeIjLj3EEjjjS8_jjjS8_jjjj,comdat
.Lfunc_end62:
	.size	_ZL13mul_mat_vec_qIL9ggml_type8ELi1ELb0ELb1EEvPKvS2_PKi31ggml_cuda_mm_fusion_args_devicePfj15HIP_vector_typeIjLj3EEjjjS8_jjjS8_jjjj, .Lfunc_end62-_ZL13mul_mat_vec_qIL9ggml_type8ELi1ELb0ELb1EEvPKvS2_PKi31ggml_cuda_mm_fusion_args_devicePfj15HIP_vector_typeIjLj3EEjjjS8_jjjS8_jjjj
                                        ; -- End function
	.section	.AMDGPU.csdata,"",@progbits
; Kernel info:
; codeLenInByte = 1200
; NumSgprs: 30
; NumVgprs: 30
; NumAgprs: 0
; TotalNumVgprs: 30
; ScratchSize: 0
; MemoryBound: 0
; FloatMode: 240
; IeeeMode: 1
; LDSByteSize: 1536 bytes/workgroup (compile time only)
; SGPRBlocks: 3
; VGPRBlocks: 3
; NumSGPRsForWavesPerEU: 30
; NumVGPRsForWavesPerEU: 30
; AccumOffset: 32
; Occupancy: 8
; WaveLimiterHint : 0
; COMPUTE_PGM_RSRC2:SCRATCH_EN: 0
; COMPUTE_PGM_RSRC2:USER_SGPR: 4
; COMPUTE_PGM_RSRC2:TRAP_HANDLER: 0
; COMPUTE_PGM_RSRC2:TGID_X_EN: 1
; COMPUTE_PGM_RSRC2:TGID_Y_EN: 1
; COMPUTE_PGM_RSRC2:TGID_Z_EN: 1
; COMPUTE_PGM_RSRC2:TIDIG_COMP_CNT: 2
; COMPUTE_PGM_RSRC3_GFX90A:ACCUM_OFFSET: 7
; COMPUTE_PGM_RSRC3_GFX90A:TG_SPLIT: 0
	.section	.text._ZL13mul_mat_vec_qIL9ggml_type8ELi1ELb1ELb0EEvPKvS2_PKi31ggml_cuda_mm_fusion_args_devicePfj15HIP_vector_typeIjLj3EEjjjS8_jjjS8_jjjj,"axG",@progbits,_ZL13mul_mat_vec_qIL9ggml_type8ELi1ELb1ELb0EEvPKvS2_PKi31ggml_cuda_mm_fusion_args_devicePfj15HIP_vector_typeIjLj3EEjjjS8_jjjS8_jjjj,comdat
	.globl	_ZL13mul_mat_vec_qIL9ggml_type8ELi1ELb1ELb0EEvPKvS2_PKi31ggml_cuda_mm_fusion_args_devicePfj15HIP_vector_typeIjLj3EEjjjS8_jjjS8_jjjj ; -- Begin function _ZL13mul_mat_vec_qIL9ggml_type8ELi1ELb1ELb0EEvPKvS2_PKi31ggml_cuda_mm_fusion_args_devicePfj15HIP_vector_typeIjLj3EEjjjS8_jjjS8_jjjj
	.p2align	8
	.type	_ZL13mul_mat_vec_qIL9ggml_type8ELi1ELb1ELb0EEvPKvS2_PKi31ggml_cuda_mm_fusion_args_devicePfj15HIP_vector_typeIjLj3EEjjjS8_jjjS8_jjjj,@function
_ZL13mul_mat_vec_qIL9ggml_type8ELi1ELb1ELb0EEvPKvS2_PKi31ggml_cuda_mm_fusion_args_devicePfj15HIP_vector_typeIjLj3EEjjjS8_jjjS8_jjjj: ; @_ZL13mul_mat_vec_qIL9ggml_type8ELi1ELb1ELb0EEvPKvS2_PKi31ggml_cuda_mm_fusion_args_devicePfj15HIP_vector_typeIjLj3EEjjjS8_jjjS8_jjjj
; %bb.0:
	s_load_dwordx8 s[16:23], s[0:1], 0x0
	s_load_dwordx4 s[36:39], s[0:1], 0x20
	s_load_dwordx4 s[8:11], s[0:1], 0x40
	;; [unrolled: 1-line block ×3, first 2 shown]
	s_mov_b32 s14, s3
	s_waitcnt lgkmcnt(0)
	s_cmp_lg_u64 s[20:21], 0
	s_cselect_b64 s[6:7], -1, 0
	s_cmp_eq_u64 s[20:21], 0
	s_mov_b64 s[12:13], 0
	s_cbranch_scc1 .LBB63_5
; %bb.1:
	s_mov_b32 s15, 0
	s_lshl_b64 s[28:29], s[14:15], 2
	s_add_u32 s20, s20, s28
	s_addc_u32 s21, s21, s29
	s_load_dword s5, s[20:21], 0x0
	s_load_dword s15, s[0:1], 0x50
	;; [unrolled: 1-line block ×3, first 2 shown]
	s_andn2_b64 vcc, exec, s[12:13]
	s_cbranch_vccnz .LBB63_3
.LBB63_2:
	s_load_dwordx2 s[12:13], s[0:1], 0x5c
	s_waitcnt lgkmcnt(0)
	s_mul_hi_u32 s3, s12, s14
	s_add_i32 s3, s14, s3
	s_lshr_b32 s5, s3, s13
.LBB63_3:
	s_andn2_b64 vcc, exec, s[6:7]
	s_cbranch_vccnz .LBB63_6
; %bb.4:
	s_mul_hi_u32 s3, s9, s14
	s_add_i32 s3, s14, s3
	s_lshr_b32 s3, s3, s10
	s_mul_i32 s3, s3, s11
	s_sub_i32 s34, s14, s3
	s_waitcnt lgkmcnt(0)
	s_mov_b32 s3, s5
	s_branch .LBB63_7
.LBB63_5:
                                        ; implicit-def: $sgpr5
	s_load_dword s15, s[0:1], 0x50
	s_load_dword s33, s[0:1], 0x78
	s_branch .LBB63_2
.LBB63_6:
	s_mov_b32 s3, s14
	s_mov_b32 s34, s14
.LBB63_7:
	s_load_dwordx4 s[28:31], s[0:1], 0x80
	v_bfe_u32 v14, v0, 10, 10
	v_and_b32_e32 v11, 0x3ff, v0
	s_cmp_lg_u64 s[22:23], 0
	v_or_b32_e32 v0, v14, v11
	s_cselect_b64 s[12:13], -1, 0
	v_cmp_eq_u32_e32 vcc, 0, v0
	s_mov_b32 s21, 0
	s_and_b64 s[40:41], vcc, s[12:13]
	v_mov_b32_e32 v12, 0
	s_mul_i32 s10, s3, s26
	v_lshlrev_b32_e32 v10, 2, v11
	v_mov_b32_e32 v13, 0
	s_and_saveexec_b64 s[6:7], s[40:41]
	s_cbranch_execz .LBB63_9
; %bb.8:
	s_waitcnt lgkmcnt(0)
	s_mul_i32 s20, s4, s30
	s_lshl_b64 s[40:41], s[20:21], 2
	s_add_u32 s3, s22, s40
	s_mov_b32 s11, s21
	s_addc_u32 s9, s23, s41
	s_lshl_b64 s[20:21], s[10:11], 2
	s_add_u32 s11, s3, s20
	s_addc_u32 s9, s9, s21
	s_ashr_i32 s3, s2, 31
	s_lshl_b64 s[20:21], s[2:3], 2
	s_add_u32 s20, s11, s20
	s_addc_u32 s21, s9, s21
	global_load_dword v13, v10, s[20:21]
.LBB63_9:
	s_or_b64 exec, exec, s[6:7]
	s_cmp_lg_u64 s[36:37], 0
	s_cselect_b64 s[20:21], -1, 0
	s_cmp_lg_u64 s[38:39], 0
	s_cselect_b64 s[6:7], -1, 0
	s_and_b64 s[22:23], s[6:7], s[20:21]
	s_and_b64 s[40:41], vcc, s[22:23]
	s_and_saveexec_b64 s[22:23], s[40:41]
	s_cbranch_execz .LBB63_11
; %bb.10:
	s_waitcnt lgkmcnt(0)
	s_mul_i32 s40, s4, s30
	s_mov_b32 s41, 0
	s_lshl_b64 s[42:43], s[40:41], 2
	s_add_u32 s3, s38, s42
	s_mov_b32 s11, s41
	s_addc_u32 s9, s39, s43
	s_lshl_b64 s[10:11], s[10:11], 2
	s_add_u32 s31, s3, s10
	s_addc_u32 s9, s9, s11
	s_ashr_i32 s3, s2, 31
	s_lshl_b64 s[10:11], s[2:3], 2
	s_add_u32 s10, s31, s10
	s_addc_u32 s11, s9, s11
	global_load_dword v12, v10, s[10:11]
.LBB63_11:
	s_or_b64 exec, exec, s[22:23]
	v_lshl_add_u32 v2, v14, 6, v11
	s_lshr_b32 s3, s8, 5
	v_lshrrev_b32_e32 v17, 2, v2
	v_cndmask_b32_e64 v0, 0, 1, s[20:21]
	v_cmp_gt_u32_e32 vcc, s3, v17
	v_mov_b32_e32 v16, 0
	v_cmp_ne_u32_e64 s[8:9], 1, v0
	v_mov_b32_e32 v15, 0
	s_and_saveexec_b64 s[10:11], vcc
	s_cbranch_execz .LBB63_17
; %bb.12:
	s_mul_hi_u32 s22, s27, s4
	s_add_i32 s22, s4, s22
	s_waitcnt lgkmcnt(0)
	s_lshr_b32 s22, s22, s33
	s_mul_i32 s5, s5, s24
	s_mul_i32 s22, s22, s28
	;; [unrolled: 1-line block ×4, first 2 shown]
	s_add_i32 s5, s22, s5
	s_add_i32 s5, s5, s15
	s_mul_hi_u32 s22, s20, 36
	s_mul_i32 s20, s20, 36
	s_mul_i32 s21, s34, s25
	s_add_u32 s18, s18, s20
	s_mul_hi_u32 s15, s21, 36
	s_mul_i32 s21, s21, 36
	s_addc_u32 s19, s19, s22
	s_add_u32 s18, s18, s21
	v_lshrrev_b32_e32 v2, 2, v2
	s_addc_u32 s19, s19, s15
	v_and_b32_e32 v4, 12, v10
	v_mov_b32_e32 v1, 0
	v_and_b32_e32 v0, 3, v11
	v_mad_u64_u32 v[2:3], s[18:19], v2, 36, s[18:19]
	v_lshlrev_b32_e32 v0, 3, v0
	s_mov_b64 s[18:19], 0
	v_lshlrev_b32_e32 v4, 1, v4
	v_mov_b32_e32 v5, v1
	s_mov_b64 s[20:21], 0x480
	v_mov_b32_e32 v16, v1
	v_mov_b32_e32 v15, v1
	s_branch .LBB63_14
.LBB63_13:                              ;   in Loop: Header=BB63_14 Depth=1
	v_mov_b32_e32 v20, 0
	s_waitcnt vmcnt(1)
	v_dot4c_i32_i8_e32 v20, v8, v6
	s_waitcnt vmcnt(0)
	v_cvt_f32_f16_e32 v19, v19
	v_dot4c_i32_i8_e32 v20, v9, v7
	v_add_u32_e32 v17, 32, v17
	v_cmp_le_u32_e32 vcc, s3, v17
	v_mul_f32_e32 v7, v19, v18
	v_cvt_f32_i32_e32 v6, v20
	s_or_b64 s[18:19], vcc, s[18:19]
	v_lshl_add_u64 v[2:3], v[2:3], 0, s[20:21]
	v_fmac_f32_e32 v16, v7, v6
	s_andn2_b64 exec, exec, s[18:19]
	s_cbranch_execz .LBB63_16
.LBB63_14:                              ; =>This Inner Loop Header: Depth=1
	v_lshl_add_u64 v[8:9], v[2:3], 0, v[0:1]
	global_load_dwordx2 v[6:7], v[8:9], off offset:4
	global_load_dword v18, v[2:3], off
	v_add_u32_e32 v20, s5, v17
	v_mad_i64_i32 v[22:23], s[22:23], v20, 34, s[16:17]
	v_lshl_add_u64 v[24:25], v[22:23], 0, v[4:5]
	global_load_dwordx2 v[8:9], v[24:25], off offset:2
	global_load_ushort v19, v[22:23], off
	s_and_b64 vcc, exec, s[8:9]
	s_waitcnt vmcnt(2)
	v_cvt_f32_f16_e32 v18, v18
	s_cbranch_vccnz .LBB63_13
; %bb.15:                               ;   in Loop: Header=BB63_14 Depth=1
	v_mad_i64_i32 v[20:21], s[22:23], v20, 34, s[36:37]
	v_lshl_add_u64 v[22:23], v[20:21], 0, v[4:5]
	global_load_dword v24, v[22:23], off offset:6
	global_load_ushort v25, v[20:21], off
	global_load_dword v26, v[22:23], off offset:2
	v_mov_b32_e32 v20, 0
	s_waitcnt vmcnt(1)
	v_cvt_f32_f16_e32 v21, v25
	s_waitcnt vmcnt(0)
	v_dot4c_i32_i8_e32 v20, v26, v6
	v_dot4c_i32_i8_e32 v20, v24, v7
	v_mul_f32_e32 v21, v18, v21
	s_nop 1
	v_cvt_f32_i32_e32 v20, v20
	v_fmac_f32_e32 v15, v21, v20
	s_branch .LBB63_13
.LBB63_16:
	s_or_b64 exec, exec, s[18:19]
.LBB63_17:
	s_or_b64 exec, exec, s[10:11]
	s_load_dword s3, s[0:1], 0x30
	v_cmp_eq_u32_e64 s[10:11], 0, v14
	v_cmp_ne_u32_e32 vcc, 0, v14
	s_and_saveexec_b64 s[16:17], vcc
	s_cbranch_execz .LBB63_20
; %bb.18:
	v_add_u32_e32 v0, -1, v14
	v_lshl_add_u32 v0, v0, 8, v10
	s_and_b64 vcc, exec, s[8:9]
	ds_write_b32 v0, v16
	s_cbranch_vccnz .LBB63_20
; %bb.19:
	ds_write_b32 v0, v15 offset:256
.LBB63_20:
	s_or_b64 exec, exec, s[16:17]
	s_waitcnt lgkmcnt(0)
	s_barrier
	s_and_saveexec_b64 s[16:17], s[10:11]
	s_cbranch_execz .LBB63_49
; %bb.21:
	ds_read_b32 v0, v10
	s_and_b64 vcc, exec, s[8:9]
	s_cbranch_vccnz .LBB63_23
; %bb.22:
	ds_read_b32 v1, v10 offset:256
	s_waitcnt lgkmcnt(0)
	v_add_f32_e32 v15, v15, v1
.LBB63_23:
	s_waitcnt lgkmcnt(0)
	v_add_f32_e32 v1, v16, v0
	v_mbcnt_lo_u32_b32 v0, -1, 0
	v_mbcnt_hi_u32_b32 v4, -1, v0
	v_and_b32_e32 v0, 64, v4
	v_add_u32_e32 v7, 64, v0
	v_xor_b32_e32 v0, 32, v4
	v_cmp_lt_i32_e32 vcc, v0, v7
	v_xor_b32_e32 v3, 16, v4
	v_xor_b32_e32 v5, 8, v4
	v_cndmask_b32_e32 v0, v4, v0, vcc
	v_lshlrev_b32_e32 v0, 2, v0
	ds_bpermute_b32 v2, v0, v1
	v_cmp_lt_i32_e32 vcc, v3, v7
	v_xor_b32_e32 v6, 4, v4
	v_xor_b32_e32 v8, 2, v4
	;; [unrolled: 1-line block ×3, first 2 shown]
	s_waitcnt lgkmcnt(0)
	v_add_f32_e32 v2, v1, v2
	v_cndmask_b32_e32 v1, v4, v3, vcc
	v_lshlrev_b32_e32 v1, 2, v1
	ds_bpermute_b32 v3, v1, v2
	v_cmp_lt_i32_e32 vcc, v5, v7
	s_waitcnt lgkmcnt(0)
	v_add_f32_e32 v2, v2, v3
	v_cndmask_b32_e32 v3, v4, v5, vcc
	v_lshlrev_b32_e32 v3, 2, v3
	ds_bpermute_b32 v5, v3, v2
	v_cmp_lt_i32_e32 vcc, v6, v7
	;; [unrolled: 6-line block ×4, first 2 shown]
	s_waitcnt lgkmcnt(0)
	v_add_f32_e32 v2, v2, v8
	v_cndmask_b32_e32 v4, v4, v9, vcc
	v_lshlrev_b32_e32 v7, 2, v4
	ds_bpermute_b32 v4, v7, v2
	s_and_b64 vcc, exec, s[8:9]
	s_cbranch_vccnz .LBB63_25
; %bb.24:
	ds_bpermute_b32 v0, v0, v15
	s_waitcnt lgkmcnt(0)
	v_add_f32_e32 v0, v15, v0
	ds_bpermute_b32 v1, v1, v0
	s_waitcnt lgkmcnt(0)
	v_add_f32_e32 v0, v0, v1
	;; [unrolled: 3-line block ×6, first 2 shown]
.LBB63_25:
	v_cmp_eq_u32_e32 vcc, 0, v11
	s_and_b64 exec, exec, vcc
	s_cbranch_execz .LBB63_49
; %bb.26:
	s_waitcnt lgkmcnt(0)
	v_add_f32_e32 v0, v2, v4
	s_waitcnt vmcnt(0)
	v_add_f32_e32 v1, v13, v0
	s_and_b64 vcc, exec, s[8:9]
	v_cndmask_b32_e64 v0, v0, v1, s[12:13]
	s_cbranch_vccnz .LBB63_48
; %bb.27:
	v_add_f32_e32 v1, v12, v15
	v_cndmask_b32_e64 v1, v15, v1, s[6:7]
	s_cmp_lt_i32 s3, 2
	s_mov_b64 s[6:7], 0
	s_cbranch_scc1 .LBB63_31
; %bb.28:
	s_cmp_gt_i32 s3, 2
	s_cbranch_scc0 .LBB63_32
; %bb.29:
	s_cmp_eq_u32 s3, 3
	s_cbranch_scc0 .LBB63_33
; %bb.30:
	v_max_f32_e32 v2, v1, v1
	v_min_f32_e32 v4, 0x40e00000, v2
	v_mul_f32_e32 v3, 0xbfd9db23, v4
	s_mov_b32 s5, 0x3fb8aa3b
	v_mul_f32_e32 v2, 0x3fb8aa3b, v3
	v_fma_f32 v5, v3, s5, -v2
	v_rndne_f32_e32 v6, v2
	v_fmamk_f32 v5, v3, 0x32a5705f, v5
	v_sub_f32_e32 v2, v2, v6
	v_add_f32_e32 v2, v2, v5
	v_exp_f32_e32 v5, v2
	v_cvt_i32_f32_e32 v6, v6
	s_mov_b32 s5, 0xc2ce8ed0
	v_max_f32_e32 v2, v0, v0
	v_cmp_ngt_f32_e32 vcc, s5, v3
	v_ldexp_f32 v5, v5, v6
	s_mov_b32 s5, 0x42b17218
	v_min_f32_e32 v2, 0x40e00000, v2
	v_cndmask_b32_e32 v5, 0, v5, vcc
	v_mov_b32_e32 v6, 0x7f800000
	v_cmp_nlt_f32_e32 vcc, s5, v3
	v_max_f32_e32 v2, 0xc0e00000, v2
	s_nop 0
	v_cndmask_b32_e32 v3, v6, v5, vcc
	v_pk_add_f32 v[2:3], v[2:3], 1.0 op_sel_hi:[1,0]
	s_nop 0
	v_div_scale_f32 v5, s[8:9], v3, v3, v4
	v_rcp_f32_e32 v6, v5
	s_mov_b64 s[8:9], 0
	v_fma_f32 v7, -v5, v6, 1.0
	v_fmac_f32_e32 v6, v7, v6
	v_div_scale_f32 v7, vcc, v4, v3, v4
	v_mul_f32_e32 v8, v7, v6
	v_fma_f32 v9, -v5, v8, v7
	v_fmac_f32_e32 v8, v9, v6
	v_fma_f32 v5, -v5, v8, v7
	v_div_fmas_f32 v5, v5, v6, v8
	v_div_fixup_f32 v3, v5, v3, v4
	v_mul_f32_e32 v2, v2, v3
	s_branch .LBB63_34
.LBB63_31:
                                        ; implicit-def: $vgpr2
	s_mov_b64 s[8:9], 0
	s_cbranch_execnz .LBB63_38
	s_branch .LBB63_39
.LBB63_32:
	s_mov_b64 s[10:11], -1
	s_mov_b64 s[8:9], 0
                                        ; implicit-def: $vgpr2
	s_branch .LBB63_35
.LBB63_33:
	s_mov_b64 s[8:9], -1
                                        ; implicit-def: $vgpr2
.LBB63_34:
	s_mov_b64 s[10:11], 0
.LBB63_35:
	s_and_b64 vcc, exec, s[10:11]
	s_cbranch_vccz .LBB63_37
; %bb.36:
	v_mul_f32_e32 v2, 0xbfb8aa3b, v1
	s_mov_b32 s5, 0xbfb8aa3b
	v_rndne_f32_e32 v3, v2
	v_sub_f32_e32 v4, v2, v3
	v_fma_f32 v2, v1, s5, -v2
	v_fmamk_f32 v2, v1, 0xb2a5705f, v2
	v_add_f32_e32 v2, v4, v2
	v_exp_f32_e32 v2, v2
	v_cvt_i32_f32_e32 v3, v3
	s_mov_b32 s5, 0x42ce8ed0
	v_cmp_nlt_f32_e32 vcc, s5, v1
	s_mov_b32 s5, 0xc2b17218
	v_ldexp_f32 v2, v2, v3
	v_cndmask_b32_e32 v2, 0, v2, vcc
	v_mov_b32_e32 v3, 0x7f800000
	v_cmp_ngt_f32_e32 vcc, s5, v1
	s_nop 1
	v_cndmask_b32_e32 v2, v3, v2, vcc
	v_add_f32_e32 v2, 1.0, v2
	v_div_scale_f32 v3, s[10:11], v2, v2, v1
	v_rcp_f32_e32 v4, v3
	s_nop 0
	v_fma_f32 v5, -v3, v4, 1.0
	v_fmac_f32_e32 v4, v5, v4
	v_div_scale_f32 v5, vcc, v1, v2, v1
	v_mul_f32_e32 v6, v5, v4
	v_fma_f32 v7, -v3, v6, v5
	v_fmac_f32_e32 v6, v7, v4
	v_fma_f32 v3, -v3, v6, v5
	v_div_fmas_f32 v3, v3, v4, v6
	v_div_fixup_f32 v2, v3, v2, v1
	v_mul_f32_e32 v2, v0, v2
.LBB63_37:
	s_branch .LBB63_39
.LBB63_38:
	s_cmp_lg_u32 s3, 1
	s_mov_b64 s[6:7], -1
	s_cselect_b64 s[8:9], -1, 0
                                        ; implicit-def: $vgpr2
.LBB63_39:
	s_andn2_b64 vcc, exec, s[8:9]
	s_cbranch_vccz .LBB63_41
; %bb.40:
	s_andn2_b64 vcc, exec, s[6:7]
	s_cbranch_vccz .LBB63_42
	s_branch .LBB63_47
.LBB63_41:
	v_mul_f32_e32 v2, v0, v1
	s_cbranch_execnz .LBB63_47
.LBB63_42:
	v_mul_f32_e32 v3, 0x3d372713, v1
	v_mul_f32_e32 v2, 0x3f4c422a, v1
	v_fma_f32 v3, v1, v3, 1.0
	v_mul_f32_e32 v2, v2, v3
	s_mov_b32 s3, 0x3f200000
	v_cmp_nlt_f32_e64 s[6:7], |v2|, s3
                                        ; implicit-def: $vgpr3
	s_and_saveexec_b64 s[8:9], s[6:7]
	s_xor_b64 s[6:7], exec, s[8:9]
	s_cbranch_execz .LBB63_44
; %bb.43:
	v_add_f32_e64 v3, |v2|, |v2|
	v_mul_f32_e32 v4, 0x3fb8aa3b, v3
	s_mov_b32 s3, 0x3fb8aa3b
	v_rndne_f32_e32 v5, v4
	v_sub_f32_e32 v6, v4, v5
	v_fma_f32 v4, v3, s3, -v4
	v_fmamk_f32 v4, v3, 0x32a5705f, v4
	v_add_f32_e32 v4, v6, v4
	v_exp_f32_e32 v4, v4
	v_cvt_i32_f32_e32 v5, v5
	s_mov_b32 s3, 0xc2ce8ed0
	v_cmp_ngt_f32_e32 vcc, s3, v3
	s_mov_b32 s3, 0x42b17218
	v_ldexp_f32 v4, v4, v5
	v_cndmask_b32_e32 v4, 0, v4, vcc
	v_mov_b32_e32 v5, 0x7f800000
	v_cmp_nlt_f32_e32 vcc, s3, v3
	s_nop 1
	v_cndmask_b32_e32 v3, v5, v4, vcc
	v_add_f32_e32 v3, 1.0, v3
	v_rcp_f32_e32 v3, v3
	s_nop 0
	v_fma_f32 v3, v3, -2.0, 1.0
.LBB63_44:
	s_andn2_saveexec_b64 s[6:7], s[6:7]
; %bb.45:
	v_mul_f32_e32 v3, v2, v2
	v_mov_b32_e32 v4, 0x3ca908c9
	v_fmac_f32_e32 v4, 0xbbbac73d, v3
	v_fmaak_f32 v4, v3, v4, 0xbd5c1c4e
	v_fmaak_f32 v4, v3, v4, 0x3e088382
	;; [unrolled: 1-line block ×3, first 2 shown]
	v_mul_f32_e64 v4, |v2|, v4
	v_fma_f32 v3, v3, v4, |v2|
; %bb.46:
	s_or_b64 exec, exec, s[6:7]
	s_brev_b32 s3, -2
	v_bfi_b32 v2, s3, v3, v2
	v_mul_f32_e32 v1, 0.5, v1
	v_add_f32_e32 v2, 1.0, v2
	v_mul_f32_e32 v1, v1, v2
	v_mul_f32_e32 v2, v0, v1
.LBB63_47:
	v_mov_b32_e32 v0, v2
.LBB63_48:
	s_load_dwordx2 s[0:1], s[0:1], 0x38
	s_mul_i32 s3, s14, s26
	s_mul_i32 s4, s4, s30
	s_add_i32 s2, s3, s2
	s_add_i32 s2, s2, s4
	s_mov_b32 s3, 0
	s_lshl_b64 s[2:3], s[2:3], 2
	s_waitcnt lgkmcnt(0)
	s_add_u32 s0, s0, s2
	s_addc_u32 s1, s1, s3
	global_store_dword v10, v0, s[0:1]
.LBB63_49:
	s_endpgm
	.section	.rodata,"a",@progbits
	.p2align	6, 0x0
	.amdhsa_kernel _ZL13mul_mat_vec_qIL9ggml_type8ELi1ELb1ELb0EEvPKvS2_PKi31ggml_cuda_mm_fusion_args_devicePfj15HIP_vector_typeIjLj3EEjjjS8_jjjS8_jjjj
		.amdhsa_group_segment_fixed_size 512
		.amdhsa_private_segment_fixed_size 0
		.amdhsa_kernarg_size 144
		.amdhsa_user_sgpr_count 2
		.amdhsa_user_sgpr_dispatch_ptr 0
		.amdhsa_user_sgpr_queue_ptr 0
		.amdhsa_user_sgpr_kernarg_segment_ptr 1
		.amdhsa_user_sgpr_dispatch_id 0
		.amdhsa_user_sgpr_kernarg_preload_length 0
		.amdhsa_user_sgpr_kernarg_preload_offset 0
		.amdhsa_user_sgpr_private_segment_size 0
		.amdhsa_uses_dynamic_stack 0
		.amdhsa_enable_private_segment 0
		.amdhsa_system_sgpr_workgroup_id_x 1
		.amdhsa_system_sgpr_workgroup_id_y 1
		.amdhsa_system_sgpr_workgroup_id_z 1
		.amdhsa_system_sgpr_workgroup_info 0
		.amdhsa_system_vgpr_workitem_id 1
		.amdhsa_next_free_vgpr 27
		.amdhsa_next_free_sgpr 44
		.amdhsa_accum_offset 28
		.amdhsa_reserve_vcc 1
		.amdhsa_float_round_mode_32 0
		.amdhsa_float_round_mode_16_64 0
		.amdhsa_float_denorm_mode_32 3
		.amdhsa_float_denorm_mode_16_64 3
		.amdhsa_dx10_clamp 1
		.amdhsa_ieee_mode 1
		.amdhsa_fp16_overflow 0
		.amdhsa_tg_split 0
		.amdhsa_exception_fp_ieee_invalid_op 0
		.amdhsa_exception_fp_denorm_src 0
		.amdhsa_exception_fp_ieee_div_zero 0
		.amdhsa_exception_fp_ieee_overflow 0
		.amdhsa_exception_fp_ieee_underflow 0
		.amdhsa_exception_fp_ieee_inexact 0
		.amdhsa_exception_int_div_zero 0
	.end_amdhsa_kernel
	.section	.text._ZL13mul_mat_vec_qIL9ggml_type8ELi1ELb1ELb0EEvPKvS2_PKi31ggml_cuda_mm_fusion_args_devicePfj15HIP_vector_typeIjLj3EEjjjS8_jjjS8_jjjj,"axG",@progbits,_ZL13mul_mat_vec_qIL9ggml_type8ELi1ELb1ELb0EEvPKvS2_PKi31ggml_cuda_mm_fusion_args_devicePfj15HIP_vector_typeIjLj3EEjjjS8_jjjS8_jjjj,comdat
.Lfunc_end63:
	.size	_ZL13mul_mat_vec_qIL9ggml_type8ELi1ELb1ELb0EEvPKvS2_PKi31ggml_cuda_mm_fusion_args_devicePfj15HIP_vector_typeIjLj3EEjjjS8_jjjS8_jjjj, .Lfunc_end63-_ZL13mul_mat_vec_qIL9ggml_type8ELi1ELb1ELb0EEvPKvS2_PKi31ggml_cuda_mm_fusion_args_devicePfj15HIP_vector_typeIjLj3EEjjjS8_jjjS8_jjjj
                                        ; -- End function
	.section	.AMDGPU.csdata,"",@progbits
; Kernel info:
; codeLenInByte = 2232
; NumSgprs: 50
; NumVgprs: 27
; NumAgprs: 0
; TotalNumVgprs: 27
; ScratchSize: 0
; MemoryBound: 0
; FloatMode: 240
; IeeeMode: 1
; LDSByteSize: 512 bytes/workgroup (compile time only)
; SGPRBlocks: 6
; VGPRBlocks: 3
; NumSGPRsForWavesPerEU: 50
; NumVGPRsForWavesPerEU: 27
; AccumOffset: 28
; Occupancy: 8
; WaveLimiterHint : 0
; COMPUTE_PGM_RSRC2:SCRATCH_EN: 0
; COMPUTE_PGM_RSRC2:USER_SGPR: 2
; COMPUTE_PGM_RSRC2:TRAP_HANDLER: 0
; COMPUTE_PGM_RSRC2:TGID_X_EN: 1
; COMPUTE_PGM_RSRC2:TGID_Y_EN: 1
; COMPUTE_PGM_RSRC2:TGID_Z_EN: 1
; COMPUTE_PGM_RSRC2:TIDIG_COMP_CNT: 1
; COMPUTE_PGM_RSRC3_GFX90A:ACCUM_OFFSET: 6
; COMPUTE_PGM_RSRC3_GFX90A:TG_SPLIT: 0
	.section	.text._ZL13mul_mat_vec_qIL9ggml_type8ELi1ELb0ELb0EEvPKvS2_PKi31ggml_cuda_mm_fusion_args_devicePfj15HIP_vector_typeIjLj3EEjjjS8_jjjS8_jjjj,"axG",@progbits,_ZL13mul_mat_vec_qIL9ggml_type8ELi1ELb0ELb0EEvPKvS2_PKi31ggml_cuda_mm_fusion_args_devicePfj15HIP_vector_typeIjLj3EEjjjS8_jjjS8_jjjj,comdat
	.globl	_ZL13mul_mat_vec_qIL9ggml_type8ELi1ELb0ELb0EEvPKvS2_PKi31ggml_cuda_mm_fusion_args_devicePfj15HIP_vector_typeIjLj3EEjjjS8_jjjS8_jjjj ; -- Begin function _ZL13mul_mat_vec_qIL9ggml_type8ELi1ELb0ELb0EEvPKvS2_PKi31ggml_cuda_mm_fusion_args_devicePfj15HIP_vector_typeIjLj3EEjjjS8_jjjS8_jjjj
	.p2align	8
	.type	_ZL13mul_mat_vec_qIL9ggml_type8ELi1ELb0ELb0EEvPKvS2_PKi31ggml_cuda_mm_fusion_args_devicePfj15HIP_vector_typeIjLj3EEjjjS8_jjjS8_jjjj,@function
_ZL13mul_mat_vec_qIL9ggml_type8ELi1ELb0ELb0EEvPKvS2_PKi31ggml_cuda_mm_fusion_args_devicePfj15HIP_vector_typeIjLj3EEjjjS8_jjjS8_jjjj: ; @_ZL13mul_mat_vec_qIL9ggml_type8ELi1ELb0ELb0EEvPKvS2_PKi31ggml_cuda_mm_fusion_args_devicePfj15HIP_vector_typeIjLj3EEjjjS8_jjjS8_jjjj
; %bb.0:
	s_load_dwordx2 s[8:9], s[0:1], 0x10
	s_load_dwordx4 s[16:19], s[0:1], 0x40
	s_mov_b32 s20, s3
	s_mov_b64 s[12:13], 0
	s_waitcnt lgkmcnt(0)
	s_cmp_lg_u64 s[8:9], 0
	s_cselect_b64 s[6:7], -1, 0
	s_cmp_eq_u64 s[8:9], 0
	s_cbranch_scc1 .LBB64_5
; %bb.1:
	s_mov_b32 s21, 0
	s_lshl_b64 s[10:11], s[20:21], 2
	s_add_u32 s8, s8, s10
	s_addc_u32 s9, s9, s11
	s_load_dword s5, s[8:9], 0x0
	s_nop 0
	s_load_dwordx4 s[8:11], s[0:1], 0x68
	s_load_dword s21, s[0:1], 0x50
	s_andn2_b64 vcc, exec, s[12:13]
	s_cbranch_vccnz .LBB64_3
.LBB64_2:
	s_load_dwordx2 s[12:13], s[0:1], 0x5c
	s_waitcnt lgkmcnt(0)
	s_mul_hi_u32 s3, s12, s20
	s_add_i32 s3, s20, s3
	s_lshr_b32 s5, s3, s13
.LBB64_3:
	s_load_dword s22, s[0:1], 0x78
	s_andn2_b64 vcc, exec, s[6:7]
	s_cbranch_vccnz .LBB64_6
; %bb.4:
	s_mul_hi_u32 s3, s17, s20
	s_add_i32 s3, s20, s3
	s_lshr_b32 s3, s3, s18
	s_mul_i32 s3, s3, s19
	s_sub_i32 s23, s20, s3
	s_branch .LBB64_7
.LBB64_5:
                                        ; implicit-def: $sgpr5
	s_load_dwordx4 s[8:11], s[0:1], 0x68
	s_load_dword s21, s[0:1], 0x50
	s_branch .LBB64_2
.LBB64_6:
	s_mov_b32 s23, s20
.LBB64_7:
	s_load_dwordx4 s[12:15], s[0:1], 0x80
	v_bfe_u32 v8, v0, 10, 10
	v_and_b32_e32 v6, 0x3ff, v0
	v_lshl_add_u32 v2, v8, 6, v6
	s_lshr_b32 s3, s16, 5
	v_lshrrev_b32_e32 v9, 2, v2
	v_cmp_gt_u32_e32 vcc, s3, v9
	v_mov_b32_e32 v10, 0
	v_lshlrev_b32_e32 v7, 2, v6
	s_and_saveexec_b64 s[6:7], vcc
	s_cbranch_execz .LBB64_11
; %bb.8:
	s_waitcnt lgkmcnt(0)
	s_mul_i32 s5, s5, s8
	s_mul_hi_u32 s8, s11, s4
	s_load_dwordx4 s[16:19], s[0:1], 0x0
	s_add_i32 s8, s4, s8
	s_lshr_b32 s8, s8, s22
	s_mul_i32 s8, s8, s12
	s_mul_i32 s13, s4, s13
	;; [unrolled: 1-line block ×3, first 2 shown]
	s_add_i32 s5, s8, s5
	s_add_i32 s5, s5, s15
	s_mul_hi_u32 s8, s13, 36
	s_mul_i32 s13, s13, 36
	s_mul_i32 s9, s23, s9
	s_waitcnt lgkmcnt(0)
	s_add_u32 s12, s18, s13
	s_mul_hi_u32 s11, s9, 36
	s_mul_i32 s9, s9, 36
	s_addc_u32 s13, s19, s8
	s_add_u32 s8, s12, s9
	v_lshrrev_b32_e32 v2, 2, v2
	s_addc_u32 s9, s13, s11
	v_and_b32_e32 v4, 12, v7
	v_mov_b32_e32 v1, 0
	v_and_b32_e32 v0, 3, v6
	v_mad_u64_u32 v[2:3], s[8:9], v2, 36, s[8:9]
	v_lshlrev_b32_e32 v0, 3, v0
	s_mov_b64 s[8:9], 0
	v_lshlrev_b32_e32 v4, 1, v4
	v_mov_b32_e32 v5, v1
	s_mov_b64 s[12:13], 0x480
	v_mov_b32_e32 v10, v1
.LBB64_9:                               ; =>This Inner Loop Header: Depth=1
	v_add_u32_e32 v11, s5, v9
	v_lshl_add_u64 v[12:13], v[2:3], 0, v[0:1]
	v_mad_i64_i32 v[14:15], s[18:19], v11, 34, s[16:17]
	global_load_dwordx2 v[16:17], v[12:13], off offset:4
	global_load_dword v11, v[2:3], off
	v_lshl_add_u64 v[12:13], v[14:15], 0, v[4:5]
	global_load_dword v18, v[12:13], off offset:6
	global_load_dword v19, v[12:13], off offset:2
	global_load_ushort v20, v[14:15], off
	v_mov_b32_e32 v12, 0
	v_add_u32_e32 v9, 32, v9
	v_cmp_le_u32_e32 vcc, s3, v9
	v_lshl_add_u64 v[2:3], v[2:3], 0, s[12:13]
	s_or_b64 s[8:9], vcc, s[8:9]
	s_waitcnt vmcnt(3)
	v_cvt_f32_f16_e32 v11, v11
	s_waitcnt vmcnt(1)
	v_dot4c_i32_i8_e32 v12, v19, v16
	s_waitcnt vmcnt(0)
	v_cvt_f32_f16_e32 v13, v20
	v_dot4c_i32_i8_e32 v12, v18, v17
	v_mul_f32_e32 v11, v13, v11
	s_nop 1
	v_cvt_f32_i32_e32 v12, v12
	v_fmac_f32_e32 v10, v11, v12
	s_andn2_b64 exec, exec, s[8:9]
	s_cbranch_execnz .LBB64_9
; %bb.10:
	s_or_b64 exec, exec, s[8:9]
.LBB64_11:
	s_or_b64 exec, exec, s[6:7]
	v_cmp_eq_u32_e32 vcc, 0, v8
	v_cmp_ne_u32_e64 s[6:7], 0, v8
	s_waitcnt lgkmcnt(0)
	s_and_saveexec_b64 s[8:9], s[6:7]
	s_cbranch_execz .LBB64_13
; %bb.12:
	v_lshlrev_b32_e32 v0, 8, v8
	s_movk_i32 s3, 0xff00
	v_add3_u32 v0, v0, v7, s3
	ds_write_b32 v0, v10
.LBB64_13:
	s_or_b64 exec, exec, s[8:9]
	s_waitcnt lgkmcnt(0)
	s_barrier
	s_and_saveexec_b64 s[6:7], vcc
	s_cbranch_execz .LBB64_16
; %bb.14:
	v_mbcnt_lo_u32_b32 v1, -1, 0
	ds_read_b32 v0, v7
	v_mbcnt_hi_u32_b32 v1, -1, v1
	v_and_b32_e32 v2, 64, v1
	v_add_u32_e32 v2, 64, v2
	v_xor_b32_e32 v3, 32, v1
	v_cmp_lt_i32_e32 vcc, v3, v2
	s_waitcnt lgkmcnt(0)
	v_add_f32_e32 v0, v10, v0
	s_mov_b32 s3, 0
	v_cndmask_b32_e32 v3, v1, v3, vcc
	v_lshlrev_b32_e32 v3, 2, v3
	ds_bpermute_b32 v3, v3, v0
	s_waitcnt lgkmcnt(0)
	v_add_f32_e32 v0, v0, v3
	v_xor_b32_e32 v3, 16, v1
	v_cmp_lt_i32_e32 vcc, v3, v2
	s_nop 1
	v_cndmask_b32_e32 v3, v1, v3, vcc
	v_lshlrev_b32_e32 v3, 2, v3
	ds_bpermute_b32 v3, v3, v0
	s_waitcnt lgkmcnt(0)
	v_add_f32_e32 v0, v0, v3
	v_xor_b32_e32 v3, 8, v1
	v_cmp_lt_i32_e32 vcc, v3, v2
	s_nop 1
	;; [unrolled: 8-line block ×5, first 2 shown]
	v_cndmask_b32_e32 v1, v1, v3, vcc
	v_lshlrev_b32_e32 v1, 2, v1
	ds_bpermute_b32 v1, v1, v0
	v_cmp_eq_u32_e32 vcc, 0, v6
	s_and_b64 exec, exec, vcc
	s_cbranch_execz .LBB64_16
; %bb.15:
	s_load_dwordx2 s[0:1], s[0:1], 0x38
	s_mul_i32 s5, s20, s10
	s_mul_i32 s4, s4, s14
	s_add_i32 s2, s5, s2
	s_add_i32 s2, s2, s4
	s_lshl_b64 s[2:3], s[2:3], 2
	s_waitcnt lgkmcnt(0)
	s_add_u32 s0, s0, s2
	s_addc_u32 s1, s1, s3
	v_mov_b32_e32 v2, 0
	v_add_f32_e32 v0, v0, v1
	global_store_dword v2, v0, s[0:1]
.LBB64_16:
	s_endpgm
	.section	.rodata,"a",@progbits
	.p2align	6, 0x0
	.amdhsa_kernel _ZL13mul_mat_vec_qIL9ggml_type8ELi1ELb0ELb0EEvPKvS2_PKi31ggml_cuda_mm_fusion_args_devicePfj15HIP_vector_typeIjLj3EEjjjS8_jjjS8_jjjj
		.amdhsa_group_segment_fixed_size 256
		.amdhsa_private_segment_fixed_size 0
		.amdhsa_kernarg_size 144
		.amdhsa_user_sgpr_count 2
		.amdhsa_user_sgpr_dispatch_ptr 0
		.amdhsa_user_sgpr_queue_ptr 0
		.amdhsa_user_sgpr_kernarg_segment_ptr 1
		.amdhsa_user_sgpr_dispatch_id 0
		.amdhsa_user_sgpr_kernarg_preload_length 0
		.amdhsa_user_sgpr_kernarg_preload_offset 0
		.amdhsa_user_sgpr_private_segment_size 0
		.amdhsa_uses_dynamic_stack 0
		.amdhsa_enable_private_segment 0
		.amdhsa_system_sgpr_workgroup_id_x 1
		.amdhsa_system_sgpr_workgroup_id_y 1
		.amdhsa_system_sgpr_workgroup_id_z 1
		.amdhsa_system_sgpr_workgroup_info 0
		.amdhsa_system_vgpr_workitem_id 1
		.amdhsa_next_free_vgpr 21
		.amdhsa_next_free_sgpr 24
		.amdhsa_accum_offset 24
		.amdhsa_reserve_vcc 1
		.amdhsa_float_round_mode_32 0
		.amdhsa_float_round_mode_16_64 0
		.amdhsa_float_denorm_mode_32 3
		.amdhsa_float_denorm_mode_16_64 3
		.amdhsa_dx10_clamp 1
		.amdhsa_ieee_mode 1
		.amdhsa_fp16_overflow 0
		.amdhsa_tg_split 0
		.amdhsa_exception_fp_ieee_invalid_op 0
		.amdhsa_exception_fp_denorm_src 0
		.amdhsa_exception_fp_ieee_div_zero 0
		.amdhsa_exception_fp_ieee_overflow 0
		.amdhsa_exception_fp_ieee_underflow 0
		.amdhsa_exception_fp_ieee_inexact 0
		.amdhsa_exception_int_div_zero 0
	.end_amdhsa_kernel
	.section	.text._ZL13mul_mat_vec_qIL9ggml_type8ELi1ELb0ELb0EEvPKvS2_PKi31ggml_cuda_mm_fusion_args_devicePfj15HIP_vector_typeIjLj3EEjjjS8_jjjS8_jjjj,"axG",@progbits,_ZL13mul_mat_vec_qIL9ggml_type8ELi1ELb0ELb0EEvPKvS2_PKi31ggml_cuda_mm_fusion_args_devicePfj15HIP_vector_typeIjLj3EEjjjS8_jjjS8_jjjj,comdat
.Lfunc_end64:
	.size	_ZL13mul_mat_vec_qIL9ggml_type8ELi1ELb0ELb0EEvPKvS2_PKi31ggml_cuda_mm_fusion_args_devicePfj15HIP_vector_typeIjLj3EEjjjS8_jjjS8_jjjj, .Lfunc_end64-_ZL13mul_mat_vec_qIL9ggml_type8ELi1ELb0ELb0EEvPKvS2_PKi31ggml_cuda_mm_fusion_args_devicePfj15HIP_vector_typeIjLj3EEjjjS8_jjjS8_jjjj
                                        ; -- End function
	.section	.AMDGPU.csdata,"",@progbits
; Kernel info:
; codeLenInByte = 924
; NumSgprs: 30
; NumVgprs: 21
; NumAgprs: 0
; TotalNumVgprs: 21
; ScratchSize: 0
; MemoryBound: 0
; FloatMode: 240
; IeeeMode: 1
; LDSByteSize: 256 bytes/workgroup (compile time only)
; SGPRBlocks: 3
; VGPRBlocks: 2
; NumSGPRsForWavesPerEU: 30
; NumVGPRsForWavesPerEU: 21
; AccumOffset: 24
; Occupancy: 8
; WaveLimiterHint : 0
; COMPUTE_PGM_RSRC2:SCRATCH_EN: 0
; COMPUTE_PGM_RSRC2:USER_SGPR: 2
; COMPUTE_PGM_RSRC2:TRAP_HANDLER: 0
; COMPUTE_PGM_RSRC2:TGID_X_EN: 1
; COMPUTE_PGM_RSRC2:TGID_Y_EN: 1
; COMPUTE_PGM_RSRC2:TGID_Z_EN: 1
; COMPUTE_PGM_RSRC2:TIDIG_COMP_CNT: 1
; COMPUTE_PGM_RSRC3_GFX90A:ACCUM_OFFSET: 5
; COMPUTE_PGM_RSRC3_GFX90A:TG_SPLIT: 0
	.section	.text._ZL13mul_mat_vec_qIL9ggml_type8ELi2ELb0ELb0EEvPKvS2_PKi31ggml_cuda_mm_fusion_args_devicePfj15HIP_vector_typeIjLj3EEjjjS8_jjjS8_jjjj,"axG",@progbits,_ZL13mul_mat_vec_qIL9ggml_type8ELi2ELb0ELb0EEvPKvS2_PKi31ggml_cuda_mm_fusion_args_devicePfj15HIP_vector_typeIjLj3EEjjjS8_jjjS8_jjjj,comdat
	.globl	_ZL13mul_mat_vec_qIL9ggml_type8ELi2ELb0ELb0EEvPKvS2_PKi31ggml_cuda_mm_fusion_args_devicePfj15HIP_vector_typeIjLj3EEjjjS8_jjjS8_jjjj ; -- Begin function _ZL13mul_mat_vec_qIL9ggml_type8ELi2ELb0ELb0EEvPKvS2_PKi31ggml_cuda_mm_fusion_args_devicePfj15HIP_vector_typeIjLj3EEjjjS8_jjjS8_jjjj
	.p2align	8
	.type	_ZL13mul_mat_vec_qIL9ggml_type8ELi2ELb0ELb0EEvPKvS2_PKi31ggml_cuda_mm_fusion_args_devicePfj15HIP_vector_typeIjLj3EEjjjS8_jjjS8_jjjj,@function
_ZL13mul_mat_vec_qIL9ggml_type8ELi2ELb0ELb0EEvPKvS2_PKi31ggml_cuda_mm_fusion_args_devicePfj15HIP_vector_typeIjLj3EEjjjS8_jjjS8_jjjj: ; @_ZL13mul_mat_vec_qIL9ggml_type8ELi2ELb0ELb0EEvPKvS2_PKi31ggml_cuda_mm_fusion_args_devicePfj15HIP_vector_typeIjLj3EEjjjS8_jjjS8_jjjj
; %bb.0:
	s_load_dwordx2 s[20:21], s[0:1], 0x4
	s_load_dword s7, s[2:3], 0x40
	s_load_dwordx4 s[8:11], s[2:3], 0x50
	s_load_dword s25, s[2:3], 0x60
	s_load_dwordx4 s[12:15], s[2:3], 0x68
	;; [unrolled: 2-line block ×3, first 2 shown]
	s_waitcnt lgkmcnt(0)
	s_lshr_b32 s0, s20, 16
	v_bfe_u32 v14, v0, 10, 10
	v_and_b32_e32 v12, 0x3ff, v0
	s_mul_i32 s0, s0, s21
	v_mul_u32_u24_e32 v1, s21, v14
	v_mad_u32_u24 v1, s0, v12, v1
	v_bfe_u32 v0, v0, 20, 10
	v_lshl_add_u32 v6, v14, 6, v12
	v_add_lshl_u32 v4, v1, v0, 4
	s_lshr_b32 s7, s7, 5
	v_mov_b32_e32 v0, 0
	v_lshrrev_b32_e32 v15, 2, v6
	v_add_u32_e32 v13, 0x400, v4
	s_lshl_b32 s4, s4, 1
	v_mov_b32_e32 v1, v0
	v_mov_b32_e32 v2, v0
	;; [unrolled: 1-line block ×3, first 2 shown]
	v_cmp_gt_u32_e32 vcc, s7, v15
	ds_write_b128 v4, v[0:3] offset:1024
	s_and_saveexec_b64 s[0:1], vcc
	s_cbranch_execz .LBB65_4
; %bb.1:
	s_load_dwordx4 s[20:23], s[2:3], 0x0
	s_mul_i32 s17, s6, s17
	s_mul_hi_u32 s19, s17, 36
	s_mul_i32 s17, s17, 36
	s_mul_i32 s13, s5, s13
	s_waitcnt lgkmcnt(0)
	s_add_u32 s17, s22, s17
	s_addc_u32 s19, s23, s19
	s_mul_hi_u32 s23, s13, 36
	s_mul_i32 s13, s13, 36
	s_add_u32 s22, s17, s13
	s_mul_hi_u32 s11, s11, s5
	s_addc_u32 s23, s19, s23
	s_add_i32 s11, s5, s11
	s_lshr_b32 s11, s11, s25
	s_mul_i32 s11, s11, s12
	s_mul_hi_u32 s12, s15, s6
	s_add_i32 s12, s6, s12
	v_and_b32_e32 v1, 3, v12
	s_lshr_b32 s12, s12, s24
	v_lshlrev_b32_e32 v4, 3, v1
	v_lshrrev_b32_e32 v1, 2, v6
	s_mul_i32 s15, s12, s16
	v_lshlrev_b32_e32 v0, 1, v12
	v_mad_u64_u32 v[6:7], s[12:13], v1, 36, s[22:23]
	v_and_b32_e32 v0, 6, v0
	s_add_i32 s12, s4, 1
	v_lshlrev_b32_e32 v2, 1, v0
	v_mov_b32_e32 v5, 0
	s_mul_i32 s16, s4, s8
	s_add_i32 s11, s15, s11
	s_mul_i32 s8, s8, s12
	s_add_i32 s8, s11, s8
	s_add_i32 s11, s11, s16
	s_mov_b64 s[12:13], 0
	v_lshlrev_b32_e32 v8, 1, v2
	v_lshlrev_b32_e32 v10, 2, v0
	s_mov_b64 s[16:17], 0x480
	v_mov_b32_e32 v9, v5
	v_mov_b32_e32 v11, v5
	;; [unrolled: 1-line block ×6, first 2 shown]
.LBB65_2:                               ; =>This Inner Loop Header: Depth=1
	v_add_u32_e32 v18, s11, v15
	v_lshl_add_u64 v[16:17], v[6:7], 0, v[4:5]
	v_add_u32_e32 v20, s8, v15
	v_add_u32_e32 v22, s9, v15
	v_mad_i64_i32 v[18:19], s[24:25], v18, 34, s[20:21]
	global_load_dword v32, v[6:7], off
	v_mad_i64_i32 v[20:21], s[24:25], v20, 34, s[20:21]
	global_load_dwordx2 v[16:17], v[16:17], off offset:4
	v_mad_u64_u32 v[22:23], s[24:25], v22, 36, s[22:23]
	v_lshl_add_u64 v[24:25], v[18:19], 0, v[8:9]
	v_lshl_add_u64 v[26:27], v[20:21], 0, v[8:9]
	;; [unrolled: 1-line block ×3, first 2 shown]
	global_load_dword v33, v[24:25], off offset:2
	global_load_dword v34, v[26:27], off offset:6
	global_load_ushort v35, v[20:21], off
	global_load_dword v36, v[26:27], off offset:2
	global_load_dwordx2 v[30:31], v[28:29], off offset:4
	global_load_dword v37, v[24:25], off offset:6
	global_load_ushort v38, v[18:19], off
	global_load_dword v39, v[22:23], off
	v_mov_b32_e32 v19, 0
	v_mov_b32_e32 v20, 0
	;; [unrolled: 1-line block ×4, first 2 shown]
	v_add_u32_e32 v15, 32, v15
	v_cmp_le_u32_e32 vcc, s7, v15
	v_lshl_add_u64 v[6:7], v[6:7], 0, s[16:17]
	s_or_b64 s[12:13], vcc, s[12:13]
	s_waitcnt vmcnt(9)
	v_cvt_f32_f16_e32 v18, v32
	s_waitcnt vmcnt(7)
	v_dot4c_i32_i8_e32 v19, v33, v16
	s_waitcnt vmcnt(5)
	v_cvt_f32_f16_e32 v21, v35
	s_waitcnt vmcnt(4)
	v_dot4c_i32_i8_e32 v20, v36, v16
	s_waitcnt vmcnt(3)
	v_dot4c_i32_i8_e32 v24, v33, v30
	v_dot4c_i32_i8_e32 v25, v36, v30
	s_waitcnt vmcnt(1)
	v_cvt_f32_f16_e32 v22, v38
	s_waitcnt vmcnt(0)
	v_cvt_f32_f16_e32 v23, v39
	v_dot4c_i32_i8_e32 v19, v37, v17
	v_dot4c_i32_i8_e32 v20, v34, v17
	;; [unrolled: 1-line block ×4, first 2 shown]
	v_cvt_f32_i32_e32 v16, v19
	v_cvt_f32_i32_e32 v17, v20
	;; [unrolled: 1-line block ×4, first 2 shown]
	v_mov_b32_e32 v20, v22
	v_pk_mul_f32 v[18:19], v[20:21], v[18:19] op_sel_hi:[1,0]
	v_mov_b32_e32 v20, v23
	v_pk_fma_f32 v[2:3], v[18:19], v[16:17], v[2:3]
	v_pk_mul_f32 v[16:17], v[20:21], v[22:23]
	s_nop 0
	v_pk_fma_f32 v[0:1], v[16:17], v[24:25], v[0:1]
	s_andn2_b64 exec, exec, s[12:13]
	s_cbranch_execnz .LBB65_2
; %bb.3:
	s_or_b64 exec, exec, s[12:13]
	v_mov_b32_e32 v4, v0
	v_mov_b32_e32 v5, v1
	ds_write_b128 v13, v[2:5]
.LBB65_4:
	s_or_b64 exec, exec, s[0:1]
	v_cmp_eq_u32_e32 vcc, 0, v14
	v_cmp_ne_u32_e64 s[0:1], 0, v14
	v_lshlrev_b32_e32 v4, 2, v12
	s_and_saveexec_b64 s[8:9], s[0:1]
	s_cbranch_execz .LBB65_6
; %bb.5:
	v_lshl_or_b32 v5, v14, 10, v4
	v_add_u32_e32 v5, 0xfffffc00, v5
	ds_write2st64_b32 v5, v2, v3 offset1:1
	ds_write2st64_b32 v5, v0, v1 offset0:2 offset1:3
.LBB65_6:
	s_or_b64 exec, exec, s[8:9]
	s_waitcnt lgkmcnt(0)
	s_barrier
	s_and_saveexec_b64 s[0:1], vcc
	s_cbranch_execz .LBB65_11
; %bb.7:
	v_mbcnt_lo_u32_b32 v0, -1, 0
	v_mbcnt_hi_u32_b32 v14, -1, v0
	ds_read2st64_b32 v[2:3], v4 offset1:1
	ds_read_b64 v[6:7], v13
	v_and_b32_e32 v0, 64, v14
	v_add_u32_e32 v15, 64, v0
	v_xor_b32_e32 v0, 32, v14
	v_cmp_lt_i32_e32 vcc, v0, v15
	s_waitcnt lgkmcnt(0)
	v_pk_add_f32 v[2:3], v[2:3], v[6:7]
	v_xor_b32_e32 v1, 16, v14
	v_cndmask_b32_e32 v0, v14, v0, vcc
	v_lshlrev_b32_e32 v0, 2, v0
	ds_bpermute_b32 v6, v0, v2
	ds_bpermute_b32 v7, v0, v3
	v_cmp_lt_i32_e32 vcc, v1, v15
	v_xor_b32_e32 v5, 2, v14
	s_load_dwordx2 s[0:1], s[2:3], 0x38
	v_cndmask_b32_e32 v1, v14, v1, vcc
	v_lshlrev_b32_e32 v1, 2, v1
	s_waitcnt lgkmcnt(0)
	v_pk_add_f32 v[6:7], v[2:3], v[6:7]
	ds_bpermute_b32 v8, v1, v6
	ds_bpermute_b32 v9, v1, v7
	v_xor_b32_e32 v2, 8, v14
	v_cmp_lt_i32_e32 vcc, v2, v15
	v_xor_b32_e32 v3, 4, v14
	s_mul_i32 s2, s5, s14
	v_cndmask_b32_e32 v2, v14, v2, vcc
	v_lshlrev_b32_e32 v2, 2, v2
	s_waitcnt lgkmcnt(0)
	v_pk_add_f32 v[6:7], v[6:7], v[8:9]
	ds_bpermute_b32 v8, v2, v6
	ds_bpermute_b32 v9, v2, v7
	v_cmp_lt_i32_e32 vcc, v3, v15
	s_mul_i32 s6, s6, s18
	s_add_i32 s2, s2, s4
	v_cndmask_b32_e32 v3, v14, v3, vcc
	v_lshlrev_b32_e32 v3, 2, v3
	s_waitcnt lgkmcnt(0)
	v_pk_add_f32 v[6:7], v[6:7], v[8:9]
	ds_bpermute_b32 v8, v3, v6
	ds_bpermute_b32 v9, v3, v7
	v_cmp_lt_i32_e32 vcc, v5, v15
	s_add_i32 s2, s2, s6
	s_mov_b32 s3, 0
	v_cndmask_b32_e32 v5, v14, v5, vcc
	v_lshlrev_b32_e32 v5, 2, v5
	s_waitcnt lgkmcnt(0)
	v_pk_add_f32 v[8:9], v[6:7], v[8:9]
	ds_bpermute_b32 v10, v5, v8
	ds_bpermute_b32 v11, v5, v9
	v_xor_b32_e32 v6, 1, v14
	v_cmp_lt_i32_e32 vcc, v6, v15
	s_lshl_b64 s[2:3], s[2:3], 2
	s_add_u32 s2, s0, s2
	v_cndmask_b32_e32 v6, v14, v6, vcc
	v_lshlrev_b32_e32 v6, 2, v6
	s_waitcnt lgkmcnt(0)
	v_pk_add_f32 v[8:9], v[8:9], v[10:11]
	ds_bpermute_b32 v10, v6, v8
	ds_bpermute_b32 v11, v6, v9
	v_or_b32_e32 v7, s4, v12
	s_addc_u32 s3, s1, s3
	v_cmp_gt_u32_e32 vcc, 2, v12
	v_cmp_gt_u32_e64 s[0:1], s10, v7
	s_and_b64 s[0:1], vcc, s[0:1]
	s_waitcnt lgkmcnt(0)
	v_pk_add_f32 v[8:9], v[8:9], v[10:11]
	ds_write_b64 v13, v[8:9]
	s_and_saveexec_b64 s[4:5], s[0:1]
	s_cbranch_execz .LBB65_9
; %bb.8:
	v_add_u32_e32 v7, v13, v4
	ds_read_b32 v7, v7
	s_waitcnt lgkmcnt(0)
	global_store_dword v4, v7, s[2:3]
.LBB65_9:
	s_or_b64 exec, exec, s[4:5]
	ds_read2st64_b32 v[8:9], v4 offset0:2 offset1:3
	ds_read_b64 v[10:11], v13 offset:8
	s_waitcnt lgkmcnt(0)
	v_pk_add_f32 v[8:9], v[8:9], v[10:11]
	ds_bpermute_b32 v10, v0, v8
	ds_bpermute_b32 v11, v0, v9
	s_waitcnt lgkmcnt(0)
	v_pk_add_f32 v[8:9], v[8:9], v[10:11]
	ds_bpermute_b32 v0, v1, v8
	ds_bpermute_b32 v1, v1, v9
	;; [unrolled: 4-line block ×6, first 2 shown]
	s_waitcnt lgkmcnt(0)
	v_pk_add_f32 v[0:1], v[0:1], v[2:3]
	ds_write_b64 v13, v[0:1] offset:8
	s_and_b64 exec, exec, s[0:1]
	s_cbranch_execz .LBB65_11
; %bb.10:
	v_lshl_add_u32 v0, v12, 2, v13
	ds_read_b32 v2, v0 offset:8
	v_add_u32_e32 v0, s10, v12
	v_mov_b32_e32 v1, 0
	v_lshl_add_u64 v[0:1], v[0:1], 2, s[2:3]
	s_waitcnt lgkmcnt(0)
	global_store_dword v[0:1], v2, off
.LBB65_11:
	s_endpgm
	.section	.rodata,"a",@progbits
	.p2align	6, 0x0
	.amdhsa_kernel _ZL13mul_mat_vec_qIL9ggml_type8ELi2ELb0ELb0EEvPKvS2_PKi31ggml_cuda_mm_fusion_args_devicePfj15HIP_vector_typeIjLj3EEjjjS8_jjjS8_jjjj
		.amdhsa_group_segment_fixed_size 3072
		.amdhsa_private_segment_fixed_size 0
		.amdhsa_kernarg_size 144
		.amdhsa_user_sgpr_count 4
		.amdhsa_user_sgpr_dispatch_ptr 1
		.amdhsa_user_sgpr_queue_ptr 0
		.amdhsa_user_sgpr_kernarg_segment_ptr 1
		.amdhsa_user_sgpr_dispatch_id 0
		.amdhsa_user_sgpr_kernarg_preload_length 0
		.amdhsa_user_sgpr_kernarg_preload_offset 0
		.amdhsa_user_sgpr_private_segment_size 0
		.amdhsa_uses_dynamic_stack 0
		.amdhsa_enable_private_segment 0
		.amdhsa_system_sgpr_workgroup_id_x 1
		.amdhsa_system_sgpr_workgroup_id_y 1
		.amdhsa_system_sgpr_workgroup_id_z 1
		.amdhsa_system_sgpr_workgroup_info 0
		.amdhsa_system_vgpr_workitem_id 2
		.amdhsa_next_free_vgpr 40
		.amdhsa_next_free_sgpr 26
		.amdhsa_accum_offset 40
		.amdhsa_reserve_vcc 1
		.amdhsa_float_round_mode_32 0
		.amdhsa_float_round_mode_16_64 0
		.amdhsa_float_denorm_mode_32 3
		.amdhsa_float_denorm_mode_16_64 3
		.amdhsa_dx10_clamp 1
		.amdhsa_ieee_mode 1
		.amdhsa_fp16_overflow 0
		.amdhsa_tg_split 0
		.amdhsa_exception_fp_ieee_invalid_op 0
		.amdhsa_exception_fp_denorm_src 0
		.amdhsa_exception_fp_ieee_div_zero 0
		.amdhsa_exception_fp_ieee_overflow 0
		.amdhsa_exception_fp_ieee_underflow 0
		.amdhsa_exception_fp_ieee_inexact 0
		.amdhsa_exception_int_div_zero 0
	.end_amdhsa_kernel
	.section	.text._ZL13mul_mat_vec_qIL9ggml_type8ELi2ELb0ELb0EEvPKvS2_PKi31ggml_cuda_mm_fusion_args_devicePfj15HIP_vector_typeIjLj3EEjjjS8_jjjS8_jjjj,"axG",@progbits,_ZL13mul_mat_vec_qIL9ggml_type8ELi2ELb0ELb0EEvPKvS2_PKi31ggml_cuda_mm_fusion_args_devicePfj15HIP_vector_typeIjLj3EEjjjS8_jjjS8_jjjj,comdat
.Lfunc_end65:
	.size	_ZL13mul_mat_vec_qIL9ggml_type8ELi2ELb0ELb0EEvPKvS2_PKi31ggml_cuda_mm_fusion_args_devicePfj15HIP_vector_typeIjLj3EEjjjS8_jjjS8_jjjj, .Lfunc_end65-_ZL13mul_mat_vec_qIL9ggml_type8ELi2ELb0ELb0EEvPKvS2_PKi31ggml_cuda_mm_fusion_args_devicePfj15HIP_vector_typeIjLj3EEjjjS8_jjjS8_jjjj
                                        ; -- End function
	.section	.AMDGPU.csdata,"",@progbits
; Kernel info:
; codeLenInByte = 1472
; NumSgprs: 32
; NumVgprs: 40
; NumAgprs: 0
; TotalNumVgprs: 40
; ScratchSize: 0
; MemoryBound: 0
; FloatMode: 240
; IeeeMode: 1
; LDSByteSize: 3072 bytes/workgroup (compile time only)
; SGPRBlocks: 3
; VGPRBlocks: 4
; NumSGPRsForWavesPerEU: 32
; NumVGPRsForWavesPerEU: 40
; AccumOffset: 40
; Occupancy: 8
; WaveLimiterHint : 0
; COMPUTE_PGM_RSRC2:SCRATCH_EN: 0
; COMPUTE_PGM_RSRC2:USER_SGPR: 4
; COMPUTE_PGM_RSRC2:TRAP_HANDLER: 0
; COMPUTE_PGM_RSRC2:TGID_X_EN: 1
; COMPUTE_PGM_RSRC2:TGID_Y_EN: 1
; COMPUTE_PGM_RSRC2:TGID_Z_EN: 1
; COMPUTE_PGM_RSRC2:TIDIG_COMP_CNT: 2
; COMPUTE_PGM_RSRC3_GFX90A:ACCUM_OFFSET: 9
; COMPUTE_PGM_RSRC3_GFX90A:TG_SPLIT: 0
	.section	.text._ZL13mul_mat_vec_qIL9ggml_type8ELi3ELb0ELb0EEvPKvS2_PKi31ggml_cuda_mm_fusion_args_devicePfj15HIP_vector_typeIjLj3EEjjjS8_jjjS8_jjjj,"axG",@progbits,_ZL13mul_mat_vec_qIL9ggml_type8ELi3ELb0ELb0EEvPKvS2_PKi31ggml_cuda_mm_fusion_args_devicePfj15HIP_vector_typeIjLj3EEjjjS8_jjjS8_jjjj,comdat
	.globl	_ZL13mul_mat_vec_qIL9ggml_type8ELi3ELb0ELb0EEvPKvS2_PKi31ggml_cuda_mm_fusion_args_devicePfj15HIP_vector_typeIjLj3EEjjjS8_jjjS8_jjjj ; -- Begin function _ZL13mul_mat_vec_qIL9ggml_type8ELi3ELb0ELb0EEvPKvS2_PKi31ggml_cuda_mm_fusion_args_devicePfj15HIP_vector_typeIjLj3EEjjjS8_jjjS8_jjjj
	.p2align	8
	.type	_ZL13mul_mat_vec_qIL9ggml_type8ELi3ELb0ELb0EEvPKvS2_PKi31ggml_cuda_mm_fusion_args_devicePfj15HIP_vector_typeIjLj3EEjjjS8_jjjS8_jjjj,@function
_ZL13mul_mat_vec_qIL9ggml_type8ELi3ELb0ELb0EEvPKvS2_PKi31ggml_cuda_mm_fusion_args_devicePfj15HIP_vector_typeIjLj3EEjjjS8_jjjS8_jjjj: ; @_ZL13mul_mat_vec_qIL9ggml_type8ELi3ELb0ELb0EEvPKvS2_PKi31ggml_cuda_mm_fusion_args_devicePfj15HIP_vector_typeIjLj3EEjjjS8_jjjS8_jjjj
; %bb.0:
	v_bfe_u32 v15, v0, 10, 10
	v_and_b32_e32 v14, 0x3ff, v0
	v_lshl_add_u32 v8, v15, 6, v14
	s_load_dword s6, s[0:1], 0x40
	s_load_dwordx4 s[8:11], s[0:1], 0x50
	s_load_dword s25, s[0:1], 0x60
	s_load_dwordx4 s[12:15], s[0:1], 0x68
	;; [unrolled: 2-line block ×3, first 2 shown]
	s_lshl_b32 s5, s2, 1
	s_waitcnt lgkmcnt(0)
	s_lshr_b32 s2, s6, 5
	v_mov_b32_e32 v0, 0
	v_lshrrev_b32_e32 v16, 2, v8
	v_mov_b32_e32 v1, v0
	v_mov_b32_e32 v2, v0
	;; [unrolled: 1-line block ×3, first 2 shown]
	v_cmp_gt_u32_e32 vcc, s2, v16
	v_mov_b32_e32 v7, v0
	v_mov_b32_e32 v6, v0
	scratch_store_dwordx2 off, v[0:1], off offset:16
	scratch_store_dwordx4 off, v[0:3], off
	s_and_saveexec_b64 s[6:7], vcc
	s_cbranch_execz .LBB66_4
; %bb.1:
	s_load_dwordx4 s[20:23], s[0:1], 0x0
	s_mul_i32 s17, s4, s17
	s_mul_hi_u32 s19, s17, 36
	s_mul_i32 s17, s17, 36
	s_mul_i32 s13, s3, s13
	s_waitcnt lgkmcnt(0)
	s_add_u32 s17, s22, s17
	s_addc_u32 s19, s23, s19
	s_mul_hi_u32 s23, s13, 36
	s_mul_i32 s13, s13, 36
	s_add_u32 s22, s17, s13
	s_mul_hi_u32 s11, s11, s3
	s_addc_u32 s23, s19, s23
	s_add_i32 s11, s3, s11
	s_lshr_b32 s11, s11, s25
	s_mul_i32 s17, s11, s12
	s_mul_hi_u32 s11, s15, s4
	v_and_b32_e32 v1, 3, v14
	s_add_i32 s11, s4, s11
	v_lshlrev_b32_e32 v4, 3, v1
	v_lshrrev_b32_e32 v1, 2, v8
	s_lshr_b32 s11, s11, s24
	v_lshlrev_b32_e32 v0, 1, v14
	v_mad_u64_u32 v[8:9], s[12:13], v1, 36, s[22:23]
	s_mul_i32 s15, s11, s16
	v_and_b32_e32 v0, 6, v0
	s_add_i32 s12, s5, 1
	v_lshlrev_b32_e32 v2, 1, v0
	v_mov_b32_e32 v5, 0
	s_mul_i32 s16, s5, s8
	s_add_i32 s15, s15, s17
	s_mul_i32 s8, s8, s12
	s_lshl_b32 s11, s9, 1
	s_add_i32 s8, s15, s8
	s_add_i32 s15, s15, s16
	s_mov_b64 s[12:13], 0
	v_lshlrev_b32_e32 v10, 1, v2
	v_lshlrev_b32_e32 v12, 2, v0
	s_mov_b64 s[16:17], 0x480
	v_mov_b32_e32 v11, v5
	v_mov_b32_e32 v13, v5
	v_mov_b32_e32 v6, v5
	v_mov_b32_e32 v7, v5
	v_mov_b32_e32 v0, v5
	v_mov_b32_e32 v1, v5
	v_mov_b32_e32 v2, v5
	v_mov_b32_e32 v3, v5
.LBB66_2:                               ; =>This Inner Loop Header: Depth=1
	v_add_u32_e32 v17, s15, v16
	v_add_u32_e32 v22, s8, v16
	;; [unrolled: 1-line block ×4, first 2 shown]
	v_mad_i64_i32 v[20:21], s[24:25], v17, 34, s[20:21]
	v_mad_i64_i32 v[22:23], s[24:25], v22, 34, s[20:21]
	v_mad_u64_u32 v[24:25], s[24:25], v24, 36, s[22:23]
	v_mad_u64_u32 v[26:27], s[24:25], v26, 36, s[22:23]
	v_lshl_add_u64 v[28:29], v[20:21], 0, v[10:11]
	v_lshl_add_u64 v[18:19], v[8:9], 0, v[4:5]
	global_load_dword v42, v[8:9], off
	v_lshl_add_u64 v[30:31], v[22:23], 0, v[10:11]
	v_lshl_add_u64 v[32:33], v[24:25], 0, v[12:13]
	;; [unrolled: 1-line block ×3, first 2 shown]
	global_load_dword v17, v[28:29], off offset:6
	global_load_dword v43, v[30:31], off offset:6
	;; [unrolled: 1-line block ×3, first 2 shown]
	global_load_ushort v45, v[22:23], off
	global_load_dword v46, v[28:29], off offset:2
	global_load_ushort v47, v[20:21], off
	global_load_dwordx2 v[36:37], v[34:35], off offset:4
	global_load_dword v48, v[26:27], off
	global_load_dwordx2 v[38:39], v[32:33], off offset:4
	global_load_dword v49, v[24:25], off
	global_load_dwordx2 v[40:41], v[18:19], off offset:4
	v_mov_b32_e32 v19, 0
	v_mov_b32_e32 v28, 0
	;; [unrolled: 1-line block ×6, first 2 shown]
	v_add_u32_e32 v16, 32, v16
	v_cmp_le_u32_e32 vcc, s2, v16
	v_lshl_add_u64 v[8:9], v[8:9], 0, s[16:17]
	s_or_b64 s[12:13], vcc, s[12:13]
	s_waitcnt vmcnt(7)
	v_cvt_f32_f16_e32 v21, v45
	s_waitcnt vmcnt(5)
	v_cvt_f32_f16_e32 v22, v47
	s_waitcnt vmcnt(4)
	v_dot4c_i32_i8_e32 v28, v44, v36
	v_dot4c_i32_i8_e32 v28, v43, v37
	v_cvt_f32_f16_e32 v18, v42
	s_waitcnt vmcnt(1)
	v_cvt_f32_f16_e32 v23, v49
	s_waitcnt vmcnt(0)
	v_dot4c_i32_i8_e32 v19, v46, v40
	v_dot4c_i32_i8_e32 v19, v17, v41
	;; [unrolled: 1-line block ×5, first 2 shown]
	v_cvt_f32_i32_e32 v24, v19
	v_cvt_f32_i32_e32 v19, v28
	v_cvt_f32_i32_e32 v25, v20
	v_mov_b32_e32 v20, v22
	v_dot4c_i32_i8_e32 v27, v44, v38
	v_pk_mul_f32 v[28:29], v[20:21], v[18:19] op_sel_hi:[1,0]
	v_mov_b32_e32 v20, v23
	v_dot4c_i32_i8_e32 v32, v46, v36
	v_pk_mul_f32 v[30:31], v[20:21], v[22:23]
	v_cvt_f32_f16_e32 v23, v48
	v_dot4c_i32_i8_e32 v26, v17, v39
	v_dot4c_i32_i8_e32 v27, v43, v39
	;; [unrolled: 1-line block ×3, first 2 shown]
	v_mov_b32_e32 v20, v23
	v_cvt_f32_i32_e32 v26, v26
	v_cvt_f32_i32_e32 v27, v27
	;; [unrolled: 1-line block ×3, first 2 shown]
	v_pk_mul_f32 v[20:21], v[20:21], v[22:23]
	v_pk_fma_f32 v[2:3], v[28:29], v[24:25], v[2:3]
	v_pk_fma_f32 v[0:1], v[30:31], v[26:27], v[0:1]
	;; [unrolled: 1-line block ×3, first 2 shown]
	s_andn2_b64 exec, exec, s[12:13]
	s_cbranch_execnz .LBB66_2
; %bb.3:
	s_or_b64 exec, exec, s[12:13]
	v_mov_b32_e32 v4, v0
	v_mov_b32_e32 v5, v1
	scratch_store_dwordx4 off, v[2:5], off
	scratch_store_dwordx2 off, v[6:7], off offset:16
.LBB66_4:
	s_or_b64 exec, exec, s[6:7]
	v_cmp_eq_u32_e32 vcc, 0, v15
	v_cmp_ne_u32_e64 s[6:7], 0, v15
	v_lshlrev_b32_e32 v4, 2, v14
	s_and_saveexec_b64 s[8:9], s[6:7]
	s_cbranch_execz .LBB66_6
; %bb.5:
	v_mul_u32_u24_e32 v5, 0x600, v15
	s_movk_i32 s2, 0xfa00
	v_add3_u32 v5, v5, v4, s2
	ds_write2st64_b32 v5, v2, v3 offset1:1
	ds_write2st64_b32 v5, v0, v1 offset0:2 offset1:3
	ds_write2st64_b32 v5, v6, v7 offset0:4 offset1:5
.LBB66_6:
	s_or_b64 exec, exec, s[8:9]
	s_waitcnt lgkmcnt(0)
	s_barrier
	s_and_saveexec_b64 s[6:7], vcc
	s_cbranch_execz .LBB66_13
; %bb.7:
	scratch_load_dwordx2 v[2:3], off, off
	v_mbcnt_lo_u32_b32 v0, -1, 0
	ds_read2st64_b32 v[6:7], v4 offset1:1
	v_mbcnt_hi_u32_b32 v12, -1, v0
	v_and_b32_e32 v0, 64, v12
	v_xor_b32_e32 v1, 32, v12
	v_add_u32_e32 v13, 64, v0
	v_cmp_lt_i32_e32 vcc, v1, v13
	v_xor_b32_e32 v5, 16, v12
	v_xor_b32_e32 v10, 8, v12
	v_cndmask_b32_e32 v0, v12, v1, vcc
	v_lshlrev_b32_e32 v0, 2, v0
	v_cmp_lt_i32_e32 vcc, v5, v13
	v_xor_b32_e32 v11, 4, v12
	v_xor_b32_e32 v15, 1, v12
	v_cndmask_b32_e32 v1, v12, v5, vcc
	v_lshlrev_b32_e32 v1, 2, v1
	v_cmp_lt_i32_e32 vcc, v10, v13
	v_xor_b32_e32 v5, 2, v12
	s_load_dwordx2 s[0:1], s[0:1], 0x38
	s_mul_i32 s2, s3, s14
	s_mul_i32 s4, s4, s18
	s_add_i32 s2, s2, s5
	s_mov_b32 s3, 0
	s_add_i32 s2, s2, s4
	s_lshl_b64 s[2:3], s[2:3], 2
	s_waitcnt lgkmcnt(0)
	s_add_u32 s2, s0, s2
	s_addc_u32 s3, s1, s3
	s_waitcnt vmcnt(0)
	v_pk_add_f32 v[2:3], v[6:7], v[2:3]
	ds_bpermute_b32 v6, v0, v2
	ds_bpermute_b32 v7, v0, v3
	s_waitcnt lgkmcnt(0)
	v_pk_add_f32 v[6:7], v[2:3], v[6:7]
	ds_bpermute_b32 v8, v1, v6
	ds_bpermute_b32 v9, v1, v7
	v_cndmask_b32_e32 v2, v12, v10, vcc
	v_lshlrev_b32_e32 v2, 2, v2
	v_cmp_lt_i32_e32 vcc, v11, v13
	s_waitcnt lgkmcnt(0)
	v_pk_add_f32 v[6:7], v[6:7], v[8:9]
	ds_bpermute_b32 v8, v2, v6
	ds_bpermute_b32 v9, v2, v7
	v_cndmask_b32_e32 v3, v12, v11, vcc
	v_lshlrev_b32_e32 v3, 2, v3
	v_cmp_lt_i32_e32 vcc, v5, v13
	;; [unrolled: 7-line block ×3, first 2 shown]
	s_waitcnt lgkmcnt(0)
	v_pk_add_f32 v[8:9], v[6:7], v[8:9]
	ds_bpermute_b32 v10, v5, v8
	ds_bpermute_b32 v11, v5, v9
	v_cndmask_b32_e32 v6, v12, v15, vcc
	v_lshlrev_b32_e32 v6, 2, v6
	v_or_b32_e32 v7, s5, v14
	v_cmp_gt_u32_e32 vcc, 2, v14
	s_waitcnt lgkmcnt(0)
	v_pk_add_f32 v[8:9], v[8:9], v[10:11]
	ds_bpermute_b32 v10, v6, v8
	ds_bpermute_b32 v11, v6, v9
	v_cmp_gt_u32_e64 s[0:1], s10, v7
	s_and_b64 s[0:1], vcc, s[0:1]
	s_waitcnt lgkmcnt(0)
	v_pk_add_f32 v[8:9], v[8:9], v[10:11]
	scratch_store_dwordx2 off, v[8:9], off
	s_and_saveexec_b64 s[4:5], s[0:1]
	s_cbranch_execz .LBB66_9
; %bb.8:
	scratch_load_dword v7, v4, off
	s_waitcnt vmcnt(0)
	global_store_dword v4, v7, s[2:3]
.LBB66_9:
	s_or_b64 exec, exec, s[4:5]
	scratch_load_dwordx2 v[8:9], off, off offset:8
	ds_read2st64_b32 v[10:11], v4 offset0:2 offset1:3
	s_waitcnt vmcnt(0) lgkmcnt(0)
	v_pk_add_f32 v[8:9], v[10:11], v[8:9]
	ds_bpermute_b32 v10, v0, v8
	ds_bpermute_b32 v11, v0, v9
	s_waitcnt lgkmcnt(0)
	v_pk_add_f32 v[8:9], v[8:9], v[10:11]
	ds_bpermute_b32 v10, v1, v8
	ds_bpermute_b32 v11, v1, v9
	s_waitcnt lgkmcnt(0)
	;; [unrolled: 4-line block ×6, first 2 shown]
	v_pk_add_f32 v[8:9], v[8:9], v[10:11]
	scratch_store_dwordx2 off, v[8:9], off offset:8
	s_and_saveexec_b64 s[4:5], s[0:1]
	s_cbranch_execz .LBB66_11
; %bb.10:
	scratch_load_dword v7, v4, off offset:8
	v_add_u32_e32 v8, s10, v14
	v_mov_b32_e32 v9, 0
	v_lshl_add_u64 v[8:9], v[8:9], 2, s[2:3]
	s_waitcnt vmcnt(0)
	global_store_dword v[8:9], v7, off
.LBB66_11:
	s_or_b64 exec, exec, s[4:5]
	scratch_load_dwordx2 v[8:9], off, off offset:16
	ds_read2st64_b32 v[10:11], v4 offset0:4 offset1:5
	s_waitcnt vmcnt(0) lgkmcnt(0)
	v_pk_add_f32 v[8:9], v[10:11], v[8:9]
	ds_bpermute_b32 v10, v0, v8
	ds_bpermute_b32 v11, v0, v9
	s_waitcnt lgkmcnt(0)
	v_pk_add_f32 v[8:9], v[8:9], v[10:11]
	ds_bpermute_b32 v0, v1, v8
	ds_bpermute_b32 v1, v1, v9
	s_waitcnt lgkmcnt(0)
	;; [unrolled: 4-line block ×6, first 2 shown]
	v_pk_add_f32 v[0:1], v[0:1], v[2:3]
	scratch_store_dwordx2 off, v[0:1], off offset:16
	s_and_b64 exec, exec, s[0:1]
	s_cbranch_execz .LBB66_13
; %bb.12:
	scratch_load_dword v2, v4, off offset:16
	v_lshl_or_b32 v0, s10, 1, v14
	v_mov_b32_e32 v1, 0
	v_lshl_add_u64 v[0:1], v[0:1], 2, s[2:3]
	s_waitcnt vmcnt(0)
	global_store_dword v[0:1], v2, off
.LBB66_13:
	s_endpgm
	.section	.rodata,"a",@progbits
	.p2align	6, 0x0
	.amdhsa_kernel _ZL13mul_mat_vec_qIL9ggml_type8ELi3ELb0ELb0EEvPKvS2_PKi31ggml_cuda_mm_fusion_args_devicePfj15HIP_vector_typeIjLj3EEjjjS8_jjjS8_jjjj
		.amdhsa_group_segment_fixed_size 1536
		.amdhsa_private_segment_fixed_size 32
		.amdhsa_kernarg_size 144
		.amdhsa_user_sgpr_count 2
		.amdhsa_user_sgpr_dispatch_ptr 0
		.amdhsa_user_sgpr_queue_ptr 0
		.amdhsa_user_sgpr_kernarg_segment_ptr 1
		.amdhsa_user_sgpr_dispatch_id 0
		.amdhsa_user_sgpr_kernarg_preload_length 0
		.amdhsa_user_sgpr_kernarg_preload_offset 0
		.amdhsa_user_sgpr_private_segment_size 0
		.amdhsa_uses_dynamic_stack 0
		.amdhsa_enable_private_segment 1
		.amdhsa_system_sgpr_workgroup_id_x 1
		.amdhsa_system_sgpr_workgroup_id_y 1
		.amdhsa_system_sgpr_workgroup_id_z 1
		.amdhsa_system_sgpr_workgroup_info 0
		.amdhsa_system_vgpr_workitem_id 1
		.amdhsa_next_free_vgpr 50
		.amdhsa_next_free_sgpr 26
		.amdhsa_accum_offset 52
		.amdhsa_reserve_vcc 1
		.amdhsa_float_round_mode_32 0
		.amdhsa_float_round_mode_16_64 0
		.amdhsa_float_denorm_mode_32 3
		.amdhsa_float_denorm_mode_16_64 3
		.amdhsa_dx10_clamp 1
		.amdhsa_ieee_mode 1
		.amdhsa_fp16_overflow 0
		.amdhsa_tg_split 0
		.amdhsa_exception_fp_ieee_invalid_op 0
		.amdhsa_exception_fp_denorm_src 0
		.amdhsa_exception_fp_ieee_div_zero 0
		.amdhsa_exception_fp_ieee_overflow 0
		.amdhsa_exception_fp_ieee_underflow 0
		.amdhsa_exception_fp_ieee_inexact 0
		.amdhsa_exception_int_div_zero 0
	.end_amdhsa_kernel
	.section	.text._ZL13mul_mat_vec_qIL9ggml_type8ELi3ELb0ELb0EEvPKvS2_PKi31ggml_cuda_mm_fusion_args_devicePfj15HIP_vector_typeIjLj3EEjjjS8_jjjS8_jjjj,"axG",@progbits,_ZL13mul_mat_vec_qIL9ggml_type8ELi3ELb0ELb0EEvPKvS2_PKi31ggml_cuda_mm_fusion_args_devicePfj15HIP_vector_typeIjLj3EEjjjS8_jjjS8_jjjj,comdat
.Lfunc_end66:
	.size	_ZL13mul_mat_vec_qIL9ggml_type8ELi3ELb0ELb0EEvPKvS2_PKi31ggml_cuda_mm_fusion_args_devicePfj15HIP_vector_typeIjLj3EEjjjS8_jjjS8_jjjj, .Lfunc_end66-_ZL13mul_mat_vec_qIL9ggml_type8ELi3ELb0ELb0EEvPKvS2_PKi31ggml_cuda_mm_fusion_args_devicePfj15HIP_vector_typeIjLj3EEjjjS8_jjjS8_jjjj
                                        ; -- End function
	.section	.AMDGPU.csdata,"",@progbits
; Kernel info:
; codeLenInByte = 1796
; NumSgprs: 32
; NumVgprs: 50
; NumAgprs: 0
; TotalNumVgprs: 50
; ScratchSize: 32
; MemoryBound: 0
; FloatMode: 240
; IeeeMode: 1
; LDSByteSize: 1536 bytes/workgroup (compile time only)
; SGPRBlocks: 3
; VGPRBlocks: 6
; NumSGPRsForWavesPerEU: 32
; NumVGPRsForWavesPerEU: 50
; AccumOffset: 52
; Occupancy: 8
; WaveLimiterHint : 0
; COMPUTE_PGM_RSRC2:SCRATCH_EN: 1
; COMPUTE_PGM_RSRC2:USER_SGPR: 2
; COMPUTE_PGM_RSRC2:TRAP_HANDLER: 0
; COMPUTE_PGM_RSRC2:TGID_X_EN: 1
; COMPUTE_PGM_RSRC2:TGID_Y_EN: 1
; COMPUTE_PGM_RSRC2:TGID_Z_EN: 1
; COMPUTE_PGM_RSRC2:TIDIG_COMP_CNT: 1
; COMPUTE_PGM_RSRC3_GFX90A:ACCUM_OFFSET: 12
; COMPUTE_PGM_RSRC3_GFX90A:TG_SPLIT: 0
	.section	.text._ZL13mul_mat_vec_qIL9ggml_type8ELi4ELb0ELb0EEvPKvS2_PKi31ggml_cuda_mm_fusion_args_devicePfj15HIP_vector_typeIjLj3EEjjjS8_jjjS8_jjjj,"axG",@progbits,_ZL13mul_mat_vec_qIL9ggml_type8ELi4ELb0ELb0EEvPKvS2_PKi31ggml_cuda_mm_fusion_args_devicePfj15HIP_vector_typeIjLj3EEjjjS8_jjjS8_jjjj,comdat
	.globl	_ZL13mul_mat_vec_qIL9ggml_type8ELi4ELb0ELb0EEvPKvS2_PKi31ggml_cuda_mm_fusion_args_devicePfj15HIP_vector_typeIjLj3EEjjjS8_jjjS8_jjjj ; -- Begin function _ZL13mul_mat_vec_qIL9ggml_type8ELi4ELb0ELb0EEvPKvS2_PKi31ggml_cuda_mm_fusion_args_devicePfj15HIP_vector_typeIjLj3EEjjjS8_jjjS8_jjjj
	.p2align	8
	.type	_ZL13mul_mat_vec_qIL9ggml_type8ELi4ELb0ELb0EEvPKvS2_PKi31ggml_cuda_mm_fusion_args_devicePfj15HIP_vector_typeIjLj3EEjjjS8_jjjS8_jjjj,@function
_ZL13mul_mat_vec_qIL9ggml_type8ELi4ELb0ELb0EEvPKvS2_PKi31ggml_cuda_mm_fusion_args_devicePfj15HIP_vector_typeIjLj3EEjjjS8_jjjS8_jjjj: ; @_ZL13mul_mat_vec_qIL9ggml_type8ELi4ELb0ELb0EEvPKvS2_PKi31ggml_cuda_mm_fusion_args_devicePfj15HIP_vector_typeIjLj3EEjjjS8_jjjS8_jjjj
; %bb.0:
	s_mov_b32 s20, 0
	s_mov_b32 s21, s20
	v_bfe_u32 v9, v0, 10, 10
	v_and_b32_e32 v8, 0x3ff, v0
	s_mov_b32 s22, s20
	s_mov_b32 s23, s20
	v_mov_b64_e32 v[0:1], s[20:21]
	v_lshl_add_u32 v12, v9, 6, v8
	v_mov_b64_e32 v[2:3], s[22:23]
	s_load_dword s6, s[0:1], 0x40
	s_load_dwordx4 s[8:11], s[0:1], 0x50
	s_load_dword s25, s[0:1], 0x60
	s_load_dwordx4 s[12:15], s[0:1], 0x68
	;; [unrolled: 2-line block ×3, first 2 shown]
	s_lshl_b32 s5, s2, 1
	s_waitcnt lgkmcnt(0)
	s_lshr_b32 s2, s6, 5
	scratch_store_dwordx4 off, v[0:3], off offset:16
	scratch_store_dwordx4 off, v[0:3], off
	v_lshrrev_b32_e32 v18, 2, v12
	v_cmp_gt_u32_e32 vcc, s2, v18
	v_mov_b32_e32 v1, 0
	v_mov_b32_e32 v4, 0
	;; [unrolled: 1-line block ×8, first 2 shown]
	s_and_saveexec_b64 s[6:7], vcc
	s_cbranch_execz .LBB67_4
; %bb.1:
	s_load_dwordx4 s[20:23], s[0:1], 0x0
	s_mul_i32 s17, s4, s17
	s_mul_hi_u32 s19, s17, 36
	s_mul_i32 s17, s17, 36
	s_mul_i32 s13, s3, s13
	s_waitcnt lgkmcnt(0)
	s_add_u32 s17, s22, s17
	s_addc_u32 s19, s23, s19
	s_mul_hi_u32 s23, s13, 36
	s_mul_i32 s13, s13, 36
	s_add_u32 s22, s17, s13
	s_mul_hi_u32 s11, s11, s3
	s_addc_u32 s23, s19, s23
	s_add_i32 s11, s3, s11
	s_lshr_b32 s11, s11, s25
	s_mul_i32 s17, s11, s12
	s_mul_hi_u32 s11, s15, s4
	v_and_b32_e32 v1, 3, v8
	s_add_i32 s11, s4, s11
	v_lshlrev_b32_e32 v10, 3, v1
	v_lshrrev_b32_e32 v1, 2, v12
	s_lshr_b32 s11, s11, s24
	v_lshlrev_b32_e32 v0, 1, v8
	v_mad_u64_u32 v[12:13], s[12:13], v1, 36, s[22:23]
	s_mul_i32 s16, s11, s16
	v_and_b32_e32 v0, 6, v0
	s_add_i32 s13, s5, 1
	v_lshlrev_b32_e32 v2, 1, v0
	v_mov_b32_e32 v11, 0
	s_mul_i32 s19, s5, s8
	s_add_i32 s12, s16, s17
	s_mul_i32 s8, s8, s13
	s_lshl_b32 s11, s9, 1
	s_mul_i32 s15, s9, 3
	s_add_i32 s8, s12, s8
	s_add_i32 s19, s12, s19
	s_mov_b64 s[12:13], 0
	v_lshlrev_b32_e32 v14, 1, v2
	v_lshlrev_b32_e32 v16, 2, v0
	s_mov_b64 s[16:17], 0x480
	v_mov_b32_e32 v15, v11
	v_mov_b32_e32 v17, v11
	;; [unrolled: 1-line block ×10, first 2 shown]
.LBB67_2:                               ; =>This Inner Loop Header: Depth=1
	v_add_u32_e32 v19, s19, v18
	v_lshl_add_u64 v[20:21], v[12:13], 0, v[10:11]
	global_load_dword v48, v[12:13], off
	v_add_u32_e32 v24, s8, v18
	global_load_dwordx2 v[20:21], v[20:21], off offset:4
	v_add_u32_e32 v26, s9, v18
	v_add_u32_e32 v28, s11, v18
	;; [unrolled: 1-line block ×3, first 2 shown]
	v_mad_i64_i32 v[22:23], s[24:25], v19, 34, s[20:21]
	v_mad_i64_i32 v[24:25], s[24:25], v24, 34, s[20:21]
	v_mad_u64_u32 v[26:27], s[24:25], v26, 36, s[22:23]
	v_mad_u64_u32 v[28:29], s[24:25], v28, 36, s[22:23]
	;; [unrolled: 1-line block ×3, first 2 shown]
	v_lshl_add_u64 v[32:33], v[22:23], 0, v[14:15]
	v_lshl_add_u64 v[34:35], v[24:25], 0, v[14:15]
	;; [unrolled: 1-line block ×5, first 2 shown]
	global_load_dword v19, v[32:33], off offset:6
	global_load_dword v49, v[34:35], off offset:6
	global_load_ushort v50, v[24:25], off
	global_load_ushort v51, v[22:23], off
	global_load_dword v52, v[32:33], off offset:2
	global_load_dword v53, v[34:35], off offset:2
	global_load_dword v54, v[28:29], off
	global_load_dword v55, v[26:27], off
	global_load_dwordx2 v[42:43], v[36:37], off offset:4
	global_load_dwordx2 v[44:45], v[38:39], off offset:4
	;; [unrolled: 1-line block ×3, first 2 shown]
	global_load_dword v56, v[30:31], off
	v_mov_b32_e32 v27, 0
	v_mov_b32_e32 v29, 0
	;; [unrolled: 1-line block ×8, first 2 shown]
	v_add_u32_e32 v18, 32, v18
	v_cmp_le_u32_e32 vcc, s2, v18
	v_lshl_add_u64 v[12:13], v[12:13], 0, s[16:17]
	s_or_b64 s[12:13], vcc, s[12:13]
	s_waitcnt vmcnt(13)
	v_cvt_f32_f16_e32 v22, v48
	v_mov_b32_e32 v25, v22
	s_waitcnt vmcnt(9)
	v_cvt_f32_f16_e32 v23, v50
	s_waitcnt vmcnt(8)
	v_cvt_f32_f16_e32 v24, v51
	s_waitcnt vmcnt(7)
	v_dot4c_i32_i8_e32 v27, v52, v20
	s_waitcnt vmcnt(6)
	v_dot4c_i32_i8_e32 v29, v53, v20
	s_waitcnt vmcnt(5)
	v_cvt_f32_f16_e32 v26, v54
	s_waitcnt vmcnt(4)
	v_cvt_f32_f16_e32 v20, v55
	s_waitcnt vmcnt(3)
	v_dot4c_i32_i8_e32 v32, v52, v42
	v_dot4c_i32_i8_e32 v33, v53, v42
	s_waitcnt vmcnt(2)
	v_dot4c_i32_i8_e32 v34, v52, v44
	v_dot4c_i32_i8_e32 v35, v53, v44
	;; [unrolled: 3-line block ×3, first 2 shown]
	s_waitcnt vmcnt(0)
	v_cvt_f32_f16_e32 v28, v56
	v_dot4c_i32_i8_e32 v27, v19, v21
	v_dot4c_i32_i8_e32 v29, v49, v21
	;; [unrolled: 1-line block ×8, first 2 shown]
	v_cvt_f32_i32_e32 v31, v29
	v_cvt_f32_i32_e32 v30, v27
	v_cvt_f32_i32_e32 v33, v33
	v_cvt_f32_i32_e32 v32, v32
	v_cvt_f32_i32_e32 v35, v35
	v_cvt_f32_i32_e32 v34, v34
	v_cvt_f32_i32_e32 v37, v37
	v_cvt_f32_i32_e32 v36, v36
	v_pk_mul_f32 v[38:39], v[24:25], v[22:23]
	v_mov_b32_e32 v25, v23
	v_pk_mul_f32 v[20:21], v[24:25], v[20:21] op_sel_hi:[1,0]
	v_pk_mul_f32 v[22:23], v[24:25], v[26:27] op_sel_hi:[1,0]
	;; [unrolled: 1-line block ×3, first 2 shown]
	v_pk_fma_f32 v[4:5], v[38:39], v[30:31], v[4:5]
	v_pk_fma_f32 v[6:7], v[20:21], v[32:33], v[6:7]
	;; [unrolled: 1-line block ×4, first 2 shown]
	s_andn2_b64 exec, exec, s[12:13]
	s_cbranch_execnz .LBB67_2
; %bb.3:
	s_or_b64 exec, exec, s[12:13]
	scratch_store_dwordx4 off, v[4:7], off
	scratch_store_dwordx4 off, v[0:3], off offset:16
.LBB67_4:
	s_or_b64 exec, exec, s[6:7]
	v_cmp_eq_u32_e32 vcc, 0, v9
	v_cmp_ne_u32_e64 s[6:7], 0, v9
	v_lshlrev_b32_e32 v10, 2, v8
	s_and_saveexec_b64 s[8:9], s[6:7]
	s_cbranch_execz .LBB67_6
; %bb.5:
	v_lshlrev_b32_e32 v9, 11, v9
	s_movk_i32 s2, 0xf800
	v_add3_u32 v9, v9, v10, s2
	ds_write2st64_b32 v9, v4, v5 offset1:1
	ds_write2st64_b32 v9, v6, v7 offset0:2 offset1:3
	ds_write2st64_b32 v9, v0, v1 offset0:4 offset1:5
	;; [unrolled: 1-line block ×3, first 2 shown]
.LBB67_6:
	s_or_b64 exec, exec, s[8:9]
	s_waitcnt lgkmcnt(0)
	s_barrier
	s_and_saveexec_b64 s[6:7], vcc
	s_cbranch_execz .LBB67_15
; %bb.7:
	scratch_load_dwordx2 v[2:3], off, off
	v_mbcnt_lo_u32_b32 v0, -1, 0
	ds_read2st64_b32 v[4:5], v10 offset1:1
	v_mbcnt_hi_u32_b32 v9, -1, v0
	v_and_b32_e32 v0, 64, v9
	v_xor_b32_e32 v1, 32, v9
	v_add_u32_e32 v14, 64, v0
	v_cmp_lt_i32_e32 vcc, v1, v14
	v_xor_b32_e32 v6, 16, v9
	v_xor_b32_e32 v11, 8, v9
	v_cndmask_b32_e32 v0, v9, v1, vcc
	v_lshlrev_b32_e32 v0, 2, v0
	v_cmp_lt_i32_e32 vcc, v6, v14
	v_xor_b32_e32 v12, 4, v9
	v_xor_b32_e32 v15, 2, v9
	v_cndmask_b32_e32 v1, v9, v6, vcc
	v_lshlrev_b32_e32 v1, 2, v1
	v_cmp_lt_i32_e32 vcc, v11, v14
	s_load_dwordx2 s[0:1], s[0:1], 0x38
	s_mul_i32 s2, s3, s14
	s_mul_i32 s4, s4, s18
	s_add_i32 s2, s2, s5
	s_mov_b32 s3, 0
	s_add_i32 s2, s2, s4
	s_lshl_b64 s[2:3], s[2:3], 2
	s_waitcnt lgkmcnt(0)
	s_add_u32 s2, s0, s2
	s_addc_u32 s3, s1, s3
	s_waitcnt vmcnt(0)
	v_pk_add_f32 v[2:3], v[4:5], v[2:3]
	ds_bpermute_b32 v4, v0, v2
	ds_bpermute_b32 v5, v0, v3
	s_waitcnt lgkmcnt(0)
	v_pk_add_f32 v[4:5], v[2:3], v[4:5]
	ds_bpermute_b32 v6, v1, v4
	ds_bpermute_b32 v7, v1, v5
	v_cndmask_b32_e32 v2, v9, v11, vcc
	v_lshlrev_b32_e32 v2, 2, v2
	v_cmp_lt_i32_e32 vcc, v12, v14
	v_xor_b32_e32 v11, 1, v9
	s_waitcnt lgkmcnt(0)
	v_pk_add_f32 v[4:5], v[4:5], v[6:7]
	ds_bpermute_b32 v6, v2, v4
	ds_bpermute_b32 v7, v2, v5
	v_cndmask_b32_e32 v3, v9, v12, vcc
	v_lshlrev_b32_e32 v3, 2, v3
	v_cmp_lt_i32_e32 vcc, v15, v14
	s_waitcnt lgkmcnt(0)
	v_pk_add_f32 v[6:7], v[4:5], v[6:7]
	ds_bpermute_b32 v12, v3, v6
	ds_bpermute_b32 v13, v3, v7
	v_cndmask_b32_e32 v4, v9, v15, vcc
	v_lshlrev_b32_e32 v4, 2, v4
	v_cmp_lt_i32_e32 vcc, v11, v14
	s_waitcnt lgkmcnt(0)
	v_pk_add_f32 v[6:7], v[6:7], v[12:13]
	ds_bpermute_b32 v12, v4, v6
	ds_bpermute_b32 v13, v4, v7
	v_cndmask_b32_e32 v5, v9, v11, vcc
	v_lshlrev_b32_e32 v5, 2, v5
	v_or_b32_e32 v9, s5, v8
	v_cmp_gt_u32_e32 vcc, 2, v8
	s_waitcnt lgkmcnt(0)
	v_pk_add_f32 v[6:7], v[6:7], v[12:13]
	ds_bpermute_b32 v12, v5, v6
	ds_bpermute_b32 v13, v5, v7
	v_cmp_gt_u32_e64 s[0:1], s10, v9
	s_and_b64 s[0:1], vcc, s[0:1]
	s_waitcnt lgkmcnt(0)
	v_pk_add_f32 v[6:7], v[6:7], v[12:13]
	scratch_store_dwordx2 off, v[6:7], off
	s_and_saveexec_b64 s[4:5], s[0:1]
	s_cbranch_execz .LBB67_9
; %bb.8:
	scratch_load_dword v6, v10, off
	s_waitcnt vmcnt(0)
	global_store_dword v10, v6, s[2:3]
.LBB67_9:
	s_or_b64 exec, exec, s[4:5]
	scratch_load_dwordx2 v[6:7], off, off offset:8
	ds_read2st64_b32 v[12:13], v10 offset0:2 offset1:3
	s_waitcnt vmcnt(0) lgkmcnt(0)
	v_pk_add_f32 v[6:7], v[12:13], v[6:7]
	ds_bpermute_b32 v12, v0, v6
	ds_bpermute_b32 v13, v0, v7
	s_waitcnt lgkmcnt(0)
	v_pk_add_f32 v[6:7], v[6:7], v[12:13]
	ds_bpermute_b32 v12, v1, v6
	ds_bpermute_b32 v13, v1, v7
	s_waitcnt lgkmcnt(0)
	;; [unrolled: 4-line block ×6, first 2 shown]
	v_pk_add_f32 v[6:7], v[6:7], v[12:13]
	scratch_store_dwordx2 off, v[6:7], off offset:8
	s_and_saveexec_b64 s[4:5], s[0:1]
	s_cbranch_execz .LBB67_11
; %bb.10:
	scratch_load_dword v9, v10, off offset:8
	v_add_u32_e32 v6, s10, v8
	v_mov_b32_e32 v7, 0
	v_lshl_add_u64 v[6:7], v[6:7], 2, s[2:3]
	s_waitcnt vmcnt(0)
	global_store_dword v[6:7], v9, off
.LBB67_11:
	s_or_b64 exec, exec, s[4:5]
	scratch_load_dwordx2 v[6:7], off, off offset:16
	ds_read2st64_b32 v[12:13], v10 offset0:4 offset1:5
	s_waitcnt vmcnt(0) lgkmcnt(0)
	v_pk_add_f32 v[6:7], v[12:13], v[6:7]
	ds_bpermute_b32 v12, v0, v6
	ds_bpermute_b32 v13, v0, v7
	s_waitcnt lgkmcnt(0)
	v_pk_add_f32 v[6:7], v[6:7], v[12:13]
	ds_bpermute_b32 v12, v1, v6
	ds_bpermute_b32 v13, v1, v7
	s_waitcnt lgkmcnt(0)
	;; [unrolled: 4-line block ×6, first 2 shown]
	v_pk_add_f32 v[6:7], v[6:7], v[12:13]
	scratch_store_dwordx2 off, v[6:7], off offset:16
	s_and_saveexec_b64 s[4:5], s[0:1]
	s_cbranch_execz .LBB67_13
; %bb.12:
	scratch_load_dword v9, v10, off offset:16
	v_lshl_or_b32 v6, s10, 1, v8
	v_mov_b32_e32 v7, 0
	v_lshl_add_u64 v[6:7], v[6:7], 2, s[2:3]
	s_waitcnt vmcnt(0)
	global_store_dword v[6:7], v9, off
.LBB67_13:
	s_or_b64 exec, exec, s[4:5]
	scratch_load_dwordx2 v[6:7], off, off offset:24
	ds_read2st64_b32 v[12:13], v10 offset0:6 offset1:7
	s_waitcnt vmcnt(0) lgkmcnt(0)
	v_pk_add_f32 v[6:7], v[12:13], v[6:7]
	ds_bpermute_b32 v12, v0, v6
	ds_bpermute_b32 v13, v0, v7
	s_waitcnt lgkmcnt(0)
	v_pk_add_f32 v[6:7], v[6:7], v[12:13]
	ds_bpermute_b32 v0, v1, v6
	ds_bpermute_b32 v1, v1, v7
	s_waitcnt lgkmcnt(0)
	v_pk_add_f32 v[0:1], v[6:7], v[0:1]
	ds_bpermute_b32 v6, v2, v0
	ds_bpermute_b32 v7, v2, v1
	s_waitcnt lgkmcnt(0)
	v_pk_add_f32 v[0:1], v[0:1], v[6:7]
	ds_bpermute_b32 v2, v3, v0
	ds_bpermute_b32 v3, v3, v1
	s_waitcnt lgkmcnt(0)
	v_pk_add_f32 v[0:1], v[0:1], v[2:3]
	ds_bpermute_b32 v2, v4, v0
	ds_bpermute_b32 v3, v4, v1
	s_waitcnt lgkmcnt(0)
	v_pk_add_f32 v[0:1], v[0:1], v[2:3]
	ds_bpermute_b32 v2, v5, v0
	ds_bpermute_b32 v3, v5, v1
	s_waitcnt lgkmcnt(0)
	v_pk_add_f32 v[0:1], v[0:1], v[2:3]
	scratch_store_dwordx2 off, v[0:1], off offset:24
	s_and_b64 exec, exec, s[0:1]
	s_cbranch_execz .LBB67_15
; %bb.14:
	scratch_load_dword v2, v10, off offset:24
	v_mad_u64_u32 v[0:1], s[0:1], s10, 3, v[8:9]
	v_mov_b32_e32 v1, 0
	v_lshl_add_u64 v[0:1], v[0:1], 2, s[2:3]
	s_waitcnt vmcnt(0)
	global_store_dword v[0:1], v2, off
.LBB67_15:
	s_endpgm
	.section	.rodata,"a",@progbits
	.p2align	6, 0x0
	.amdhsa_kernel _ZL13mul_mat_vec_qIL9ggml_type8ELi4ELb0ELb0EEvPKvS2_PKi31ggml_cuda_mm_fusion_args_devicePfj15HIP_vector_typeIjLj3EEjjjS8_jjjS8_jjjj
		.amdhsa_group_segment_fixed_size 2048
		.amdhsa_private_segment_fixed_size 48
		.amdhsa_kernarg_size 144
		.amdhsa_user_sgpr_count 2
		.amdhsa_user_sgpr_dispatch_ptr 0
		.amdhsa_user_sgpr_queue_ptr 0
		.amdhsa_user_sgpr_kernarg_segment_ptr 1
		.amdhsa_user_sgpr_dispatch_id 0
		.amdhsa_user_sgpr_kernarg_preload_length 0
		.amdhsa_user_sgpr_kernarg_preload_offset 0
		.amdhsa_user_sgpr_private_segment_size 0
		.amdhsa_uses_dynamic_stack 0
		.amdhsa_enable_private_segment 1
		.amdhsa_system_sgpr_workgroup_id_x 1
		.amdhsa_system_sgpr_workgroup_id_y 1
		.amdhsa_system_sgpr_workgroup_id_z 1
		.amdhsa_system_sgpr_workgroup_info 0
		.amdhsa_system_vgpr_workitem_id 1
		.amdhsa_next_free_vgpr 57
		.amdhsa_next_free_sgpr 26
		.amdhsa_accum_offset 60
		.amdhsa_reserve_vcc 1
		.amdhsa_float_round_mode_32 0
		.amdhsa_float_round_mode_16_64 0
		.amdhsa_float_denorm_mode_32 3
		.amdhsa_float_denorm_mode_16_64 3
		.amdhsa_dx10_clamp 1
		.amdhsa_ieee_mode 1
		.amdhsa_fp16_overflow 0
		.amdhsa_tg_split 0
		.amdhsa_exception_fp_ieee_invalid_op 0
		.amdhsa_exception_fp_denorm_src 0
		.amdhsa_exception_fp_ieee_div_zero 0
		.amdhsa_exception_fp_ieee_overflow 0
		.amdhsa_exception_fp_ieee_underflow 0
		.amdhsa_exception_fp_ieee_inexact 0
		.amdhsa_exception_int_div_zero 0
	.end_amdhsa_kernel
	.section	.text._ZL13mul_mat_vec_qIL9ggml_type8ELi4ELb0ELb0EEvPKvS2_PKi31ggml_cuda_mm_fusion_args_devicePfj15HIP_vector_typeIjLj3EEjjjS8_jjjS8_jjjj,"axG",@progbits,_ZL13mul_mat_vec_qIL9ggml_type8ELi4ELb0ELb0EEvPKvS2_PKi31ggml_cuda_mm_fusion_args_devicePfj15HIP_vector_typeIjLj3EEjjjS8_jjjS8_jjjj,comdat
.Lfunc_end67:
	.size	_ZL13mul_mat_vec_qIL9ggml_type8ELi4ELb0ELb0EEvPKvS2_PKi31ggml_cuda_mm_fusion_args_devicePfj15HIP_vector_typeIjLj3EEjjjS8_jjjS8_jjjj, .Lfunc_end67-_ZL13mul_mat_vec_qIL9ggml_type8ELi4ELb0ELb0EEvPKvS2_PKi31ggml_cuda_mm_fusion_args_devicePfj15HIP_vector_typeIjLj3EEjjjS8_jjjS8_jjjj
                                        ; -- End function
	.section	.AMDGPU.csdata,"",@progbits
; Kernel info:
; codeLenInByte = 2200
; NumSgprs: 32
; NumVgprs: 57
; NumAgprs: 0
; TotalNumVgprs: 57
; ScratchSize: 48
; MemoryBound: 0
; FloatMode: 240
; IeeeMode: 1
; LDSByteSize: 2048 bytes/workgroup (compile time only)
; SGPRBlocks: 3
; VGPRBlocks: 7
; NumSGPRsForWavesPerEU: 32
; NumVGPRsForWavesPerEU: 57
; AccumOffset: 60
; Occupancy: 8
; WaveLimiterHint : 0
; COMPUTE_PGM_RSRC2:SCRATCH_EN: 1
; COMPUTE_PGM_RSRC2:USER_SGPR: 2
; COMPUTE_PGM_RSRC2:TRAP_HANDLER: 0
; COMPUTE_PGM_RSRC2:TGID_X_EN: 1
; COMPUTE_PGM_RSRC2:TGID_Y_EN: 1
; COMPUTE_PGM_RSRC2:TGID_Z_EN: 1
; COMPUTE_PGM_RSRC2:TIDIG_COMP_CNT: 1
; COMPUTE_PGM_RSRC3_GFX90A:ACCUM_OFFSET: 14
; COMPUTE_PGM_RSRC3_GFX90A:TG_SPLIT: 0
	.section	.text._ZL13mul_mat_vec_qIL9ggml_type8ELi5ELb0ELb0EEvPKvS2_PKi31ggml_cuda_mm_fusion_args_devicePfj15HIP_vector_typeIjLj3EEjjjS8_jjjS8_jjjj,"axG",@progbits,_ZL13mul_mat_vec_qIL9ggml_type8ELi5ELb0ELb0EEvPKvS2_PKi31ggml_cuda_mm_fusion_args_devicePfj15HIP_vector_typeIjLj3EEjjjS8_jjjS8_jjjj,comdat
	.globl	_ZL13mul_mat_vec_qIL9ggml_type8ELi5ELb0ELb0EEvPKvS2_PKi31ggml_cuda_mm_fusion_args_devicePfj15HIP_vector_typeIjLj3EEjjjS8_jjjS8_jjjj ; -- Begin function _ZL13mul_mat_vec_qIL9ggml_type8ELi5ELb0ELb0EEvPKvS2_PKi31ggml_cuda_mm_fusion_args_devicePfj15HIP_vector_typeIjLj3EEjjjS8_jjjS8_jjjj
	.p2align	8
	.type	_ZL13mul_mat_vec_qIL9ggml_type8ELi5ELb0ELb0EEvPKvS2_PKi31ggml_cuda_mm_fusion_args_devicePfj15HIP_vector_typeIjLj3EEjjjS8_jjjS8_jjjj,@function
_ZL13mul_mat_vec_qIL9ggml_type8ELi5ELb0ELb0EEvPKvS2_PKi31ggml_cuda_mm_fusion_args_devicePfj15HIP_vector_typeIjLj3EEjjjS8_jjjS8_jjjj: ; @_ZL13mul_mat_vec_qIL9ggml_type8ELi5ELb0ELb0EEvPKvS2_PKi31ggml_cuda_mm_fusion_args_devicePfj15HIP_vector_typeIjLj3EEjjjS8_jjjS8_jjjj
; %bb.0:
	v_bfe_u32 v9, v0, 10, 10
	v_and_b32_e32 v8, 0x3ff, v0
	s_mov_b32 s20, 0
	s_load_dword s5, s[0:1], 0x40
	s_load_dwordx4 s[8:11], s[0:1], 0x50
	s_load_dword s25, s[0:1], 0x60
	s_load_dwordx4 s[12:15], s[0:1], 0x68
	;; [unrolled: 2-line block ×3, first 2 shown]
	v_lshl_or_b32 v4, v9, 6, v8
	s_mov_b32 s21, s20
	s_waitcnt lgkmcnt(0)
	s_lshr_b32 s5, s5, 5
	v_mov_b32_e32 v11, 0
	s_mov_b32 s22, s20
	s_mov_b32 s23, s20
	v_mov_b64_e32 v[0:1], s[20:21]
	v_lshrrev_b32_e32 v20, 2, v4
	s_lshl_b32 s2, s2, 1
	v_mov_b32_e32 v10, v11
	v_mov_b64_e32 v[2:3], s[22:23]
	v_cmp_gt_u32_e32 vcc, s5, v20
	scratch_store_dwordx2 off, v[10:11], off offset:32
	scratch_store_dwordx4 off, v[0:3], off offset:16
	scratch_store_dwordx4 off, v[0:3], off
	s_and_saveexec_b64 s[6:7], vcc
	s_cbranch_execz .LBB68_4
; %bb.1:
	s_load_dwordx4 s[20:23], s[0:1], 0x0
	s_mul_i32 s17, s4, s17
	s_mul_hi_u32 s19, s17, 36
	s_mul_i32 s17, s17, 36
	s_mul_i32 s13, s3, s13
	s_waitcnt lgkmcnt(0)
	s_add_u32 s17, s22, s17
	s_addc_u32 s19, s23, s19
	s_mul_hi_u32 s23, s13, 36
	s_mul_i32 s13, s13, 36
	s_add_u32 s22, s17, s13
	s_mul_hi_u32 s11, s11, s3
	s_addc_u32 s23, s19, s23
	s_add_i32 s11, s3, s11
	s_lshr_b32 s11, s11, s25
	v_and_b32_e32 v1, 3, v8
	s_mul_i32 s17, s11, s12
	s_mul_hi_u32 s11, s15, s4
	v_lshlrev_b32_e32 v10, 3, v1
	v_lshl_add_u32 v1, v9, 6, v8
	s_add_i32 s11, s4, s11
	v_lshrrev_b32_e32 v1, 2, v1
	s_lshr_b32 s11, s11, s24
	v_lshlrev_b32_e32 v0, 1, v8
	v_mad_u64_u32 v[12:13], s[12:13], v1, 36, s[22:23]
	s_mul_i32 s16, s11, s16
	v_and_b32_e32 v0, 6, v0
	s_add_i32 s13, s2, 1
	v_lshlrev_b32_e32 v2, 1, v0
	s_mul_i32 s24, s2, s8
	s_add_i32 s12, s16, s17
	s_mul_i32 s8, s8, s13
	s_lshl_b32 s11, s9, 1
	s_mul_i32 s15, s9, 3
	s_lshl_b32 s19, s9, 2
	s_add_i32 s8, s12, s8
	s_add_i32 s24, s12, s24
	s_mov_b64 s[12:13], 0
	v_lshlrev_b32_e32 v16, 1, v2
	v_lshlrev_b32_e32 v18, 2, v0
	s_mov_b64 s[16:17], 0x240
	v_mov_b32_e32 v17, v11
	v_mov_b32_e32 v19, v11
	;; [unrolled: 1-line block ×12, first 2 shown]
.LBB68_2:                               ; =>This Inner Loop Header: Depth=1
	global_load_dword v54, v[12:13], off
	v_add_u32_e32 v21, s24, v20
	v_add_u32_e32 v26, s8, v20
	;; [unrolled: 1-line block ×6, first 2 shown]
	v_mad_i64_i32 v[24:25], s[26:27], v21, 34, s[20:21]
	v_lshl_add_u64 v[22:23], v[12:13], 0, v[10:11]
	global_load_dwordx2 v[22:23], v[22:23], off offset:4
	v_mad_i64_i32 v[26:27], s[26:27], v26, 34, s[20:21]
	v_mad_u64_u32 v[28:29], s[26:27], v28, 36, s[22:23]
	v_mad_u64_u32 v[30:31], s[26:27], v30, 36, s[22:23]
	;; [unrolled: 1-line block ×4, first 2 shown]
	v_lshl_add_u64 v[36:37], v[24:25], 0, v[16:17]
	v_lshl_add_u64 v[38:39], v[26:27], 0, v[16:17]
	;; [unrolled: 1-line block ×6, first 2 shown]
	global_load_dword v21, v[36:37], off offset:6
	global_load_dword v55, v[38:39], off offset:6
	;; [unrolled: 1-line block ×3, first 2 shown]
	global_load_ushort v57, v[26:27], off
	global_load_dword v58, v[36:37], off offset:2
	global_load_ushort v59, v[24:25], off
	global_load_dwordx2 v[48:49], v[42:43], off offset:4
	global_load_dword v60, v[30:31], off
	global_load_dwordx2 v[50:51], v[46:47], off offset:4
	global_load_dword v61, v[34:35], off
	;; [unrolled: 2-line block ×3, first 2 shown]
                                        ; kill: killed $vgpr38_vgpr39
                                        ; kill: killed $vgpr42_vgpr43
                                        ; kill: killed $vgpr34_vgpr35
                                        ; kill: killed $vgpr46_vgpr47
                                        ; kill: killed $vgpr32_vgpr33
                                        ; kill: killed $vgpr24_vgpr25
                                        ; kill: killed $vgpr26_vgpr27
                                        ; kill: killed $vgpr44_vgpr45
                                        ; kill: killed $vgpr30_vgpr31
                                        ; kill: killed $vgpr36_vgpr37
	global_load_dwordx2 v[24:25], v[40:41], off offset:4
	global_load_dword v30, v[28:29], off
	v_mov_b32_e32 v34, 0
	v_mov_b32_e32 v35, 0
	;; [unrolled: 1-line block ×10, first 2 shown]
	v_add_u32_e32 v20, 16, v20
	v_cmp_le_u32_e32 vcc, s5, v20
	v_lshl_add_u64 v[12:13], v[12:13], 0, s[16:17]
	s_or_b64 s[12:13], vcc, s[12:13]
	s_waitcnt vmcnt(15)
	v_cvt_f32_f16_e32 v26, v54
	v_mov_b32_e32 v29, v26
	s_waitcnt vmcnt(10)
	v_cvt_f32_f16_e32 v27, v57
	s_waitcnt vmcnt(8)
	v_cvt_f32_f16_e32 v28, v59
	v_dot4c_i32_i8_e32 v31, v58, v22
	v_dot4c_i32_i8_e32 v32, v56, v22
	s_waitcnt vmcnt(7)
	v_dot4c_i32_i8_e32 v36, v58, v48
	v_dot4c_i32_i8_e32 v37, v56, v48
	s_waitcnt vmcnt(3)
	v_dot4c_i32_i8_e32 v38, v58, v52
	v_dot4c_i32_i8_e32 v39, v56, v52
	;; [unrolled: 1-line block ×4, first 2 shown]
	v_pk_mul_f32 v[42:43], v[28:29], v[26:27]
	s_waitcnt vmcnt(2)
	v_cvt_f32_f16_e32 v26, v62
	v_dot4c_i32_i8_e32 v31, v21, v23
	v_dot4c_i32_i8_e32 v32, v55, v23
	;; [unrolled: 1-line block ×6, first 2 shown]
	s_waitcnt vmcnt(1)
	v_dot4c_i32_i8_e32 v34, v58, v24
	v_dot4c_i32_i8_e32 v35, v56, v24
	s_waitcnt vmcnt(0)
	v_cvt_f32_f16_e32 v22, v30
	v_dot4c_i32_i8_e32 v34, v21, v25
	v_dot4c_i32_i8_e32 v35, v55, v25
	v_cvt_f32_f16_e32 v24, v60
	v_cvt_f32_f16_e32 v30, v61
	v_dot4c_i32_i8_e32 v40, v21, v51
	v_dot4c_i32_i8_e32 v41, v55, v51
	v_cvt_f32_i32_e32 v35, v35
	v_cvt_f32_i32_e32 v34, v34
	;; [unrolled: 1-line block ×10, first 2 shown]
	v_mov_b32_e32 v29, v27
	v_mov_b32_e32 v44, v28
	v_pk_mul_f32 v[22:23], v[28:29], v[22:23] op_sel_hi:[1,0]
	v_mov_b32_e32 v45, v26
	v_pk_mul_f32 v[24:25], v[28:29], v[24:25] op_sel_hi:[1,0]
	v_pk_mul_f32 v[28:29], v[28:29], v[30:31] op_sel_hi:[1,0]
	v_pk_fma_f32 v[6:7], v[22:23], v[34:35], v[6:7]
	v_pk_mul_f32 v[22:23], v[44:45], v[26:27]
	v_pk_fma_f32 v[4:5], v[42:43], v[32:33], v[4:5]
	v_pk_fma_f32 v[0:1], v[24:25], v[36:37], v[0:1]
	;; [unrolled: 1-line block ×4, first 2 shown]
	s_andn2_b64 exec, exec, s[12:13]
	s_cbranch_execnz .LBB68_2
; %bb.3:
	s_or_b64 exec, exec, s[12:13]
	scratch_store_dwordx4 off, v[4:7], off
	scratch_store_dwordx4 off, v[0:3], off offset:16
	scratch_store_dwordx2 off, v[14:15], off offset:32
.LBB68_4:
	s_or_b64 exec, exec, s[6:7]
	s_mov_b32 s5, 0
	v_cmp_eq_u32_e32 vcc, 0, v9
	s_waitcnt lgkmcnt(0)
	; wave barrier
	s_and_saveexec_b64 s[6:7], vcc
	s_cbranch_execz .LBB68_15
; %bb.5:
	scratch_load_dwordx2 v[2:3], off, off
	v_mbcnt_lo_u32_b32 v0, -1, 0
	v_mbcnt_hi_u32_b32 v9, -1, v0
	s_load_dwordx2 s[6:7], s[0:1], 0x38
	s_mul_i32 s0, s3, s14
	v_or_b32_e32 v1, s2, v8
	v_and_b32_e32 v0, 64, v9
	s_mul_i32 s4, s4, s18
	s_add_i32 s2, s0, s2
	v_cmp_gt_u32_e64 s[0:1], s10, v1
	v_xor_b32_e32 v1, 32, v9
	v_add_u32_e32 v14, 64, v0
	s_add_i32 s4, s2, s4
	v_cmp_lt_i32_e64 s[2:3], v1, v14
	v_cmp_gt_u32_e32 vcc, 2, v8
	s_nop 0
	v_cndmask_b32_e64 v0, v9, v1, s[2:3]
	v_lshlrev_b32_e32 v0, 2, v0
	v_xor_b32_e32 v1, 16, v9
	v_cmp_lt_i32_e64 s[2:3], v1, v14
	s_waitcnt vmcnt(0)
	ds_bpermute_b32 v4, v0, v2
	ds_bpermute_b32 v5, v0, v3
	v_cndmask_b32_e64 v1, v9, v1, s[2:3]
	v_lshlrev_b32_e32 v1, 2, v1
	s_waitcnt lgkmcnt(0)
	v_pk_add_f32 v[4:5], v[2:3], v[4:5]
	ds_bpermute_b32 v6, v1, v4
	ds_bpermute_b32 v7, v1, v5
	v_xor_b32_e32 v2, 8, v9
	v_cmp_lt_i32_e64 s[2:3], v2, v14
	v_xor_b32_e32 v3, 4, v9
	s_waitcnt lgkmcnt(0)
	v_pk_add_f32 v[4:5], v[4:5], v[6:7]
	v_cndmask_b32_e64 v2, v9, v2, s[2:3]
	v_lshlrev_b32_e32 v2, 2, v2
	ds_bpermute_b32 v6, v2, v4
	ds_bpermute_b32 v7, v2, v5
	v_cmp_lt_i32_e64 s[2:3], v3, v14
	s_waitcnt lgkmcnt(0)
	v_pk_add_f32 v[6:7], v[4:5], v[6:7]
	v_cndmask_b32_e64 v3, v9, v3, s[2:3]
	v_lshlrev_b32_e32 v3, 2, v3
	ds_bpermute_b32 v10, v3, v6
	ds_bpermute_b32 v11, v3, v7
	v_xor_b32_e32 v4, 2, v9
	v_cmp_lt_i32_e64 s[2:3], v4, v14
	v_xor_b32_e32 v5, 1, v9
	s_waitcnt lgkmcnt(0)
	v_pk_add_f32 v[10:11], v[6:7], v[10:11]
	v_cndmask_b32_e64 v4, v9, v4, s[2:3]
	v_lshlrev_b32_e32 v4, 2, v4
	ds_bpermute_b32 v12, v4, v10
	ds_bpermute_b32 v13, v4, v11
	v_cmp_lt_i32_e64 s[2:3], v5, v14
	s_waitcnt lgkmcnt(0)
	v_pk_add_f32 v[10:11], v[10:11], v[12:13]
	v_cndmask_b32_e64 v5, v9, v5, s[2:3]
	v_lshlrev_b32_e32 v6, 2, v5
	ds_bpermute_b32 v12, v6, v10
	ds_bpermute_b32 v13, v6, v11
	s_lshl_b64 s[2:3], s[4:5], 2
	s_add_u32 s2, s6, s2
	s_addc_u32 s3, s7, s3
	s_and_b64 s[0:1], vcc, s[0:1]
	s_waitcnt lgkmcnt(0)
	v_pk_add_f32 v[10:11], v[10:11], v[12:13]
	v_lshlrev_b32_e32 v5, 2, v8
	scratch_store_dwordx2 off, v[10:11], off
	s_and_saveexec_b64 s[4:5], s[0:1]
	s_cbranch_execz .LBB68_7
; %bb.6:
	scratch_load_dword v7, v5, off
	s_waitcnt vmcnt(0)
	global_store_dword v5, v7, s[2:3]
.LBB68_7:
	s_or_b64 exec, exec, s[4:5]
	scratch_load_dwordx2 v[10:11], off, off offset:8
	s_waitcnt vmcnt(0)
	ds_bpermute_b32 v12, v0, v10
	ds_bpermute_b32 v13, v0, v11
	s_waitcnt lgkmcnt(0)
	v_pk_add_f32 v[10:11], v[10:11], v[12:13]
	ds_bpermute_b32 v12, v1, v10
	ds_bpermute_b32 v13, v1, v11
	s_waitcnt lgkmcnt(0)
	v_pk_add_f32 v[10:11], v[10:11], v[12:13]
	;; [unrolled: 4-line block ×6, first 2 shown]
	scratch_store_dwordx2 off, v[10:11], off offset:8
	s_and_saveexec_b64 s[4:5], s[0:1]
	s_cbranch_execz .LBB68_9
; %bb.8:
	scratch_load_dword v7, v5, off offset:8
	v_add_u32_e32 v10, s10, v8
	v_mov_b32_e32 v11, 0
	v_lshl_add_u64 v[10:11], v[10:11], 2, s[2:3]
	s_waitcnt vmcnt(0)
	global_store_dword v[10:11], v7, off
.LBB68_9:
	s_or_b64 exec, exec, s[4:5]
	scratch_load_dwordx2 v[10:11], off, off offset:16
	s_waitcnt vmcnt(0)
	ds_bpermute_b32 v12, v0, v10
	ds_bpermute_b32 v13, v0, v11
	s_waitcnt lgkmcnt(0)
	v_pk_add_f32 v[10:11], v[10:11], v[12:13]
	ds_bpermute_b32 v12, v1, v10
	ds_bpermute_b32 v13, v1, v11
	s_waitcnt lgkmcnt(0)
	v_pk_add_f32 v[10:11], v[10:11], v[12:13]
	;; [unrolled: 4-line block ×6, first 2 shown]
	scratch_store_dwordx2 off, v[10:11], off offset:16
	s_and_saveexec_b64 s[4:5], s[0:1]
	s_cbranch_execz .LBB68_11
; %bb.10:
	scratch_load_dword v7, v5, off offset:16
	v_lshl_or_b32 v10, s10, 1, v8
	v_mov_b32_e32 v11, 0
	v_lshl_add_u64 v[10:11], v[10:11], 2, s[2:3]
	s_waitcnt vmcnt(0)
	global_store_dword v[10:11], v7, off
.LBB68_11:
	s_or_b64 exec, exec, s[4:5]
	scratch_load_dwordx2 v[10:11], off, off offset:24
	s_waitcnt vmcnt(0)
	ds_bpermute_b32 v12, v0, v10
	ds_bpermute_b32 v13, v0, v11
	s_waitcnt lgkmcnt(0)
	v_pk_add_f32 v[10:11], v[10:11], v[12:13]
	ds_bpermute_b32 v12, v1, v10
	ds_bpermute_b32 v13, v1, v11
	s_waitcnt lgkmcnt(0)
	v_pk_add_f32 v[10:11], v[10:11], v[12:13]
	;; [unrolled: 4-line block ×6, first 2 shown]
	scratch_store_dwordx2 off, v[10:11], off offset:24
	s_and_saveexec_b64 s[4:5], s[0:1]
	s_cbranch_execz .LBB68_13
; %bb.12:
	scratch_load_dword v7, v5, off offset:24
	v_mad_u64_u32 v[10:11], s[6:7], s10, 3, v[8:9]
	v_mov_b32_e32 v11, 0
	v_lshl_add_u64 v[10:11], v[10:11], 2, s[2:3]
	s_waitcnt vmcnt(0)
	global_store_dword v[10:11], v7, off
.LBB68_13:
	s_or_b64 exec, exec, s[4:5]
	scratch_load_dwordx2 v[10:11], off, off offset:32
	s_waitcnt vmcnt(0)
	ds_bpermute_b32 v12, v0, v10
	ds_bpermute_b32 v13, v0, v11
	s_waitcnt lgkmcnt(0)
	v_pk_add_f32 v[10:11], v[10:11], v[12:13]
	ds_bpermute_b32 v0, v1, v10
	ds_bpermute_b32 v1, v1, v11
	s_waitcnt lgkmcnt(0)
	v_pk_add_f32 v[0:1], v[10:11], v[0:1]
	ds_bpermute_b32 v10, v2, v0
	ds_bpermute_b32 v11, v2, v1
	s_waitcnt lgkmcnt(0)
	v_pk_add_f32 v[0:1], v[0:1], v[10:11]
	ds_bpermute_b32 v2, v3, v0
	ds_bpermute_b32 v3, v3, v1
	s_waitcnt lgkmcnt(0)
	v_pk_add_f32 v[0:1], v[0:1], v[2:3]
	ds_bpermute_b32 v2, v4, v0
	ds_bpermute_b32 v3, v4, v1
	s_waitcnt lgkmcnt(0)
	v_pk_add_f32 v[0:1], v[0:1], v[2:3]
	ds_bpermute_b32 v2, v6, v0
	ds_bpermute_b32 v3, v6, v1
	s_waitcnt lgkmcnt(0)
	v_pk_add_f32 v[0:1], v[0:1], v[2:3]
	scratch_store_dwordx2 off, v[0:1], off offset:32
	s_and_b64 exec, exec, s[0:1]
	s_cbranch_execz .LBB68_15
; %bb.14:
	scratch_load_dword v2, v5, off offset:32
	v_lshl_or_b32 v0, s10, 2, v8
	v_mov_b32_e32 v1, 0
	v_lshl_add_u64 v[0:1], v[0:1], 2, s[2:3]
	s_waitcnt vmcnt(0)
	global_store_dword v[0:1], v2, off
.LBB68_15:
	s_endpgm
	.section	.rodata,"a",@progbits
	.p2align	6, 0x0
	.amdhsa_kernel _ZL13mul_mat_vec_qIL9ggml_type8ELi5ELb0ELb0EEvPKvS2_PKi31ggml_cuda_mm_fusion_args_devicePfj15HIP_vector_typeIjLj3EEjjjS8_jjjS8_jjjj
		.amdhsa_group_segment_fixed_size 0
		.amdhsa_private_segment_fixed_size 48
		.amdhsa_kernarg_size 144
		.amdhsa_user_sgpr_count 2
		.amdhsa_user_sgpr_dispatch_ptr 0
		.amdhsa_user_sgpr_queue_ptr 0
		.amdhsa_user_sgpr_kernarg_segment_ptr 1
		.amdhsa_user_sgpr_dispatch_id 0
		.amdhsa_user_sgpr_kernarg_preload_length 0
		.amdhsa_user_sgpr_kernarg_preload_offset 0
		.amdhsa_user_sgpr_private_segment_size 0
		.amdhsa_uses_dynamic_stack 0
		.amdhsa_enable_private_segment 1
		.amdhsa_system_sgpr_workgroup_id_x 1
		.amdhsa_system_sgpr_workgroup_id_y 1
		.amdhsa_system_sgpr_workgroup_id_z 1
		.amdhsa_system_sgpr_workgroup_info 0
		.amdhsa_system_vgpr_workitem_id 1
		.amdhsa_next_free_vgpr 63
		.amdhsa_next_free_sgpr 28
		.amdhsa_accum_offset 64
		.amdhsa_reserve_vcc 1
		.amdhsa_float_round_mode_32 0
		.amdhsa_float_round_mode_16_64 0
		.amdhsa_float_denorm_mode_32 3
		.amdhsa_float_denorm_mode_16_64 3
		.amdhsa_dx10_clamp 1
		.amdhsa_ieee_mode 1
		.amdhsa_fp16_overflow 0
		.amdhsa_tg_split 0
		.amdhsa_exception_fp_ieee_invalid_op 0
		.amdhsa_exception_fp_denorm_src 0
		.amdhsa_exception_fp_ieee_div_zero 0
		.amdhsa_exception_fp_ieee_overflow 0
		.amdhsa_exception_fp_ieee_underflow 0
		.amdhsa_exception_fp_ieee_inexact 0
		.amdhsa_exception_int_div_zero 0
	.end_amdhsa_kernel
	.section	.text._ZL13mul_mat_vec_qIL9ggml_type8ELi5ELb0ELb0EEvPKvS2_PKi31ggml_cuda_mm_fusion_args_devicePfj15HIP_vector_typeIjLj3EEjjjS8_jjjS8_jjjj,"axG",@progbits,_ZL13mul_mat_vec_qIL9ggml_type8ELi5ELb0ELb0EEvPKvS2_PKi31ggml_cuda_mm_fusion_args_devicePfj15HIP_vector_typeIjLj3EEjjjS8_jjjS8_jjjj,comdat
.Lfunc_end68:
	.size	_ZL13mul_mat_vec_qIL9ggml_type8ELi5ELb0ELb0EEvPKvS2_PKi31ggml_cuda_mm_fusion_args_devicePfj15HIP_vector_typeIjLj3EEjjjS8_jjjS8_jjjj, .Lfunc_end68-_ZL13mul_mat_vec_qIL9ggml_type8ELi5ELb0ELb0EEvPKvS2_PKi31ggml_cuda_mm_fusion_args_devicePfj15HIP_vector_typeIjLj3EEjjjS8_jjjS8_jjjj
                                        ; -- End function
	.section	.AMDGPU.csdata,"",@progbits
; Kernel info:
; codeLenInByte = 2444
; NumSgprs: 34
; NumVgprs: 63
; NumAgprs: 0
; TotalNumVgprs: 63
; ScratchSize: 48
; MemoryBound: 0
; FloatMode: 240
; IeeeMode: 1
; LDSByteSize: 0 bytes/workgroup (compile time only)
; SGPRBlocks: 4
; VGPRBlocks: 7
; NumSGPRsForWavesPerEU: 34
; NumVGPRsForWavesPerEU: 63
; AccumOffset: 64
; Occupancy: 8
; WaveLimiterHint : 0
; COMPUTE_PGM_RSRC2:SCRATCH_EN: 1
; COMPUTE_PGM_RSRC2:USER_SGPR: 2
; COMPUTE_PGM_RSRC2:TRAP_HANDLER: 0
; COMPUTE_PGM_RSRC2:TGID_X_EN: 1
; COMPUTE_PGM_RSRC2:TGID_Y_EN: 1
; COMPUTE_PGM_RSRC2:TGID_Z_EN: 1
; COMPUTE_PGM_RSRC2:TIDIG_COMP_CNT: 1
; COMPUTE_PGM_RSRC3_GFX90A:ACCUM_OFFSET: 15
; COMPUTE_PGM_RSRC3_GFX90A:TG_SPLIT: 0
	.section	.text._ZL13mul_mat_vec_qIL9ggml_type8ELi6ELb0ELb0EEvPKvS2_PKi31ggml_cuda_mm_fusion_args_devicePfj15HIP_vector_typeIjLj3EEjjjS8_jjjS8_jjjj,"axG",@progbits,_ZL13mul_mat_vec_qIL9ggml_type8ELi6ELb0ELb0EEvPKvS2_PKi31ggml_cuda_mm_fusion_args_devicePfj15HIP_vector_typeIjLj3EEjjjS8_jjjS8_jjjj,comdat
	.globl	_ZL13mul_mat_vec_qIL9ggml_type8ELi6ELb0ELb0EEvPKvS2_PKi31ggml_cuda_mm_fusion_args_devicePfj15HIP_vector_typeIjLj3EEjjjS8_jjjS8_jjjj ; -- Begin function _ZL13mul_mat_vec_qIL9ggml_type8ELi6ELb0ELb0EEvPKvS2_PKi31ggml_cuda_mm_fusion_args_devicePfj15HIP_vector_typeIjLj3EEjjjS8_jjjS8_jjjj
	.p2align	8
	.type	_ZL13mul_mat_vec_qIL9ggml_type8ELi6ELb0ELb0EEvPKvS2_PKi31ggml_cuda_mm_fusion_args_devicePfj15HIP_vector_typeIjLj3EEjjjS8_jjjS8_jjjj,@function
_ZL13mul_mat_vec_qIL9ggml_type8ELi6ELb0ELb0EEvPKvS2_PKi31ggml_cuda_mm_fusion_args_devicePfj15HIP_vector_typeIjLj3EEjjjS8_jjjS8_jjjj: ; @_ZL13mul_mat_vec_qIL9ggml_type8ELi6ELb0ELb0EEvPKvS2_PKi31ggml_cuda_mm_fusion_args_devicePfj15HIP_vector_typeIjLj3EEjjjS8_jjjS8_jjjj
; %bb.0:
	v_bfe_u32 v13, v0, 10, 10
	v_and_b32_e32 v12, 0x3ff, v0
	s_mov_b32 s20, 0
	s_load_dword s5, s[0:1], 0x40
	s_load_dwordx4 s[8:11], s[0:1], 0x50
	s_load_dword s25, s[0:1], 0x60
	s_load_dwordx4 s[12:15], s[0:1], 0x68
	;; [unrolled: 2-line block ×3, first 2 shown]
	v_lshl_or_b32 v4, v13, 6, v12
	s_mov_b32 s21, s20
	s_waitcnt lgkmcnt(0)
	s_lshr_b32 s5, s5, 5
	s_mov_b32 s22, s20
	s_mov_b32 s23, s20
	v_mov_b64_e32 v[0:1], s[20:21]
	v_lshrrev_b32_e32 v22, 2, v4
	s_lshl_b32 s2, s2, 1
	v_mov_b64_e32 v[2:3], s[22:23]
	v_cmp_gt_u32_e32 vcc, s5, v22
	scratch_store_dwordx4 off, v[0:3], off offset:32
	scratch_store_dwordx4 off, v[0:3], off offset:16
	scratch_store_dwordx4 off, v[0:3], off
	s_and_saveexec_b64 s[6:7], vcc
	s_cbranch_execz .LBB69_4
; %bb.1:
	s_load_dwordx4 s[20:23], s[0:1], 0x0
	s_mul_i32 s17, s4, s17
	s_mul_hi_u32 s19, s17, 36
	s_mul_i32 s17, s17, 36
	s_mul_i32 s13, s3, s13
	s_waitcnt lgkmcnt(0)
	s_add_u32 s17, s22, s17
	s_addc_u32 s19, s23, s19
	s_mul_hi_u32 s23, s13, 36
	s_mul_i32 s13, s13, 36
	s_add_u32 s22, s17, s13
	s_mul_hi_u32 s11, s11, s3
	s_addc_u32 s23, s19, s23
	s_add_i32 s11, s3, s11
	s_lshr_b32 s11, s11, s25
	v_and_b32_e32 v1, 3, v12
	s_mul_i32 s17, s11, s12
	s_mul_hi_u32 s11, s15, s4
	v_lshlrev_b32_e32 v14, 3, v1
	v_lshl_add_u32 v1, v13, 6, v12
	s_add_i32 s11, s4, s11
	v_lshrrev_b32_e32 v1, 2, v1
	s_lshr_b32 s11, s11, s24
	v_lshlrev_b32_e32 v0, 1, v12
	v_mad_u64_u32 v[16:17], s[12:13], v1, 36, s[22:23]
	s_mul_i32 s16, s11, s16
	v_and_b32_e32 v0, 6, v0
	s_add_i32 s13, s2, 1
	v_lshlrev_b32_e32 v2, 1, v0
	v_mov_b32_e32 v15, 0
	s_mul_i32 s25, s2, s8
	s_add_i32 s12, s16, s17
	s_mul_i32 s8, s8, s13
	s_lshl_b32 s11, s9, 1
	s_mul_i32 s15, s9, 3
	s_lshl_b32 s19, s9, 2
	s_mul_i32 s24, s9, 5
	s_add_i32 s8, s12, s8
	s_add_i32 s25, s12, s25
	s_mov_b64 s[12:13], 0
	v_lshlrev_b32_e32 v18, 1, v2
	v_lshlrev_b32_e32 v20, 2, v0
	s_mov_b64 s[16:17], 0x240
	v_mov_b32_e32 v19, v15
	v_mov_b32_e32 v21, v15
	;; [unrolled: 1-line block ×14, first 2 shown]
.LBB69_2:                               ; =>This Inner Loop Header: Depth=1
	global_load_dword v56, v[16:17], off
	v_add_u32_e32 v23, s25, v22
	v_lshl_add_u64 v[24:25], v[16:17], 0, v[14:15]
	global_load_dwordx2 v[24:25], v[24:25], off offset:4
	v_add_u32_e32 v28, s8, v22
	v_add_u32_e32 v30, s9, v22
	;; [unrolled: 1-line block ×6, first 2 shown]
	v_mad_i64_i32 v[26:27], s[26:27], v23, 34, s[20:21]
	v_mad_i64_i32 v[28:29], s[26:27], v28, 34, s[20:21]
	v_mad_u64_u32 v[30:31], s[26:27], v30, 36, s[22:23]
	v_mad_u64_u32 v[32:33], s[26:27], v32, 36, s[22:23]
	;; [unrolled: 1-line block ×5, first 2 shown]
	v_lshl_add_u64 v[40:41], v[26:27], 0, v[18:19]
	v_lshl_add_u64 v[42:43], v[28:29], 0, v[18:19]
	;; [unrolled: 1-line block ×7, first 2 shown]
	global_load_dword v23, v[40:41], off offset:6
	global_load_dword v57, v[42:43], off offset:6
	global_load_ushort v58, v[28:29], off
	global_load_ushort v59, v[26:27], off
	global_load_dword v60, v[40:41], off offset:2
	global_load_dword v61, v[42:43], off offset:2
	global_load_dword v62, v[32:33], off
	global_load_dword v63, v[30:31], off
	global_load_dwordx2 v[54:55], v[44:45], off offset:4
                                        ; kill: killed $vgpr44_vgpr45
                                        ; kill: killed $vgpr26_vgpr27
                                        ; kill: killed $vgpr30_vgpr31
                                        ; kill: killed $vgpr28_vgpr29
                                        ; kill: killed $vgpr32_vgpr33
                                        ; kill: killed $vgpr40_vgpr41
                                        ; kill: killed $vgpr42_vgpr43
	global_load_dwordx2 v[26:27], v[46:47], off offset:4
	global_load_dwordx2 v[28:29], v[48:49], off offset:4
	s_nop 0
	global_load_dwordx2 v[30:31], v[50:51], off offset:4
	global_load_dwordx2 v[32:33], v[52:53], off offset:4
	global_load_dword v40, v[36:37], off
	global_load_dword v64, v[34:35], off
	;; [unrolled: 1-line block ×3, first 2 shown]
	v_mov_b32_e32 v43, 0
	v_mov_b32_e32 v44, 0
	;; [unrolled: 1-line block ×12, first 2 shown]
	v_add_u32_e32 v22, 16, v22
	v_cmp_le_u32_e32 vcc, s5, v22
	v_lshl_add_u64 v[16:17], v[16:17], 0, s[16:17]
	s_or_b64 s[12:13], vcc, s[12:13]
	s_waitcnt vmcnt(17)
	v_cvt_f32_f16_e32 v34, v56
	v_mov_b32_e32 v37, v34
	s_waitcnt vmcnt(13)
	v_cvt_f32_f16_e32 v35, v58
	s_waitcnt vmcnt(12)
	v_cvt_f32_f16_e32 v36, v59
	s_waitcnt vmcnt(11)
	v_dot4c_i32_i8_e32 v39, v60, v24
	s_waitcnt vmcnt(10)
	v_dot4c_i32_i8_e32 v42, v61, v24
	s_waitcnt vmcnt(9)
	v_cvt_f32_f16_e32 v38, v62
	s_waitcnt vmcnt(8)
	v_cvt_f32_f16_e32 v24, v63
	s_waitcnt vmcnt(7)
	v_dot4c_i32_i8_e32 v43, v60, v54
	v_dot4c_i32_i8_e32 v44, v61, v54
	;; [unrolled: 1-line block ×6, first 2 shown]
	s_waitcnt vmcnt(6)
	v_dot4c_i32_i8_e32 v45, v60, v26
	s_waitcnt vmcnt(5)
	v_dot4c_i32_i8_e32 v48, v61, v28
	;; [unrolled: 2-line block ×4, first 2 shown]
	v_dot4c_i32_i8_e32 v52, v61, v32
	v_dot4c_i32_i8_e32 v48, v57, v29
	;; [unrolled: 1-line block ×8, first 2 shown]
	v_cvt_f32_i32_e32 v33, v44
	v_cvt_f32_i32_e32 v32, v43
	v_cvt_f32_i32_e32 v43, v48
	v_cvt_f32_i32_e32 v44, v49
	v_pk_mul_f32 v[48:49], v[36:37], v[34:35]
	s_waitcnt vmcnt(1)
	v_cvt_f32_f16_e32 v34, v64
	v_cvt_f32_f16_e32 v26, v40
	s_waitcnt vmcnt(0)
	v_cvt_f32_f16_e32 v28, v41
	v_dot4c_i32_i8_e32 v45, v23, v27
	v_dot4c_i32_i8_e32 v46, v57, v27
	;; [unrolled: 1-line block ×4, first 2 shown]
	v_cvt_f32_i32_e32 v31, v42
	v_cvt_f32_i32_e32 v30, v39
	;; [unrolled: 1-line block ×8, first 2 shown]
	v_mov_b32_e32 v37, v35
	v_mov_b32_e32 v50, v36
	v_pk_mul_f32 v[24:25], v[36:37], v[24:25] op_sel_hi:[1,0]
	v_mov_b32_e32 v51, v34
	v_pk_mul_f32 v[38:39], v[36:37], v[38:39] op_sel_hi:[1,0]
	v_pk_mul_f32 v[26:27], v[36:37], v[26:27] op_sel_hi:[1,0]
	;; [unrolled: 1-line block ×3, first 2 shown]
	v_pk_fma_f32 v[10:11], v[24:25], v[32:33], v[10:11]
	v_pk_mul_f32 v[24:25], v[50:51], v[34:35]
	v_pk_fma_f32 v[8:9], v[48:49], v[30:31], v[8:9]
	v_pk_fma_f32 v[4:5], v[38:39], v[40:41], v[4:5]
	;; [unrolled: 1-line block ×5, first 2 shown]
	s_andn2_b64 exec, exec, s[12:13]
	s_cbranch_execnz .LBB69_2
; %bb.3:
	s_or_b64 exec, exec, s[12:13]
	scratch_store_dwordx4 off, v[8:11], off
	scratch_store_dwordx4 off, v[4:7], off offset:16
	scratch_store_dwordx4 off, v[0:3], off offset:32
.LBB69_4:
	s_or_b64 exec, exec, s[6:7]
	s_mov_b32 s5, 0
	v_cmp_eq_u32_e32 vcc, 0, v13
	s_waitcnt lgkmcnt(0)
	; wave barrier
	s_and_saveexec_b64 s[6:7], vcc
	s_cbranch_execz .LBB69_17
; %bb.5:
	scratch_load_dwordx2 v[2:3], off, off
	v_mbcnt_lo_u32_b32 v0, -1, 0
	v_mbcnt_hi_u32_b32 v13, -1, v0
	s_load_dwordx2 s[6:7], s[0:1], 0x38
	s_mul_i32 s0, s3, s14
	v_or_b32_e32 v1, s2, v12
	v_and_b32_e32 v0, 64, v13
	s_mul_i32 s4, s4, s18
	s_add_i32 s2, s0, s2
	v_cmp_gt_u32_e64 s[0:1], s10, v1
	v_xor_b32_e32 v1, 32, v13
	v_add_u32_e32 v14, 64, v0
	s_add_i32 s4, s2, s4
	v_cmp_lt_i32_e64 s[2:3], v1, v14
	v_cmp_gt_u32_e32 vcc, 2, v12
	s_nop 0
	v_cndmask_b32_e64 v0, v13, v1, s[2:3]
	v_lshlrev_b32_e32 v0, 2, v0
	v_xor_b32_e32 v1, 16, v13
	v_cmp_lt_i32_e64 s[2:3], v1, v14
	s_waitcnt vmcnt(0)
	ds_bpermute_b32 v4, v0, v2
	ds_bpermute_b32 v5, v0, v3
	v_cndmask_b32_e64 v1, v13, v1, s[2:3]
	v_lshlrev_b32_e32 v1, 2, v1
	s_waitcnt lgkmcnt(0)
	v_pk_add_f32 v[4:5], v[2:3], v[4:5]
	ds_bpermute_b32 v6, v1, v4
	ds_bpermute_b32 v7, v1, v5
	v_xor_b32_e32 v2, 8, v13
	v_cmp_lt_i32_e64 s[2:3], v2, v14
	v_xor_b32_e32 v3, 4, v13
	s_waitcnt lgkmcnt(0)
	v_pk_add_f32 v[4:5], v[4:5], v[6:7]
	v_cndmask_b32_e64 v2, v13, v2, s[2:3]
	v_lshlrev_b32_e32 v2, 2, v2
	ds_bpermute_b32 v6, v2, v4
	ds_bpermute_b32 v7, v2, v5
	v_cmp_lt_i32_e64 s[2:3], v3, v14
	s_waitcnt lgkmcnt(0)
	v_pk_add_f32 v[6:7], v[4:5], v[6:7]
	v_cndmask_b32_e64 v3, v13, v3, s[2:3]
	v_lshlrev_b32_e32 v3, 2, v3
	ds_bpermute_b32 v8, v3, v6
	ds_bpermute_b32 v9, v3, v7
	v_xor_b32_e32 v4, 2, v13
	v_cmp_lt_i32_e64 s[2:3], v4, v14
	v_xor_b32_e32 v5, 1, v13
	s_waitcnt lgkmcnt(0)
	v_pk_add_f32 v[8:9], v[6:7], v[8:9]
	v_cndmask_b32_e64 v4, v13, v4, s[2:3]
	v_lshlrev_b32_e32 v4, 2, v4
	ds_bpermute_b32 v10, v4, v8
	ds_bpermute_b32 v11, v4, v9
	v_cmp_lt_i32_e64 s[2:3], v5, v14
	s_waitcnt lgkmcnt(0)
	v_pk_add_f32 v[8:9], v[8:9], v[10:11]
	v_cndmask_b32_e64 v5, v13, v5, s[2:3]
	v_lshlrev_b32_e32 v6, 2, v5
	ds_bpermute_b32 v10, v6, v8
	ds_bpermute_b32 v11, v6, v9
	s_lshl_b64 s[2:3], s[4:5], 2
	s_add_u32 s2, s6, s2
	s_addc_u32 s3, s7, s3
	s_and_b64 s[0:1], vcc, s[0:1]
	s_waitcnt lgkmcnt(0)
	v_pk_add_f32 v[8:9], v[8:9], v[10:11]
	v_lshlrev_b32_e32 v5, 2, v12
	scratch_store_dwordx2 off, v[8:9], off
	s_and_saveexec_b64 s[4:5], s[0:1]
	s_cbranch_execz .LBB69_7
; %bb.6:
	scratch_load_dword v7, v5, off
	s_waitcnt vmcnt(0)
	global_store_dword v5, v7, s[2:3]
.LBB69_7:
	s_or_b64 exec, exec, s[4:5]
	scratch_load_dwordx2 v[8:9], off, off offset:8
	s_waitcnt vmcnt(0)
	ds_bpermute_b32 v10, v0, v8
	ds_bpermute_b32 v11, v0, v9
	s_waitcnt lgkmcnt(0)
	v_pk_add_f32 v[8:9], v[8:9], v[10:11]
	ds_bpermute_b32 v10, v1, v8
	ds_bpermute_b32 v11, v1, v9
	s_waitcnt lgkmcnt(0)
	v_pk_add_f32 v[8:9], v[8:9], v[10:11]
	;; [unrolled: 4-line block ×6, first 2 shown]
	scratch_store_dwordx2 off, v[8:9], off offset:8
	s_and_saveexec_b64 s[4:5], s[0:1]
	s_cbranch_execz .LBB69_9
; %bb.8:
	scratch_load_dword v7, v5, off offset:8
	v_add_u32_e32 v8, s10, v12
	v_mov_b32_e32 v9, 0
	v_lshl_add_u64 v[8:9], v[8:9], 2, s[2:3]
	s_waitcnt vmcnt(0)
	global_store_dword v[8:9], v7, off
.LBB69_9:
	s_or_b64 exec, exec, s[4:5]
	scratch_load_dwordx2 v[8:9], off, off offset:16
	s_waitcnt vmcnt(0)
	ds_bpermute_b32 v10, v0, v8
	ds_bpermute_b32 v11, v0, v9
	s_waitcnt lgkmcnt(0)
	v_pk_add_f32 v[8:9], v[8:9], v[10:11]
	ds_bpermute_b32 v10, v1, v8
	ds_bpermute_b32 v11, v1, v9
	s_waitcnt lgkmcnt(0)
	v_pk_add_f32 v[8:9], v[8:9], v[10:11]
	;; [unrolled: 4-line block ×6, first 2 shown]
	scratch_store_dwordx2 off, v[8:9], off offset:16
	s_and_saveexec_b64 s[4:5], s[0:1]
	s_cbranch_execz .LBB69_11
; %bb.10:
	scratch_load_dword v7, v5, off offset:16
	v_lshl_or_b32 v8, s10, 1, v12
	v_mov_b32_e32 v9, 0
	v_lshl_add_u64 v[8:9], v[8:9], 2, s[2:3]
	s_waitcnt vmcnt(0)
	global_store_dword v[8:9], v7, off
.LBB69_11:
	s_or_b64 exec, exec, s[4:5]
	scratch_load_dwordx2 v[8:9], off, off offset:24
	s_waitcnt vmcnt(0)
	ds_bpermute_b32 v10, v0, v8
	ds_bpermute_b32 v11, v0, v9
	s_waitcnt lgkmcnt(0)
	v_pk_add_f32 v[8:9], v[8:9], v[10:11]
	ds_bpermute_b32 v10, v1, v8
	ds_bpermute_b32 v11, v1, v9
	s_waitcnt lgkmcnt(0)
	v_pk_add_f32 v[8:9], v[8:9], v[10:11]
	ds_bpermute_b32 v10, v2, v8
	ds_bpermute_b32 v11, v2, v9
	s_waitcnt lgkmcnt(0)
	v_pk_add_f32 v[8:9], v[8:9], v[10:11]
	ds_bpermute_b32 v10, v3, v8
	ds_bpermute_b32 v11, v3, v9
	s_waitcnt lgkmcnt(0)
	v_pk_add_f32 v[8:9], v[8:9], v[10:11]
	ds_bpermute_b32 v10, v4, v8
	ds_bpermute_b32 v11, v4, v9
	s_waitcnt lgkmcnt(0)
	v_pk_add_f32 v[8:9], v[8:9], v[10:11]
	ds_bpermute_b32 v10, v6, v8
	ds_bpermute_b32 v11, v6, v9
	s_waitcnt lgkmcnt(0)
	v_pk_add_f32 v[8:9], v[8:9], v[10:11]
	scratch_store_dwordx2 off, v[8:9], off offset:24
	s_and_saveexec_b64 s[4:5], s[0:1]
	s_cbranch_execz .LBB69_13
; %bb.12:
	scratch_load_dword v7, v5, off offset:24
	v_mad_u64_u32 v[8:9], s[6:7], s10, 3, v[12:13]
	v_mov_b32_e32 v9, 0
	v_lshl_add_u64 v[8:9], v[8:9], 2, s[2:3]
	s_waitcnt vmcnt(0)
	global_store_dword v[8:9], v7, off
.LBB69_13:
	s_or_b64 exec, exec, s[4:5]
	scratch_load_dwordx2 v[8:9], off, off offset:32
	s_waitcnt vmcnt(0)
	ds_bpermute_b32 v10, v0, v8
	ds_bpermute_b32 v11, v0, v9
	s_waitcnt lgkmcnt(0)
	v_pk_add_f32 v[8:9], v[8:9], v[10:11]
	ds_bpermute_b32 v10, v1, v8
	ds_bpermute_b32 v11, v1, v9
	s_waitcnt lgkmcnt(0)
	v_pk_add_f32 v[8:9], v[8:9], v[10:11]
	;; [unrolled: 4-line block ×6, first 2 shown]
	scratch_store_dwordx2 off, v[8:9], off offset:32
	s_and_saveexec_b64 s[4:5], s[0:1]
	s_cbranch_execz .LBB69_15
; %bb.14:
	scratch_load_dword v7, v5, off offset:32
	v_lshl_or_b32 v8, s10, 2, v12
	v_mov_b32_e32 v9, 0
	v_lshl_add_u64 v[8:9], v[8:9], 2, s[2:3]
	s_waitcnt vmcnt(0)
	global_store_dword v[8:9], v7, off
.LBB69_15:
	s_or_b64 exec, exec, s[4:5]
	scratch_load_dwordx2 v[8:9], off, off offset:40
	s_waitcnt vmcnt(0)
	ds_bpermute_b32 v10, v0, v8
	ds_bpermute_b32 v11, v0, v9
	s_waitcnt lgkmcnt(0)
	v_pk_add_f32 v[8:9], v[8:9], v[10:11]
	ds_bpermute_b32 v0, v1, v8
	ds_bpermute_b32 v1, v1, v9
	s_waitcnt lgkmcnt(0)
	v_pk_add_f32 v[0:1], v[8:9], v[0:1]
	;; [unrolled: 4-line block ×6, first 2 shown]
	scratch_store_dwordx2 off, v[0:1], off offset:40
	s_and_b64 exec, exec, s[0:1]
	s_cbranch_execz .LBB69_17
; %bb.16:
	scratch_load_dword v2, v5, off offset:40
	v_mad_u64_u32 v[0:1], s[0:1], s10, 5, v[12:13]
	v_mov_b32_e32 v1, 0
	v_lshl_add_u64 v[0:1], v[0:1], 2, s[2:3]
	s_waitcnt vmcnt(0)
	global_store_dword v[0:1], v2, off
.LBB69_17:
	s_endpgm
	.section	.rodata,"a",@progbits
	.p2align	6, 0x0
	.amdhsa_kernel _ZL13mul_mat_vec_qIL9ggml_type8ELi6ELb0ELb0EEvPKvS2_PKi31ggml_cuda_mm_fusion_args_devicePfj15HIP_vector_typeIjLj3EEjjjS8_jjjS8_jjjj
		.amdhsa_group_segment_fixed_size 0
		.amdhsa_private_segment_fixed_size 64
		.amdhsa_kernarg_size 144
		.amdhsa_user_sgpr_count 2
		.amdhsa_user_sgpr_dispatch_ptr 0
		.amdhsa_user_sgpr_queue_ptr 0
		.amdhsa_user_sgpr_kernarg_segment_ptr 1
		.amdhsa_user_sgpr_dispatch_id 0
		.amdhsa_user_sgpr_kernarg_preload_length 0
		.amdhsa_user_sgpr_kernarg_preload_offset 0
		.amdhsa_user_sgpr_private_segment_size 0
		.amdhsa_uses_dynamic_stack 0
		.amdhsa_enable_private_segment 1
		.amdhsa_system_sgpr_workgroup_id_x 1
		.amdhsa_system_sgpr_workgroup_id_y 1
		.amdhsa_system_sgpr_workgroup_id_z 1
		.amdhsa_system_sgpr_workgroup_info 0
		.amdhsa_system_vgpr_workitem_id 1
		.amdhsa_next_free_vgpr 65
		.amdhsa_next_free_sgpr 28
		.amdhsa_accum_offset 68
		.amdhsa_reserve_vcc 1
		.amdhsa_float_round_mode_32 0
		.amdhsa_float_round_mode_16_64 0
		.amdhsa_float_denorm_mode_32 3
		.amdhsa_float_denorm_mode_16_64 3
		.amdhsa_dx10_clamp 1
		.amdhsa_ieee_mode 1
		.amdhsa_fp16_overflow 0
		.amdhsa_tg_split 0
		.amdhsa_exception_fp_ieee_invalid_op 0
		.amdhsa_exception_fp_denorm_src 0
		.amdhsa_exception_fp_ieee_div_zero 0
		.amdhsa_exception_fp_ieee_overflow 0
		.amdhsa_exception_fp_ieee_underflow 0
		.amdhsa_exception_fp_ieee_inexact 0
		.amdhsa_exception_int_div_zero 0
	.end_amdhsa_kernel
	.section	.text._ZL13mul_mat_vec_qIL9ggml_type8ELi6ELb0ELb0EEvPKvS2_PKi31ggml_cuda_mm_fusion_args_devicePfj15HIP_vector_typeIjLj3EEjjjS8_jjjS8_jjjj,"axG",@progbits,_ZL13mul_mat_vec_qIL9ggml_type8ELi6ELb0ELb0EEvPKvS2_PKi31ggml_cuda_mm_fusion_args_devicePfj15HIP_vector_typeIjLj3EEjjjS8_jjjS8_jjjj,comdat
.Lfunc_end69:
	.size	_ZL13mul_mat_vec_qIL9ggml_type8ELi6ELb0ELb0EEvPKvS2_PKi31ggml_cuda_mm_fusion_args_devicePfj15HIP_vector_typeIjLj3EEjjjS8_jjjS8_jjjj, .Lfunc_end69-_ZL13mul_mat_vec_qIL9ggml_type8ELi6ELb0ELb0EEvPKvS2_PKi31ggml_cuda_mm_fusion_args_devicePfj15HIP_vector_typeIjLj3EEjjjS8_jjjS8_jjjj
                                        ; -- End function
	.section	.AMDGPU.csdata,"",@progbits
; Kernel info:
; codeLenInByte = 2808
; NumSgprs: 34
; NumVgprs: 65
; NumAgprs: 0
; TotalNumVgprs: 65
; ScratchSize: 64
; MemoryBound: 0
; FloatMode: 240
; IeeeMode: 1
; LDSByteSize: 0 bytes/workgroup (compile time only)
; SGPRBlocks: 4
; VGPRBlocks: 8
; NumSGPRsForWavesPerEU: 34
; NumVGPRsForWavesPerEU: 65
; AccumOffset: 68
; Occupancy: 7
; WaveLimiterHint : 0
; COMPUTE_PGM_RSRC2:SCRATCH_EN: 1
; COMPUTE_PGM_RSRC2:USER_SGPR: 2
; COMPUTE_PGM_RSRC2:TRAP_HANDLER: 0
; COMPUTE_PGM_RSRC2:TGID_X_EN: 1
; COMPUTE_PGM_RSRC2:TGID_Y_EN: 1
; COMPUTE_PGM_RSRC2:TGID_Z_EN: 1
; COMPUTE_PGM_RSRC2:TIDIG_COMP_CNT: 1
; COMPUTE_PGM_RSRC3_GFX90A:ACCUM_OFFSET: 16
; COMPUTE_PGM_RSRC3_GFX90A:TG_SPLIT: 0
	.section	.text._ZL13mul_mat_vec_qIL9ggml_type8ELi7ELb0ELb0EEvPKvS2_PKi31ggml_cuda_mm_fusion_args_devicePfj15HIP_vector_typeIjLj3EEjjjS8_jjjS8_jjjj,"axG",@progbits,_ZL13mul_mat_vec_qIL9ggml_type8ELi7ELb0ELb0EEvPKvS2_PKi31ggml_cuda_mm_fusion_args_devicePfj15HIP_vector_typeIjLj3EEjjjS8_jjjS8_jjjj,comdat
	.globl	_ZL13mul_mat_vec_qIL9ggml_type8ELi7ELb0ELb0EEvPKvS2_PKi31ggml_cuda_mm_fusion_args_devicePfj15HIP_vector_typeIjLj3EEjjjS8_jjjS8_jjjj ; -- Begin function _ZL13mul_mat_vec_qIL9ggml_type8ELi7ELb0ELb0EEvPKvS2_PKi31ggml_cuda_mm_fusion_args_devicePfj15HIP_vector_typeIjLj3EEjjjS8_jjjS8_jjjj
	.p2align	8
	.type	_ZL13mul_mat_vec_qIL9ggml_type8ELi7ELb0ELb0EEvPKvS2_PKi31ggml_cuda_mm_fusion_args_devicePfj15HIP_vector_typeIjLj3EEjjjS8_jjjS8_jjjj,@function
_ZL13mul_mat_vec_qIL9ggml_type8ELi7ELb0ELb0EEvPKvS2_PKi31ggml_cuda_mm_fusion_args_devicePfj15HIP_vector_typeIjLj3EEjjjS8_jjjS8_jjjj: ; @_ZL13mul_mat_vec_qIL9ggml_type8ELi7ELb0ELb0EEvPKvS2_PKi31ggml_cuda_mm_fusion_args_devicePfj15HIP_vector_typeIjLj3EEjjjS8_jjjS8_jjjj
; %bb.0:
	v_bfe_u32 v13, v0, 10, 10
	v_and_b32_e32 v12, 0x3ff, v0
	s_mov_b32 s20, 0
	s_load_dword s5, s[0:1], 0x40
	s_load_dwordx4 s[8:11], s[0:1], 0x50
	s_load_dword s25, s[0:1], 0x60
	s_load_dwordx4 s[12:15], s[0:1], 0x68
	;; [unrolled: 2-line block ×3, first 2 shown]
	v_lshl_or_b32 v4, v13, 6, v12
	s_mov_b32 s21, s20
	s_waitcnt lgkmcnt(0)
	s_lshr_b32 s5, s5, 5
	v_mov_b32_e32 v15, 0
	s_mov_b32 s22, s20
	s_mov_b32 s23, s20
	v_mov_b64_e32 v[0:1], s[20:21]
	v_lshrrev_b32_e32 v24, 2, v4
	s_lshl_b32 s2, s2, 1
	v_mov_b32_e32 v14, v15
	v_mov_b64_e32 v[2:3], s[22:23]
	v_cmp_gt_u32_e32 vcc, s5, v24
	scratch_store_dwordx2 off, v[14:15], off offset:48
	scratch_store_dwordx4 off, v[0:3], off offset:32
	scratch_store_dwordx4 off, v[0:3], off offset:16
	scratch_store_dwordx4 off, v[0:3], off
	s_and_saveexec_b64 s[6:7], vcc
	s_cbranch_execz .LBB70_4
; %bb.1:
	s_load_dwordx4 s[20:23], s[0:1], 0x0
	s_mul_i32 s17, s4, s17
	s_mul_hi_u32 s19, s17, 36
	s_mul_i32 s17, s17, 36
	s_mul_i32 s13, s3, s13
	s_waitcnt lgkmcnt(0)
	s_add_u32 s17, s22, s17
	s_addc_u32 s19, s23, s19
	s_mul_hi_u32 s23, s13, 36
	s_mul_i32 s13, s13, 36
	s_add_u32 s22, s17, s13
	s_mul_hi_u32 s11, s11, s3
	s_addc_u32 s23, s19, s23
	s_add_i32 s11, s3, s11
	s_lshr_b32 s11, s11, s25
	v_and_b32_e32 v1, 3, v12
	s_mul_i32 s17, s11, s12
	s_mul_hi_u32 s11, s15, s4
	v_lshlrev_b32_e32 v14, 3, v1
	v_lshl_add_u32 v1, v13, 6, v12
	s_add_i32 s11, s4, s11
	v_lshrrev_b32_e32 v1, 2, v1
	s_lshr_b32 s11, s11, s24
	v_lshlrev_b32_e32 v0, 1, v12
	v_mad_u64_u32 v[16:17], s[12:13], v1, 36, s[22:23]
	s_mul_i32 s16, s11, s16
	v_and_b32_e32 v0, 6, v0
	s_add_i32 s13, s2, 1
	v_lshlrev_b32_e32 v2, 1, v0
	s_mul_i32 s26, s2, s8
	s_add_i32 s12, s16, s17
	s_mul_i32 s8, s8, s13
	s_lshl_b32 s11, s9, 1
	s_mul_i32 s15, s9, 3
	s_lshl_b32 s19, s9, 2
	s_mul_i32 s24, s9, 5
	s_mul_i32 s25, s9, 6
	s_add_i32 s8, s12, s8
	s_add_i32 s26, s12, s26
	s_mov_b64 s[12:13], 0
	v_lshlrev_b32_e32 v20, 1, v2
	v_lshlrev_b32_e32 v22, 2, v0
	s_mov_b64 s[16:17], 0x240
	v_mov_b32_e32 v21, v15
	v_mov_b32_e32 v23, v15
	;; [unrolled: 1-line block ×16, first 2 shown]
.LBB70_2:                               ; =>This Inner Loop Header: Depth=1
	v_add_u32_e32 v25, s26, v24
	v_lshl_add_u64 v[26:27], v[16:17], 0, v[14:15]
	v_add_u32_e32 v30, s8, v24
	v_mad_i64_i32 v[28:29], s[28:29], v25, 34, s[20:21]
	global_load_dword v58, v[16:17], off
	v_mad_i64_i32 v[30:31], s[28:29], v30, 34, s[20:21]
	global_load_dwordx2 v[26:27], v[26:27], off offset:4
	v_lshl_add_u64 v[44:45], v[28:29], 0, v[20:21]
	v_add_u32_e32 v32, s9, v24
	v_add_u32_e32 v34, s11, v24
	;; [unrolled: 1-line block ×4, first 2 shown]
	v_lshl_add_u64 v[46:47], v[30:31], 0, v[20:21]
	global_load_dword v25, v[44:45], off offset:2
	global_load_dword v61, v[46:47], off offset:2
	;; [unrolled: 1-line block ×4, first 2 shown]
	v_add_u32_e32 v38, s19, v24
	v_add_u32_e32 v42, s25, v24
	v_mad_u64_u32 v[32:33], s[28:29], v32, 36, s[22:23]
	v_mad_u64_u32 v[34:35], s[28:29], v34, 36, s[22:23]
	;; [unrolled: 1-line block ×6, first 2 shown]
	v_lshl_add_u64 v[48:49], v[32:33], 0, v[22:23]
	v_lshl_add_u64 v[50:51], v[34:35], 0, v[22:23]
	;; [unrolled: 1-line block ×6, first 2 shown]
	global_load_dwordx2 v[46:47], v[48:49], off offset:4
	s_nop 0
	global_load_dwordx2 v[48:49], v[50:51], off offset:4
	s_nop 0
	global_load_ushort v50, v[30:31], off
	global_load_ushort v51, v[28:29], off
                                        ; kill: killed $vgpr28_vgpr29
                                        ; kill: killed $vgpr30_vgpr31
	global_load_dword v64, v[34:35], off
	global_load_dword v65, v[32:33], off
	s_nop 0
	global_load_dwordx2 v[28:29], v[52:53], off offset:4
                                        ; kill: killed $vgpr32_vgpr33
                                        ; kill: killed $vgpr52_vgpr53
                                        ; kill: killed $vgpr34_vgpr35
	global_load_dwordx2 v[30:31], v[54:55], off offset:4
	s_nop 0
	global_load_dword v52, v[38:39], off
	global_load_dword v66, v[36:37], off
	global_load_dwordx2 v[32:33], v[56:57], off offset:4
                                        ; kill: killed $vgpr36_vgpr37
                                        ; kill: killed $vgpr56_vgpr57
                                        ; kill: killed $vgpr38_vgpr39
                                        ; kill: killed $vgpr54_vgpr55
	global_load_dwordx2 v[34:35], v[44:45], off offset:4
	s_nop 0
	global_load_dword v56, v[42:43], off
	global_load_dword v37, v[40:41], off
	v_mov_b32_e32 v59, 0
	v_mov_b32_e32 v60, 0
	;; [unrolled: 1-line block ×14, first 2 shown]
	v_add_u32_e32 v24, 16, v24
	v_cmp_le_u32_e32 vcc, s5, v24
	v_lshl_add_u64 v[16:17], v[16:17], 0, s[16:17]
	s_or_b64 s[12:13], vcc, s[12:13]
	s_waitcnt vmcnt(17)
	v_dot4c_i32_i8_e32 v59, v25, v26
	s_waitcnt vmcnt(16)
	v_dot4c_i32_i8_e32 v60, v61, v26
	v_cvt_f32_f16_e32 v26, v58
	s_waitcnt vmcnt(15)
	v_dot4c_i32_i8_e32 v59, v62, v27
	s_waitcnt vmcnt(14)
	v_dot4c_i32_i8_e32 v60, v63, v27
	s_waitcnt vmcnt(10)
	v_cvt_f32_f16_e32 v36, v51
	v_cvt_f32_f16_e32 v27, v50
	v_dot4c_i32_i8_e32 v42, v25, v48
	v_dot4c_i32_i8_e32 v43, v61, v48
	;; [unrolled: 1-line block ×6, first 2 shown]
	s_waitcnt vmcnt(7)
	v_dot4c_i32_i8_e32 v44, v25, v28
	s_waitcnt vmcnt(6)
	v_dot4c_i32_i8_e32 v53, v25, v30
	v_dot4c_i32_i8_e32 v54, v61, v30
	;; [unrolled: 1-line block ×4, first 2 shown]
	v_cvt_f32_f16_e32 v28, v64
	s_waitcnt vmcnt(5)
	v_cvt_f32_f16_e32 v40, v52
	v_cvt_f32_i32_e32 v46, v53
	v_cvt_f32_i32_e32 v43, v43
	;; [unrolled: 1-line block ×3, first 2 shown]
	s_waitcnt vmcnt(3)
	v_dot4c_i32_i8_e32 v55, v25, v32
	s_waitcnt vmcnt(0)
	v_cvt_f32_f16_e32 v30, v37
	v_mov_b32_e32 v37, v26
	v_pk_mul_f32 v[52:53], v[36:37], v[26:27]
	v_cvt_f32_f16_e32 v26, v66
	v_dot4c_i32_i8_e32 v54, v63, v31
	v_dot4c_i32_i8_e32 v55, v62, v33
	v_mov_b32_e32 v37, v27
	v_dot4c_i32_i8_e32 v39, v62, v47
	v_dot4c_i32_i8_e32 v41, v63, v47
	;; [unrolled: 1-line block ×4, first 2 shown]
	v_cvt_f32_i32_e32 v47, v54
	v_cvt_f32_i32_e32 v48, v55
	v_mov_b32_e32 v54, v36
	v_pk_mul_f32 v[28:29], v[36:37], v[28:29] op_sel_hi:[1,0]
	v_mov_b32_e32 v55, v26
	v_cvt_f32_f16_e32 v38, v65
	v_dot4c_i32_i8_e32 v67, v25, v34
	v_dot4c_i32_i8_e32 v57, v61, v32
	;; [unrolled: 1-line block ×3, first 2 shown]
	v_pk_fma_f32 v[4:5], v[28:29], v[42:43], v[4:5]
	v_pk_mul_f32 v[28:29], v[54:55], v[26:27]
	v_cvt_f32_f16_e32 v26, v56
	v_dot4c_i32_i8_e32 v57, v63, v33
	v_dot4c_i32_i8_e32 v67, v62, v35
	;; [unrolled: 1-line block ×3, first 2 shown]
	v_cvt_f32_i32_e32 v33, v60
	v_cvt_f32_i32_e32 v32, v59
	;; [unrolled: 1-line block ×9, first 2 shown]
	v_pk_mul_f32 v[38:39], v[36:37], v[38:39] op_sel_hi:[1,0]
	v_pk_mul_f32 v[40:41], v[36:37], v[40:41] op_sel_hi:[1,0]
	;; [unrolled: 1-line block ×3, first 2 shown]
	v_mov_b32_e32 v37, v26
	v_pk_mul_f32 v[26:27], v[36:37], v[26:27]
	v_pk_fma_f32 v[8:9], v[52:53], v[32:33], v[8:9]
	v_pk_fma_f32 v[10:11], v[38:39], v[34:35], v[10:11]
	;; [unrolled: 1-line block ×6, first 2 shown]
	s_andn2_b64 exec, exec, s[12:13]
	s_cbranch_execnz .LBB70_2
; %bb.3:
	s_or_b64 exec, exec, s[12:13]
	scratch_store_dwordx4 off, v[8:11], off
	scratch_store_dwordx4 off, v[4:7], off offset:16
	scratch_store_dwordx4 off, v[0:3], off offset:32
	scratch_store_dwordx2 off, v[18:19], off offset:48
.LBB70_4:
	s_or_b64 exec, exec, s[6:7]
	s_mov_b32 s5, 0
	v_cmp_eq_u32_e32 vcc, 0, v13
	s_waitcnt lgkmcnt(0)
	; wave barrier
	s_and_saveexec_b64 s[6:7], vcc
	s_cbranch_execz .LBB70_19
; %bb.5:
	scratch_load_dwordx2 v[2:3], off, off
	v_mbcnt_lo_u32_b32 v0, -1, 0
	v_mbcnt_hi_u32_b32 v13, -1, v0
	s_load_dwordx2 s[6:7], s[0:1], 0x38
	s_mul_i32 s0, s3, s14
	v_or_b32_e32 v1, s2, v12
	v_and_b32_e32 v0, 64, v13
	s_mul_i32 s4, s4, s18
	s_add_i32 s2, s0, s2
	v_cmp_gt_u32_e64 s[0:1], s10, v1
	v_xor_b32_e32 v1, 32, v13
	v_add_u32_e32 v14, 64, v0
	s_add_i32 s4, s2, s4
	v_cmp_lt_i32_e64 s[2:3], v1, v14
	v_cmp_gt_u32_e32 vcc, 2, v12
	s_nop 0
	v_cndmask_b32_e64 v0, v13, v1, s[2:3]
	v_lshlrev_b32_e32 v0, 2, v0
	v_xor_b32_e32 v1, 16, v13
	v_cmp_lt_i32_e64 s[2:3], v1, v14
	s_waitcnt vmcnt(0)
	ds_bpermute_b32 v4, v0, v2
	ds_bpermute_b32 v5, v0, v3
	v_cndmask_b32_e64 v1, v13, v1, s[2:3]
	v_lshlrev_b32_e32 v1, 2, v1
	s_waitcnt lgkmcnt(0)
	v_pk_add_f32 v[4:5], v[2:3], v[4:5]
	ds_bpermute_b32 v6, v1, v4
	ds_bpermute_b32 v7, v1, v5
	v_xor_b32_e32 v2, 8, v13
	v_cmp_lt_i32_e64 s[2:3], v2, v14
	v_xor_b32_e32 v3, 4, v13
	s_waitcnt lgkmcnt(0)
	v_pk_add_f32 v[4:5], v[4:5], v[6:7]
	v_cndmask_b32_e64 v2, v13, v2, s[2:3]
	v_lshlrev_b32_e32 v2, 2, v2
	ds_bpermute_b32 v6, v2, v4
	ds_bpermute_b32 v7, v2, v5
	v_cmp_lt_i32_e64 s[2:3], v3, v14
	s_waitcnt lgkmcnt(0)
	v_pk_add_f32 v[6:7], v[4:5], v[6:7]
	v_cndmask_b32_e64 v3, v13, v3, s[2:3]
	v_lshlrev_b32_e32 v3, 2, v3
	ds_bpermute_b32 v8, v3, v6
	ds_bpermute_b32 v9, v3, v7
	v_xor_b32_e32 v4, 2, v13
	v_cmp_lt_i32_e64 s[2:3], v4, v14
	v_xor_b32_e32 v5, 1, v13
	s_waitcnt lgkmcnt(0)
	v_pk_add_f32 v[8:9], v[6:7], v[8:9]
	v_cndmask_b32_e64 v4, v13, v4, s[2:3]
	v_lshlrev_b32_e32 v4, 2, v4
	ds_bpermute_b32 v10, v4, v8
	ds_bpermute_b32 v11, v4, v9
	v_cmp_lt_i32_e64 s[2:3], v5, v14
	s_waitcnt lgkmcnt(0)
	v_pk_add_f32 v[8:9], v[8:9], v[10:11]
	v_cndmask_b32_e64 v5, v13, v5, s[2:3]
	v_lshlrev_b32_e32 v6, 2, v5
	ds_bpermute_b32 v10, v6, v8
	ds_bpermute_b32 v11, v6, v9
	s_lshl_b64 s[2:3], s[4:5], 2
	s_add_u32 s2, s6, s2
	s_addc_u32 s3, s7, s3
	s_and_b64 s[0:1], vcc, s[0:1]
	s_waitcnt lgkmcnt(0)
	v_pk_add_f32 v[8:9], v[8:9], v[10:11]
	v_lshlrev_b32_e32 v5, 2, v12
	scratch_store_dwordx2 off, v[8:9], off
	s_and_saveexec_b64 s[4:5], s[0:1]
	s_cbranch_execz .LBB70_7
; %bb.6:
	scratch_load_dword v7, v5, off
	s_waitcnt vmcnt(0)
	global_store_dword v5, v7, s[2:3]
.LBB70_7:
	s_or_b64 exec, exec, s[4:5]
	scratch_load_dwordx2 v[8:9], off, off offset:8
	s_waitcnt vmcnt(0)
	ds_bpermute_b32 v10, v0, v8
	ds_bpermute_b32 v11, v0, v9
	s_waitcnt lgkmcnt(0)
	v_pk_add_f32 v[8:9], v[8:9], v[10:11]
	ds_bpermute_b32 v10, v1, v8
	ds_bpermute_b32 v11, v1, v9
	s_waitcnt lgkmcnt(0)
	v_pk_add_f32 v[8:9], v[8:9], v[10:11]
	;; [unrolled: 4-line block ×6, first 2 shown]
	scratch_store_dwordx2 off, v[8:9], off offset:8
	s_and_saveexec_b64 s[4:5], s[0:1]
	s_cbranch_execz .LBB70_9
; %bb.8:
	scratch_load_dword v7, v5, off offset:8
	v_add_u32_e32 v8, s10, v12
	v_mov_b32_e32 v9, 0
	v_lshl_add_u64 v[8:9], v[8:9], 2, s[2:3]
	s_waitcnt vmcnt(0)
	global_store_dword v[8:9], v7, off
.LBB70_9:
	s_or_b64 exec, exec, s[4:5]
	scratch_load_dwordx2 v[8:9], off, off offset:16
	s_waitcnt vmcnt(0)
	ds_bpermute_b32 v10, v0, v8
	ds_bpermute_b32 v11, v0, v9
	s_waitcnt lgkmcnt(0)
	v_pk_add_f32 v[8:9], v[8:9], v[10:11]
	ds_bpermute_b32 v10, v1, v8
	ds_bpermute_b32 v11, v1, v9
	s_waitcnt lgkmcnt(0)
	v_pk_add_f32 v[8:9], v[8:9], v[10:11]
	;; [unrolled: 4-line block ×6, first 2 shown]
	scratch_store_dwordx2 off, v[8:9], off offset:16
	s_and_saveexec_b64 s[4:5], s[0:1]
	s_cbranch_execz .LBB70_11
; %bb.10:
	scratch_load_dword v7, v5, off offset:16
	v_lshl_or_b32 v8, s10, 1, v12
	v_mov_b32_e32 v9, 0
	v_lshl_add_u64 v[8:9], v[8:9], 2, s[2:3]
	s_waitcnt vmcnt(0)
	global_store_dword v[8:9], v7, off
.LBB70_11:
	s_or_b64 exec, exec, s[4:5]
	scratch_load_dwordx2 v[8:9], off, off offset:24
	s_waitcnt vmcnt(0)
	ds_bpermute_b32 v10, v0, v8
	ds_bpermute_b32 v11, v0, v9
	s_waitcnt lgkmcnt(0)
	v_pk_add_f32 v[8:9], v[8:9], v[10:11]
	ds_bpermute_b32 v10, v1, v8
	ds_bpermute_b32 v11, v1, v9
	s_waitcnt lgkmcnt(0)
	v_pk_add_f32 v[8:9], v[8:9], v[10:11]
	;; [unrolled: 4-line block ×6, first 2 shown]
	scratch_store_dwordx2 off, v[8:9], off offset:24
	s_and_saveexec_b64 s[4:5], s[0:1]
	s_cbranch_execz .LBB70_13
; %bb.12:
	scratch_load_dword v7, v5, off offset:24
	v_mad_u64_u32 v[8:9], s[6:7], s10, 3, v[12:13]
	v_mov_b32_e32 v9, 0
	v_lshl_add_u64 v[8:9], v[8:9], 2, s[2:3]
	s_waitcnt vmcnt(0)
	global_store_dword v[8:9], v7, off
.LBB70_13:
	s_or_b64 exec, exec, s[4:5]
	scratch_load_dwordx2 v[8:9], off, off offset:32
	s_waitcnt vmcnt(0)
	ds_bpermute_b32 v10, v0, v8
	ds_bpermute_b32 v11, v0, v9
	s_waitcnt lgkmcnt(0)
	v_pk_add_f32 v[8:9], v[8:9], v[10:11]
	ds_bpermute_b32 v10, v1, v8
	ds_bpermute_b32 v11, v1, v9
	s_waitcnt lgkmcnt(0)
	v_pk_add_f32 v[8:9], v[8:9], v[10:11]
	;; [unrolled: 4-line block ×6, first 2 shown]
	scratch_store_dwordx2 off, v[8:9], off offset:32
	s_and_saveexec_b64 s[4:5], s[0:1]
	s_cbranch_execz .LBB70_15
; %bb.14:
	scratch_load_dword v7, v5, off offset:32
	v_lshl_or_b32 v8, s10, 2, v12
	v_mov_b32_e32 v9, 0
	v_lshl_add_u64 v[8:9], v[8:9], 2, s[2:3]
	s_waitcnt vmcnt(0)
	global_store_dword v[8:9], v7, off
.LBB70_15:
	s_or_b64 exec, exec, s[4:5]
	scratch_load_dwordx2 v[8:9], off, off offset:40
	s_waitcnt vmcnt(0)
	ds_bpermute_b32 v10, v0, v8
	ds_bpermute_b32 v11, v0, v9
	s_waitcnt lgkmcnt(0)
	v_pk_add_f32 v[8:9], v[8:9], v[10:11]
	ds_bpermute_b32 v10, v1, v8
	ds_bpermute_b32 v11, v1, v9
	s_waitcnt lgkmcnt(0)
	v_pk_add_f32 v[8:9], v[8:9], v[10:11]
	;; [unrolled: 4-line block ×6, first 2 shown]
	scratch_store_dwordx2 off, v[8:9], off offset:40
	s_and_saveexec_b64 s[4:5], s[0:1]
	s_cbranch_execz .LBB70_17
; %bb.16:
	scratch_load_dword v7, v5, off offset:40
	v_mad_u64_u32 v[8:9], s[6:7], s10, 5, v[12:13]
	v_mov_b32_e32 v9, 0
	v_lshl_add_u64 v[8:9], v[8:9], 2, s[2:3]
	s_waitcnt vmcnt(0)
	global_store_dword v[8:9], v7, off
.LBB70_17:
	s_or_b64 exec, exec, s[4:5]
	scratch_load_dwordx2 v[8:9], off, off offset:48
	s_waitcnt vmcnt(0)
	ds_bpermute_b32 v10, v0, v8
	ds_bpermute_b32 v11, v0, v9
	s_waitcnt lgkmcnt(0)
	v_pk_add_f32 v[8:9], v[8:9], v[10:11]
	ds_bpermute_b32 v0, v1, v8
	ds_bpermute_b32 v1, v1, v9
	s_waitcnt lgkmcnt(0)
	v_pk_add_f32 v[0:1], v[8:9], v[0:1]
	;; [unrolled: 4-line block ×6, first 2 shown]
	scratch_store_dwordx2 off, v[0:1], off offset:48
	s_and_b64 exec, exec, s[0:1]
	s_cbranch_execz .LBB70_19
; %bb.18:
	scratch_load_dword v2, v5, off offset:48
	s_mul_i32 s0, s10, 6
	v_or_b32_e32 v0, s0, v12
	v_mov_b32_e32 v1, 0
	v_lshl_add_u64 v[0:1], v[0:1], 2, s[2:3]
	s_waitcnt vmcnt(0)
	global_store_dword v[0:1], v2, off
.LBB70_19:
	s_endpgm
	.section	.rodata,"a",@progbits
	.p2align	6, 0x0
	.amdhsa_kernel _ZL13mul_mat_vec_qIL9ggml_type8ELi7ELb0ELb0EEvPKvS2_PKi31ggml_cuda_mm_fusion_args_devicePfj15HIP_vector_typeIjLj3EEjjjS8_jjjS8_jjjj
		.amdhsa_group_segment_fixed_size 0
		.amdhsa_private_segment_fixed_size 64
		.amdhsa_kernarg_size 144
		.amdhsa_user_sgpr_count 2
		.amdhsa_user_sgpr_dispatch_ptr 0
		.amdhsa_user_sgpr_queue_ptr 0
		.amdhsa_user_sgpr_kernarg_segment_ptr 1
		.amdhsa_user_sgpr_dispatch_id 0
		.amdhsa_user_sgpr_kernarg_preload_length 0
		.amdhsa_user_sgpr_kernarg_preload_offset 0
		.amdhsa_user_sgpr_private_segment_size 0
		.amdhsa_uses_dynamic_stack 0
		.amdhsa_enable_private_segment 1
		.amdhsa_system_sgpr_workgroup_id_x 1
		.amdhsa_system_sgpr_workgroup_id_y 1
		.amdhsa_system_sgpr_workgroup_id_z 1
		.amdhsa_system_sgpr_workgroup_info 0
		.amdhsa_system_vgpr_workitem_id 1
		.amdhsa_next_free_vgpr 69
		.amdhsa_next_free_sgpr 30
		.amdhsa_accum_offset 72
		.amdhsa_reserve_vcc 1
		.amdhsa_float_round_mode_32 0
		.amdhsa_float_round_mode_16_64 0
		.amdhsa_float_denorm_mode_32 3
		.amdhsa_float_denorm_mode_16_64 3
		.amdhsa_dx10_clamp 1
		.amdhsa_ieee_mode 1
		.amdhsa_fp16_overflow 0
		.amdhsa_tg_split 0
		.amdhsa_exception_fp_ieee_invalid_op 0
		.amdhsa_exception_fp_denorm_src 0
		.amdhsa_exception_fp_ieee_div_zero 0
		.amdhsa_exception_fp_ieee_overflow 0
		.amdhsa_exception_fp_ieee_underflow 0
		.amdhsa_exception_fp_ieee_inexact 0
		.amdhsa_exception_int_div_zero 0
	.end_amdhsa_kernel
	.section	.text._ZL13mul_mat_vec_qIL9ggml_type8ELi7ELb0ELb0EEvPKvS2_PKi31ggml_cuda_mm_fusion_args_devicePfj15HIP_vector_typeIjLj3EEjjjS8_jjjS8_jjjj,"axG",@progbits,_ZL13mul_mat_vec_qIL9ggml_type8ELi7ELb0ELb0EEvPKvS2_PKi31ggml_cuda_mm_fusion_args_devicePfj15HIP_vector_typeIjLj3EEjjjS8_jjjS8_jjjj,comdat
.Lfunc_end70:
	.size	_ZL13mul_mat_vec_qIL9ggml_type8ELi7ELb0ELb0EEvPKvS2_PKi31ggml_cuda_mm_fusion_args_devicePfj15HIP_vector_typeIjLj3EEjjjS8_jjjS8_jjjj, .Lfunc_end70-_ZL13mul_mat_vec_qIL9ggml_type8ELi7ELb0ELb0EEvPKvS2_PKi31ggml_cuda_mm_fusion_args_devicePfj15HIP_vector_typeIjLj3EEjjjS8_jjjS8_jjjj
                                        ; -- End function
	.section	.AMDGPU.csdata,"",@progbits
; Kernel info:
; codeLenInByte = 3172
; NumSgprs: 36
; NumVgprs: 69
; NumAgprs: 0
; TotalNumVgprs: 69
; ScratchSize: 64
; MemoryBound: 0
; FloatMode: 240
; IeeeMode: 1
; LDSByteSize: 0 bytes/workgroup (compile time only)
; SGPRBlocks: 4
; VGPRBlocks: 8
; NumSGPRsForWavesPerEU: 36
; NumVGPRsForWavesPerEU: 69
; AccumOffset: 72
; Occupancy: 7
; WaveLimiterHint : 0
; COMPUTE_PGM_RSRC2:SCRATCH_EN: 1
; COMPUTE_PGM_RSRC2:USER_SGPR: 2
; COMPUTE_PGM_RSRC2:TRAP_HANDLER: 0
; COMPUTE_PGM_RSRC2:TGID_X_EN: 1
; COMPUTE_PGM_RSRC2:TGID_Y_EN: 1
; COMPUTE_PGM_RSRC2:TGID_Z_EN: 1
; COMPUTE_PGM_RSRC2:TIDIG_COMP_CNT: 1
; COMPUTE_PGM_RSRC3_GFX90A:ACCUM_OFFSET: 17
; COMPUTE_PGM_RSRC3_GFX90A:TG_SPLIT: 0
	.section	.text._ZL13mul_mat_vec_qIL9ggml_type8ELi8ELb0ELb0EEvPKvS2_PKi31ggml_cuda_mm_fusion_args_devicePfj15HIP_vector_typeIjLj3EEjjjS8_jjjS8_jjjj,"axG",@progbits,_ZL13mul_mat_vec_qIL9ggml_type8ELi8ELb0ELb0EEvPKvS2_PKi31ggml_cuda_mm_fusion_args_devicePfj15HIP_vector_typeIjLj3EEjjjS8_jjjS8_jjjj,comdat
	.globl	_ZL13mul_mat_vec_qIL9ggml_type8ELi8ELb0ELb0EEvPKvS2_PKi31ggml_cuda_mm_fusion_args_devicePfj15HIP_vector_typeIjLj3EEjjjS8_jjjS8_jjjj ; -- Begin function _ZL13mul_mat_vec_qIL9ggml_type8ELi8ELb0ELb0EEvPKvS2_PKi31ggml_cuda_mm_fusion_args_devicePfj15HIP_vector_typeIjLj3EEjjjS8_jjjS8_jjjj
	.p2align	8
	.type	_ZL13mul_mat_vec_qIL9ggml_type8ELi8ELb0ELb0EEvPKvS2_PKi31ggml_cuda_mm_fusion_args_devicePfj15HIP_vector_typeIjLj3EEjjjS8_jjjS8_jjjj,@function
_ZL13mul_mat_vec_qIL9ggml_type8ELi8ELb0ELb0EEvPKvS2_PKi31ggml_cuda_mm_fusion_args_devicePfj15HIP_vector_typeIjLj3EEjjjS8_jjjS8_jjjj: ; @_ZL13mul_mat_vec_qIL9ggml_type8ELi8ELb0ELb0EEvPKvS2_PKi31ggml_cuda_mm_fusion_args_devicePfj15HIP_vector_typeIjLj3EEjjjS8_jjjS8_jjjj
; %bb.0:
	v_bfe_u32 v17, v0, 10, 10
	v_and_b32_e32 v16, 0x3ff, v0
	s_mov_b32 s20, 0
	s_load_dword s5, s[0:1], 0x40
	s_load_dwordx4 s[8:11], s[0:1], 0x50
	s_load_dword s25, s[0:1], 0x60
	s_load_dwordx4 s[12:15], s[0:1], 0x68
	;; [unrolled: 2-line block ×3, first 2 shown]
	v_lshl_or_b32 v4, v17, 6, v16
	s_mov_b32 s21, s20
	s_waitcnt lgkmcnt(0)
	s_lshr_b32 s5, s5, 5
	s_mov_b32 s22, s20
	s_mov_b32 s23, s20
	v_mov_b64_e32 v[0:1], s[20:21]
	v_lshrrev_b32_e32 v26, 2, v4
	s_lshl_b32 s2, s2, 1
	v_mov_b64_e32 v[2:3], s[22:23]
	v_cmp_gt_u32_e32 vcc, s5, v26
	scratch_store_dwordx4 off, v[0:3], off offset:48
	scratch_store_dwordx4 off, v[0:3], off offset:32
	;; [unrolled: 1-line block ×3, first 2 shown]
	scratch_store_dwordx4 off, v[0:3], off
	s_and_saveexec_b64 s[6:7], vcc
	s_cbranch_execz .LBB71_4
; %bb.1:
	s_load_dwordx4 s[20:23], s[0:1], 0x0
	s_mul_i32 s17, s4, s17
	s_mul_hi_u32 s19, s17, 36
	s_mul_i32 s17, s17, 36
	s_mul_i32 s13, s3, s13
	s_waitcnt lgkmcnt(0)
	s_add_u32 s17, s22, s17
	s_addc_u32 s19, s23, s19
	s_mul_hi_u32 s23, s13, 36
	s_mul_i32 s13, s13, 36
	s_add_u32 s22, s17, s13
	s_mul_hi_u32 s11, s11, s3
	s_addc_u32 s23, s19, s23
	s_add_i32 s11, s3, s11
	s_lshr_b32 s11, s11, s25
	v_and_b32_e32 v1, 3, v16
	s_mul_i32 s17, s11, s12
	s_mul_hi_u32 s11, s15, s4
	v_lshlrev_b32_e32 v18, 3, v1
	v_lshl_add_u32 v1, v17, 6, v16
	s_add_i32 s11, s4, s11
	v_lshrrev_b32_e32 v1, 2, v1
	s_lshr_b32 s11, s11, s24
	v_lshlrev_b32_e32 v0, 1, v16
	v_mad_u64_u32 v[20:21], s[12:13], v1, 36, s[22:23]
	s_mul_i32 s16, s11, s16
	v_and_b32_e32 v0, 6, v0
	s_add_i32 s13, s2, 1
	v_lshlrev_b32_e32 v2, 1, v0
	v_mov_b32_e32 v19, 0
	s_mul_i32 s27, s2, s8
	s_add_i32 s12, s16, s17
	s_mul_i32 s8, s8, s13
	s_lshl_b32 s11, s9, 1
	s_mul_i32 s15, s9, 3
	s_lshl_b32 s19, s9, 2
	s_mul_i32 s24, s9, 5
	s_mul_i32 s25, s9, 6
	;; [unrolled: 1-line block ×3, first 2 shown]
	s_add_i32 s8, s12, s8
	s_add_i32 s27, s12, s27
	s_mov_b64 s[12:13], 0
	v_lshlrev_b32_e32 v22, 1, v2
	v_lshlrev_b32_e32 v24, 2, v0
	s_mov_b64 s[16:17], 0x240
	v_mov_b32_e32 v23, v19
	v_mov_b32_e32 v25, v19
	;; [unrolled: 1-line block ×18, first 2 shown]
.LBB71_2:                               ; =>This Inner Loop Header: Depth=1
	v_add_u32_e32 v27, s27, v26
	v_lshl_add_u64 v[28:29], v[20:21], 0, v[18:19]
	global_load_dword v54, v[20:21], off
	v_add_u32_e32 v32, s8, v26
	global_load_dwordx2 v[28:29], v[28:29], off offset:4
	v_mad_i64_i32 v[30:31], s[28:29], v27, 34, s[20:21]
	v_mad_i64_i32 v[32:33], s[28:29], v32, 34, s[20:21]
	v_lshl_add_u64 v[48:49], v[30:31], 0, v[22:23]
	v_lshl_add_u64 v[50:51], v[32:33], 0, v[22:23]
	global_load_dword v27, v[48:49], off offset:2
	global_load_dword v62, v[48:49], off offset:6
	;; [unrolled: 1-line block ×3, first 2 shown]
                                        ; kill: killed $vgpr48_vgpr49
	s_nop 0
	global_load_dword v48, v[50:51], off offset:6
	global_load_ushort v49, v[32:33], off
	v_mov_b32_e32 v55, 0
	v_mov_b32_e32 v56, 0
	v_add_u32_e32 v34, s9, v26
	v_add_u32_e32 v36, s11, v26
	;; [unrolled: 1-line block ×7, first 2 shown]
	v_mad_u64_u32 v[34:35], s[28:29], v34, 36, s[22:23]
	v_mad_u64_u32 v[36:37], s[28:29], v36, 36, s[22:23]
	;; [unrolled: 1-line block ×7, first 2 shown]
	v_lshl_add_u64 v[52:53], v[34:35], 0, v[24:25]
	v_lshl_add_u64 v[32:33], v[36:37], 0, v[24:25]
	global_load_ushort v50, v[30:31], off
	global_load_dword v51, v[36:37], off
	v_lshl_add_u64 v[30:31], v[38:39], 0, v[24:25]
	global_load_dword v64, v[34:35], off
	global_load_dword v65, v[40:41], off
	v_lshl_add_u64 v[34:35], v[40:41], 0, v[24:25]
	global_load_dword v66, v[38:39], off
	global_load_dword v67, v[44:45], off
	v_lshl_add_u64 v[36:37], v[44:45], 0, v[24:25]
	v_lshl_add_u64 v[38:39], v[46:47], 0, v[24:25]
	global_load_dword v44, v[42:43], off
	global_load_dword v45, v[46:47], off
	v_mov_b32_e32 v57, 0
	v_mov_b32_e32 v58, 0
	;; [unrolled: 1-line block ×9, first 2 shown]
	v_add_u32_e32 v26, 16, v26
	v_cmp_le_u32_e32 vcc, s5, v26
	v_lshl_add_u64 v[20:21], v[20:21], 0, s[16:17]
	s_or_b64 s[12:13], vcc, s[12:13]
	s_waitcnt vmcnt(12)
	v_dot4c_i32_i8_e32 v55, v27, v28
	s_waitcnt vmcnt(11)
	v_dot4c_i32_i8_e32 v55, v62, v29
	;; [unrolled: 2-line block ×4, first 2 shown]
	v_lshl_add_u64 v[28:29], v[42:43], 0, v[24:25]
	global_load_dwordx2 v[40:41], v[52:53], off offset:4
	s_nop 0
	global_load_dwordx2 v[32:33], v[32:33], off offset:4
	s_nop 0
	;; [unrolled: 2-line block ×6, first 2 shown]
	global_load_dwordx2 v[38:39], v[38:39], off offset:4
	v_mov_b32_e32 v53, 0
	v_mov_b32_e32 v52, 0
	v_cvt_f32_i32_e32 v43, v56
	v_cvt_f32_i32_e32 v42, v55
	s_waitcnt vmcnt(6)
	v_dot4c_i32_i8_e32 v57, v27, v40
	v_dot4c_i32_i8_e32 v58, v63, v40
	;; [unrolled: 1-line block ×4, first 2 shown]
	v_mov_b32_e32 v41, 0
	s_waitcnt vmcnt(2)
	v_dot4c_i32_i8_e32 v68, v27, v28
	v_dot4c_i32_i8_e32 v53, v63, v28
	v_cvt_f32_f16_e32 v28, v54
	v_dot4c_i32_i8_e32 v61, v27, v30
	v_dot4c_i32_i8_e32 v41, v63, v30
	;; [unrolled: 1-line block ×4, first 2 shown]
	v_cvt_f32_f16_e32 v29, v49
	v_cvt_f32_f16_e32 v30, v50
	v_dot4c_i32_i8_e32 v59, v27, v32
	v_dot4c_i32_i8_e32 v60, v63, v32
	;; [unrolled: 1-line block ×5, first 2 shown]
	v_mov_b32_e32 v31, v28
	v_dot4c_i32_i8_e32 v60, v48, v33
	v_mov_b32_e32 v33, 0
	v_cvt_f32_f16_e32 v32, v64
	v_cvt_f32_f16_e32 v40, v45
	v_cvt_f32_i32_e32 v45, v58
	v_cvt_f32_i32_e32 v46, v59
	v_pk_mul_f32 v[58:59], v[30:31], v[28:29]
	v_cvt_f32_f16_e32 v28, v66
	v_dot4c_i32_i8_e32 v52, v27, v34
	v_dot4c_i32_i8_e32 v33, v63, v34
	s_waitcnt vmcnt(0)
	v_dot4c_i32_i8_e32 v70, v27, v38
	v_dot4c_i32_i8_e32 v71, v63, v38
	v_cvt_f32_f16_e32 v38, v44
	v_cvt_f32_i32_e32 v44, v57
	v_dot4c_i32_i8_e32 v52, v62, v35
	v_dot4c_i32_i8_e32 v33, v48, v35
	v_mov_b32_e32 v35, 0
	v_dot4c_i32_i8_e32 v35, v63, v36
	v_mov_b32_e32 v31, v29
	v_dot4c_i32_i8_e32 v35, v48, v37
	v_cvt_f32_f16_e32 v34, v51
	v_dot4c_i32_i8_e32 v71, v48, v39
	v_cvt_f32_i32_e32 v47, v60
	v_cvt_f32_i32_e32 v48, v61
	;; [unrolled: 1-line block ×3, first 2 shown]
	v_mov_b32_e32 v60, v30
	v_pk_mul_f32 v[32:33], v[30:31], v[32:33] op_sel_hi:[1,0]
	v_mov_b32_e32 v61, v28
	v_dot4c_i32_i8_e32 v69, v27, v36
	v_cvt_f32_f16_e32 v36, v65
	v_pk_fma_f32 v[14:15], v[32:33], v[44:45], v[14:15]
	v_pk_mul_f32 v[32:33], v[60:61], v[28:29]
	v_cvt_f32_f16_e32 v28, v67
	v_dot4c_i32_i8_e32 v69, v62, v37
	v_dot4c_i32_i8_e32 v70, v62, v39
	v_cvt_f32_i32_e32 v49, v41
	v_cvt_f32_i32_e32 v50, v52
	;; [unrolled: 1-line block ×8, first 2 shown]
	v_pk_mul_f32 v[34:35], v[30:31], v[34:35] op_sel_hi:[1,0]
	v_pk_mul_f32 v[36:37], v[30:31], v[36:37] op_sel_hi:[1,0]
	;; [unrolled: 1-line block ×4, first 2 shown]
	v_mov_b32_e32 v31, v28
	v_pk_mul_f32 v[28:29], v[30:31], v[28:29]
	v_pk_fma_f32 v[12:13], v[58:59], v[42:43], v[12:13]
	v_pk_fma_f32 v[8:9], v[34:35], v[46:47], v[8:9]
	;; [unrolled: 1-line block ×7, first 2 shown]
	s_andn2_b64 exec, exec, s[12:13]
	s_cbranch_execnz .LBB71_2
; %bb.3:
	s_or_b64 exec, exec, s[12:13]
	scratch_store_dwordx4 off, v[12:15], off
	scratch_store_dwordx4 off, v[8:11], off offset:16
	scratch_store_dwordx4 off, v[4:7], off offset:32
	;; [unrolled: 1-line block ×3, first 2 shown]
.LBB71_4:
	s_or_b64 exec, exec, s[6:7]
	s_mov_b32 s5, 0
	v_cmp_eq_u32_e32 vcc, 0, v17
	s_waitcnt lgkmcnt(0)
	; wave barrier
	s_and_saveexec_b64 s[6:7], vcc
	s_cbranch_execz .LBB71_21
; %bb.5:
	scratch_load_dwordx2 v[2:3], off, off
	v_mbcnt_lo_u32_b32 v0, -1, 0
	v_mbcnt_hi_u32_b32 v12, -1, v0
	s_load_dwordx2 s[6:7], s[0:1], 0x38
	s_mul_i32 s0, s3, s14
	v_or_b32_e32 v1, s2, v16
	v_and_b32_e32 v0, 64, v12
	s_mul_i32 s4, s4, s18
	s_add_i32 s2, s0, s2
	v_cmp_gt_u32_e64 s[0:1], s10, v1
	v_xor_b32_e32 v1, 32, v12
	v_add_u32_e32 v13, 64, v0
	s_add_i32 s4, s2, s4
	v_cmp_lt_i32_e64 s[2:3], v1, v13
	v_cmp_gt_u32_e32 vcc, 2, v16
	s_nop 0
	v_cndmask_b32_e64 v0, v12, v1, s[2:3]
	v_lshlrev_b32_e32 v0, 2, v0
	v_xor_b32_e32 v1, 16, v12
	v_cmp_lt_i32_e64 s[2:3], v1, v13
	s_waitcnt vmcnt(0)
	ds_bpermute_b32 v4, v0, v2
	ds_bpermute_b32 v5, v0, v3
	v_cndmask_b32_e64 v1, v12, v1, s[2:3]
	v_lshlrev_b32_e32 v1, 2, v1
	s_waitcnt lgkmcnt(0)
	v_pk_add_f32 v[4:5], v[2:3], v[4:5]
	ds_bpermute_b32 v6, v1, v4
	ds_bpermute_b32 v7, v1, v5
	v_xor_b32_e32 v2, 8, v12
	v_cmp_lt_i32_e64 s[2:3], v2, v13
	v_xor_b32_e32 v3, 4, v12
	s_waitcnt lgkmcnt(0)
	v_pk_add_f32 v[4:5], v[4:5], v[6:7]
	v_cndmask_b32_e64 v2, v12, v2, s[2:3]
	v_lshlrev_b32_e32 v2, 2, v2
	ds_bpermute_b32 v6, v2, v4
	ds_bpermute_b32 v7, v2, v5
	v_cmp_lt_i32_e64 s[2:3], v3, v13
	s_waitcnt lgkmcnt(0)
	v_pk_add_f32 v[6:7], v[4:5], v[6:7]
	v_cndmask_b32_e64 v3, v12, v3, s[2:3]
	v_lshlrev_b32_e32 v3, 2, v3
	ds_bpermute_b32 v8, v3, v6
	ds_bpermute_b32 v9, v3, v7
	v_xor_b32_e32 v4, 2, v12
	v_cmp_lt_i32_e64 s[2:3], v4, v13
	v_xor_b32_e32 v5, 1, v12
	s_waitcnt lgkmcnt(0)
	v_pk_add_f32 v[8:9], v[6:7], v[8:9]
	v_cndmask_b32_e64 v4, v12, v4, s[2:3]
	v_lshlrev_b32_e32 v4, 2, v4
	ds_bpermute_b32 v10, v4, v8
	ds_bpermute_b32 v11, v4, v9
	v_cmp_lt_i32_e64 s[2:3], v5, v13
	s_waitcnt lgkmcnt(0)
	v_pk_add_f32 v[8:9], v[8:9], v[10:11]
	v_cndmask_b32_e64 v5, v12, v5, s[2:3]
	v_lshlrev_b32_e32 v6, 2, v5
	ds_bpermute_b32 v10, v6, v8
	ds_bpermute_b32 v11, v6, v9
	s_lshl_b64 s[2:3], s[4:5], 2
	s_add_u32 s2, s6, s2
	s_addc_u32 s3, s7, s3
	s_and_b64 s[0:1], vcc, s[0:1]
	s_waitcnt lgkmcnt(0)
	v_pk_add_f32 v[8:9], v[8:9], v[10:11]
	v_lshlrev_b32_e32 v5, 2, v16
	scratch_store_dwordx2 off, v[8:9], off
	s_and_saveexec_b64 s[4:5], s[0:1]
	s_cbranch_execz .LBB71_7
; %bb.6:
	scratch_load_dword v7, v5, off
	s_waitcnt vmcnt(0)
	global_store_dword v5, v7, s[2:3]
.LBB71_7:
	s_or_b64 exec, exec, s[4:5]
	scratch_load_dwordx2 v[8:9], off, off offset:8
	s_waitcnt vmcnt(0)
	ds_bpermute_b32 v10, v0, v8
	ds_bpermute_b32 v11, v0, v9
	s_waitcnt lgkmcnt(0)
	v_pk_add_f32 v[8:9], v[8:9], v[10:11]
	ds_bpermute_b32 v10, v1, v8
	ds_bpermute_b32 v11, v1, v9
	s_waitcnt lgkmcnt(0)
	v_pk_add_f32 v[8:9], v[8:9], v[10:11]
	;; [unrolled: 4-line block ×6, first 2 shown]
	scratch_store_dwordx2 off, v[8:9], off offset:8
	s_and_saveexec_b64 s[4:5], s[0:1]
	s_cbranch_execz .LBB71_9
; %bb.8:
	scratch_load_dword v7, v5, off offset:8
	v_add_u32_e32 v8, s10, v16
	v_mov_b32_e32 v9, 0
	v_lshl_add_u64 v[8:9], v[8:9], 2, s[2:3]
	s_waitcnt vmcnt(0)
	global_store_dword v[8:9], v7, off
.LBB71_9:
	s_or_b64 exec, exec, s[4:5]
	scratch_load_dwordx2 v[8:9], off, off offset:16
	s_waitcnt vmcnt(0)
	ds_bpermute_b32 v10, v0, v8
	ds_bpermute_b32 v11, v0, v9
	s_waitcnt lgkmcnt(0)
	v_pk_add_f32 v[8:9], v[8:9], v[10:11]
	ds_bpermute_b32 v10, v1, v8
	ds_bpermute_b32 v11, v1, v9
	s_waitcnt lgkmcnt(0)
	v_pk_add_f32 v[8:9], v[8:9], v[10:11]
	;; [unrolled: 4-line block ×6, first 2 shown]
	scratch_store_dwordx2 off, v[8:9], off offset:16
	s_and_saveexec_b64 s[4:5], s[0:1]
	s_cbranch_execz .LBB71_11
; %bb.10:
	scratch_load_dword v7, v5, off offset:16
	v_lshl_or_b32 v8, s10, 1, v16
	v_mov_b32_e32 v9, 0
	v_lshl_add_u64 v[8:9], v[8:9], 2, s[2:3]
	s_waitcnt vmcnt(0)
	global_store_dword v[8:9], v7, off
.LBB71_11:
	s_or_b64 exec, exec, s[4:5]
	scratch_load_dwordx2 v[8:9], off, off offset:24
	s_waitcnt vmcnt(0)
	ds_bpermute_b32 v10, v0, v8
	ds_bpermute_b32 v11, v0, v9
	s_waitcnt lgkmcnt(0)
	v_pk_add_f32 v[8:9], v[8:9], v[10:11]
	ds_bpermute_b32 v10, v1, v8
	ds_bpermute_b32 v11, v1, v9
	s_waitcnt lgkmcnt(0)
	v_pk_add_f32 v[8:9], v[8:9], v[10:11]
	ds_bpermute_b32 v10, v2, v8
	ds_bpermute_b32 v11, v2, v9
	s_waitcnt lgkmcnt(0)
	v_pk_add_f32 v[8:9], v[8:9], v[10:11]
	ds_bpermute_b32 v10, v3, v8
	ds_bpermute_b32 v11, v3, v9
	s_waitcnt lgkmcnt(0)
	v_pk_add_f32 v[8:9], v[8:9], v[10:11]
	ds_bpermute_b32 v10, v4, v8
	ds_bpermute_b32 v11, v4, v9
	s_waitcnt lgkmcnt(0)
	v_pk_add_f32 v[8:9], v[8:9], v[10:11]
	ds_bpermute_b32 v10, v6, v8
	ds_bpermute_b32 v11, v6, v9
	s_waitcnt lgkmcnt(0)
	v_pk_add_f32 v[8:9], v[8:9], v[10:11]
	scratch_store_dwordx2 off, v[8:9], off offset:24
	s_and_saveexec_b64 s[4:5], s[0:1]
	s_cbranch_execz .LBB71_13
; %bb.12:
	scratch_load_dword v7, v5, off offset:24
	v_mad_u64_u32 v[8:9], s[6:7], s10, 3, v[16:17]
	v_mov_b32_e32 v9, 0
	v_lshl_add_u64 v[8:9], v[8:9], 2, s[2:3]
	s_waitcnt vmcnt(0)
	global_store_dword v[8:9], v7, off
.LBB71_13:
	s_or_b64 exec, exec, s[4:5]
	scratch_load_dwordx2 v[8:9], off, off offset:32
	s_waitcnt vmcnt(0)
	ds_bpermute_b32 v10, v0, v8
	ds_bpermute_b32 v11, v0, v9
	s_waitcnt lgkmcnt(0)
	v_pk_add_f32 v[8:9], v[8:9], v[10:11]
	ds_bpermute_b32 v10, v1, v8
	ds_bpermute_b32 v11, v1, v9
	s_waitcnt lgkmcnt(0)
	v_pk_add_f32 v[8:9], v[8:9], v[10:11]
	;; [unrolled: 4-line block ×6, first 2 shown]
	scratch_store_dwordx2 off, v[8:9], off offset:32
	s_and_saveexec_b64 s[4:5], s[0:1]
	s_cbranch_execz .LBB71_15
; %bb.14:
	scratch_load_dword v7, v5, off offset:32
	v_lshl_or_b32 v8, s10, 2, v16
	v_mov_b32_e32 v9, 0
	v_lshl_add_u64 v[8:9], v[8:9], 2, s[2:3]
	s_waitcnt vmcnt(0)
	global_store_dword v[8:9], v7, off
.LBB71_15:
	s_or_b64 exec, exec, s[4:5]
	scratch_load_dwordx2 v[8:9], off, off offset:40
	s_waitcnt vmcnt(0)
	ds_bpermute_b32 v10, v0, v8
	ds_bpermute_b32 v11, v0, v9
	s_waitcnt lgkmcnt(0)
	v_pk_add_f32 v[8:9], v[8:9], v[10:11]
	ds_bpermute_b32 v10, v1, v8
	ds_bpermute_b32 v11, v1, v9
	s_waitcnt lgkmcnt(0)
	v_pk_add_f32 v[8:9], v[8:9], v[10:11]
	;; [unrolled: 4-line block ×6, first 2 shown]
	scratch_store_dwordx2 off, v[8:9], off offset:40
	s_and_saveexec_b64 s[4:5], s[0:1]
	s_cbranch_execz .LBB71_17
; %bb.16:
	scratch_load_dword v7, v5, off offset:40
	v_mad_u64_u32 v[8:9], s[6:7], s10, 5, v[16:17]
	v_mov_b32_e32 v9, 0
	v_lshl_add_u64 v[8:9], v[8:9], 2, s[2:3]
	s_waitcnt vmcnt(0)
	global_store_dword v[8:9], v7, off
.LBB71_17:
	s_or_b64 exec, exec, s[4:5]
	scratch_load_dwordx2 v[8:9], off, off offset:48
	s_waitcnt vmcnt(0)
	ds_bpermute_b32 v10, v0, v8
	ds_bpermute_b32 v11, v0, v9
	s_waitcnt lgkmcnt(0)
	v_pk_add_f32 v[8:9], v[8:9], v[10:11]
	ds_bpermute_b32 v10, v1, v8
	ds_bpermute_b32 v11, v1, v9
	s_waitcnt lgkmcnt(0)
	v_pk_add_f32 v[8:9], v[8:9], v[10:11]
	;; [unrolled: 4-line block ×6, first 2 shown]
	scratch_store_dwordx2 off, v[8:9], off offset:48
	s_and_saveexec_b64 s[4:5], s[0:1]
	s_cbranch_execz .LBB71_19
; %bb.18:
	scratch_load_dword v7, v5, off offset:48
	s_mul_i32 s6, s10, 6
	v_or_b32_e32 v8, s6, v16
	v_mov_b32_e32 v9, 0
	v_lshl_add_u64 v[8:9], v[8:9], 2, s[2:3]
	s_waitcnt vmcnt(0)
	global_store_dword v[8:9], v7, off
.LBB71_19:
	s_or_b64 exec, exec, s[4:5]
	scratch_load_dwordx2 v[8:9], off, off offset:56
	s_waitcnt vmcnt(0)
	ds_bpermute_b32 v10, v0, v8
	ds_bpermute_b32 v11, v0, v9
	s_waitcnt lgkmcnt(0)
	v_pk_add_f32 v[8:9], v[8:9], v[10:11]
	ds_bpermute_b32 v0, v1, v8
	ds_bpermute_b32 v1, v1, v9
	s_waitcnt lgkmcnt(0)
	v_pk_add_f32 v[0:1], v[8:9], v[0:1]
	;; [unrolled: 4-line block ×6, first 2 shown]
	scratch_store_dwordx2 off, v[0:1], off offset:56
	s_and_b64 exec, exec, s[0:1]
	s_cbranch_execz .LBB71_21
; %bb.20:
	scratch_load_dword v2, v5, off offset:56
	v_mad_u64_u32 v[0:1], s[0:1], s10, 7, v[16:17]
	v_mov_b32_e32 v1, 0
	v_lshl_add_u64 v[0:1], v[0:1], 2, s[2:3]
	s_waitcnt vmcnt(0)
	global_store_dword v[0:1], v2, off
.LBB71_21:
	s_endpgm
	.section	.rodata,"a",@progbits
	.p2align	6, 0x0
	.amdhsa_kernel _ZL13mul_mat_vec_qIL9ggml_type8ELi8ELb0ELb0EEvPKvS2_PKi31ggml_cuda_mm_fusion_args_devicePfj15HIP_vector_typeIjLj3EEjjjS8_jjjS8_jjjj
		.amdhsa_group_segment_fixed_size 0
		.amdhsa_private_segment_fixed_size 80
		.amdhsa_kernarg_size 144
		.amdhsa_user_sgpr_count 2
		.amdhsa_user_sgpr_dispatch_ptr 0
		.amdhsa_user_sgpr_queue_ptr 0
		.amdhsa_user_sgpr_kernarg_segment_ptr 1
		.amdhsa_user_sgpr_dispatch_id 0
		.amdhsa_user_sgpr_kernarg_preload_length 0
		.amdhsa_user_sgpr_kernarg_preload_offset 0
		.amdhsa_user_sgpr_private_segment_size 0
		.amdhsa_uses_dynamic_stack 0
		.amdhsa_enable_private_segment 1
		.amdhsa_system_sgpr_workgroup_id_x 1
		.amdhsa_system_sgpr_workgroup_id_y 1
		.amdhsa_system_sgpr_workgroup_id_z 1
		.amdhsa_system_sgpr_workgroup_info 0
		.amdhsa_system_vgpr_workitem_id 1
		.amdhsa_next_free_vgpr 72
		.amdhsa_next_free_sgpr 30
		.amdhsa_accum_offset 72
		.amdhsa_reserve_vcc 1
		.amdhsa_float_round_mode_32 0
		.amdhsa_float_round_mode_16_64 0
		.amdhsa_float_denorm_mode_32 3
		.amdhsa_float_denorm_mode_16_64 3
		.amdhsa_dx10_clamp 1
		.amdhsa_ieee_mode 1
		.amdhsa_fp16_overflow 0
		.amdhsa_tg_split 0
		.amdhsa_exception_fp_ieee_invalid_op 0
		.amdhsa_exception_fp_denorm_src 0
		.amdhsa_exception_fp_ieee_div_zero 0
		.amdhsa_exception_fp_ieee_overflow 0
		.amdhsa_exception_fp_ieee_underflow 0
		.amdhsa_exception_fp_ieee_inexact 0
		.amdhsa_exception_int_div_zero 0
	.end_amdhsa_kernel
	.section	.text._ZL13mul_mat_vec_qIL9ggml_type8ELi8ELb0ELb0EEvPKvS2_PKi31ggml_cuda_mm_fusion_args_devicePfj15HIP_vector_typeIjLj3EEjjjS8_jjjS8_jjjj,"axG",@progbits,_ZL13mul_mat_vec_qIL9ggml_type8ELi8ELb0ELb0EEvPKvS2_PKi31ggml_cuda_mm_fusion_args_devicePfj15HIP_vector_typeIjLj3EEjjjS8_jjjS8_jjjj,comdat
.Lfunc_end71:
	.size	_ZL13mul_mat_vec_qIL9ggml_type8ELi8ELb0ELb0EEvPKvS2_PKi31ggml_cuda_mm_fusion_args_devicePfj15HIP_vector_typeIjLj3EEjjjS8_jjjS8_jjjj, .Lfunc_end71-_ZL13mul_mat_vec_qIL9ggml_type8ELi8ELb0ELb0EEvPKvS2_PKi31ggml_cuda_mm_fusion_args_devicePfj15HIP_vector_typeIjLj3EEjjjS8_jjjS8_jjjj
                                        ; -- End function
	.section	.AMDGPU.csdata,"",@progbits
; Kernel info:
; codeLenInByte = 3504
; NumSgprs: 36
; NumVgprs: 72
; NumAgprs: 0
; TotalNumVgprs: 72
; ScratchSize: 80
; MemoryBound: 0
; FloatMode: 240
; IeeeMode: 1
; LDSByteSize: 0 bytes/workgroup (compile time only)
; SGPRBlocks: 4
; VGPRBlocks: 8
; NumSGPRsForWavesPerEU: 36
; NumVGPRsForWavesPerEU: 72
; AccumOffset: 72
; Occupancy: 7
; WaveLimiterHint : 0
; COMPUTE_PGM_RSRC2:SCRATCH_EN: 1
; COMPUTE_PGM_RSRC2:USER_SGPR: 2
; COMPUTE_PGM_RSRC2:TRAP_HANDLER: 0
; COMPUTE_PGM_RSRC2:TGID_X_EN: 1
; COMPUTE_PGM_RSRC2:TGID_Y_EN: 1
; COMPUTE_PGM_RSRC2:TGID_Z_EN: 1
; COMPUTE_PGM_RSRC2:TIDIG_COMP_CNT: 1
; COMPUTE_PGM_RSRC3_GFX90A:ACCUM_OFFSET: 17
; COMPUTE_PGM_RSRC3_GFX90A:TG_SPLIT: 0
	.section	.text._ZL17mul_mat_vec_q_moeIL9ggml_type39ELi2EEvPKvS2_PKiPfj15HIP_vector_typeIjLj3EEjjjjjjjjj,"axG",@progbits,_ZL17mul_mat_vec_q_moeIL9ggml_type39ELi2EEvPKvS2_PKiPfj15HIP_vector_typeIjLj3EEjjjjjjjjj,comdat
	.globl	_ZL17mul_mat_vec_q_moeIL9ggml_type39ELi2EEvPKvS2_PKiPfj15HIP_vector_typeIjLj3EEjjjjjjjjj ; -- Begin function _ZL17mul_mat_vec_q_moeIL9ggml_type39ELi2EEvPKvS2_PKiPfj15HIP_vector_typeIjLj3EEjjjjjjjjj
	.p2align	8
	.type	_ZL17mul_mat_vec_q_moeIL9ggml_type39ELi2EEvPKvS2_PKiPfj15HIP_vector_typeIjLj3EEjjjjjjjjj,@function
_ZL17mul_mat_vec_q_moeIL9ggml_type39ELi2EEvPKvS2_PKiPfj15HIP_vector_typeIjLj3EEjjjjjjjjj: ; @_ZL17mul_mat_vec_q_moeIL9ggml_type39ELi2EEvPKvS2_PKiPfj15HIP_vector_typeIjLj3EEjjjjjjjjj
; %bb.0:
	s_load_dwordx8 s[4:11], s[0:1], 0x30
	v_bfe_u32 v8, v0, 10, 10
	s_waitcnt lgkmcnt(0)
	v_cmp_gt_u32_e32 vcc, s11, v8
	s_and_saveexec_b64 s[12:13], vcc
	s_cbranch_execz .LBB72_7
; %bb.1:
	s_load_dword s11, s[0:1], 0x20
	s_load_dword s20, s[0:1], 0x50
	s_load_dwordx8 s[12:19], s[0:1], 0x0
	v_and_b32_e32 v9, 0x3ff, v0
	v_lshrrev_b32_e32 v10, 1, v9
	s_waitcnt lgkmcnt(0)
	s_lshr_b32 s11, s11, 5
	s_lshl_b32 s2, s2, 1
	v_cmp_gt_u32_e32 vcc, s11, v10
	v_mov_b32_e32 v1, 0
	v_mov_b32_e32 v0, 0
	s_and_saveexec_b64 s[24:25], vcc
	s_cbranch_execz .LBB72_5
; %bb.2:
	v_mul_lo_u32 v2, v8, s20
	v_mov_b32_e32 v0, s16
	v_mov_b32_e32 v1, s17
	v_add_u32_e32 v2, s3, v2
	v_mov_b32_e32 v3, 0
	v_lshl_add_u64 v[0:1], v[2:3], 2, v[0:1]
	global_load_dword v1, v[0:1], off
	s_load_dwordx4 s[20:23], s[0:1], 0x24
	v_mul_lo_u32 v0, v8, s6
	v_lshrrev_b32_e32 v14, 1, v9
	v_mad_u64_u32 v[6:7], s[0:1], v0, 36, 0
	v_mad_u64_u32 v[6:7], s[0:1], v14, 36, v[6:7]
	s_waitcnt lgkmcnt(0)
	s_mul_hi_u32 s0, s20, s3
	s_add_i32 s0, s3, s0
	s_lshr_b32 s0, s0, s21
	s_mul_i32 s0, s0, s22
	s_sub_i32 s0, s3, s0
	s_mul_i32 s0, s0, s9
	s_mul_hi_u32 s1, s0, 36
	s_mul_i32 s0, s0, 36
	s_add_u32 s0, s14, s0
	s_addc_u32 s1, s15, s1
	s_add_i32 s9, s2, 1
	v_lshlrev_b32_e32 v2, 3, v9
	s_mul_i32 s28, s2, s5
	v_and_b32_e32 v4, 1, v9
	v_lshl_add_u64 v[6:7], s[0:1], 0, v[6:7]
	s_mul_i32 s0, s5, s9
	s_mov_b64 s[16:17], 0
	s_mov_b32 s6, 0xc080604
	v_mov_b32_e32 v11, 0x3020100
	s_mov_b32 s23, 0xf4f8fafc
	v_mov_b32_e32 v12, 0xfdfeff00
	v_mov_b32_e32 v13, 0x200000
	s_mov_b64 s[26:27], 0x480
	v_lshlrev_b32_e32 v4, 3, v4
	v_mov_b32_e32 v5, v3
	v_mov_b32_e32 v0, v3
	v_and_b32_e32 v2, 8, v2
	s_waitcnt vmcnt(0)
	v_mul_lo_u32 v1, v1, s8
	v_add_u32_e32 v14, s0, v1
	v_add_u32_e32 v15, s28, v1
	v_mov_b32_e32 v1, v3
.LBB72_3:                               ; =>This Inner Loop Header: Depth=1
	v_lshl_add_u64 v[16:17], v[6:7], 0, v[4:5]
	v_add_u32_e32 v22, v15, v10
	global_load_dword v28, v[6:7], off
	v_add_u32_e32 v23, v14, v10
	global_load_dwordx2 v[18:19], v[16:17], off offset:4
	global_load_dwordx2 v[20:21], v[16:17], off offset:20
	v_mad_i64_i32 v[16:17], s[0:1], v22, 17, s[12:13]
	v_mad_i64_i32 v[22:23], s[0:1], v23, 17, s[12:13]
	v_lshl_add_u64 v[24:25], v[16:17], 0, v[2:3]
	v_lshl_add_u64 v[26:27], v[22:23], 0, v[2:3]
	global_load_dword v31, v[24:25], off offset:1
	global_load_dword v32, v[24:25], off offset:5
	;; [unrolled: 1-line block ×4, first 2 shown]
	global_load_ubyte v35, v[22:23], off
	global_load_ubyte v36, v[16:17], off
	v_add_u32_e32 v10, 32, v10
	v_cmp_le_u32_e32 vcc, s11, v10
	v_mov_b32_e32 v29, 0
	v_mov_b32_e32 v30, 0
	s_or_b64 s[16:17], vcc, s[16:17]
	v_lshl_add_u64 v[6:7], v[6:7], 0, s[26:27]
	s_waitcnt vmcnt(8)
	v_cvt_f32_f16_e32 v16, v28
	s_waitcnt vmcnt(5)
	v_ashrrev_i32_e32 v17, 4, v31
	v_lshrrev_b32_e32 v23, 1, v31
	s_waitcnt vmcnt(4)
	v_ashrrev_i32_e32 v24, 4, v32
	v_and_b32_e32 v25, 0x7070707, v32
	v_lshrrev_b32_e32 v26, 1, v32
	s_waitcnt vmcnt(2)
	v_ashrrev_i32_e32 v28, 4, v34
	v_lshrrev_b32_e32 v32, 1, v34
	v_and_b32_e32 v22, 0x7070707, v31
	v_and_b32_e32 v31, 0x7070707, v34
	;; [unrolled: 1-line block ×4, first 2 shown]
	v_lshrrev_b32_e32 v17, 1, v17
	v_and_b32_e32 v42, 0x7070707, v24
	v_and_b32_e32 v26, 0x4040404, v26
	v_lshrrev_b32_e32 v24, 1, v24
	v_and_b32_e32 v44, 0x7070707, v28
	v_and_b32_e32 v32, 0x4040404, v32
	v_lshrrev_b32_e32 v28, 1, v28
	v_ashrrev_i32_e32 v34, 4, v33
	v_and_b32_e32 v37, 0x7070707, v33
	v_lshrrev_b32_e32 v33, 1, v33
	v_perm_b32 v39, s6, v11, v22
	v_perm_b32 v22, s23, v12, v22
	v_perm_b32 v41, s6, v11, v25
	v_perm_b32 v25, s23, v12, v25
	v_perm_b32 v43, s6, v11, v31
	v_perm_b32 v31, s23, v12, v31
	v_or_b32_e32 v23, 0x3020100, v23
	v_and_b32_e32 v17, 0x4040404, v17
	v_or_b32_e32 v26, 0x3020100, v26
	v_and_b32_e32 v24, 0x4040404, v24
	;; [unrolled: 2-line block ×3, first 2 shown]
	s_waitcnt vmcnt(0)
	v_lshlrev_b32_e32 v27, 23, v36
	v_lshlrev_b32_e32 v38, 23, v35
	v_and_b32_e32 v46, 0x7070707, v34
	v_and_b32_e32 v33, 0x4040404, v33
	v_lshrrev_b32_e32 v34, 1, v34
	v_cmp_ne_u32_e32 vcc, 0, v35
	v_cmp_ne_u32_e64 s[0:1], 0, v36
	v_perm_b32 v35, s6, v11, v40
	v_perm_b32 v36, s23, v12, v40
	;; [unrolled: 1-line block ×7, first 2 shown]
	v_or_b32_e32 v17, 0x3020100, v17
	v_perm_b32 v23, v25, v41, v26
	v_or_b32_e32 v24, 0x3020100, v24
	v_perm_b32 v25, v31, v43, v32
	;; [unrolled: 2-line block ×3, first 2 shown]
	v_perm_b32 v37, s23, v12, v37
	v_or_b32_e32 v33, 0x3020100, v33
	v_and_b32_e32 v34, 0x4040404, v34
	v_perm_b32 v17, v36, v35, v17
	v_dot4c_i32_i8_e32 v29, v22, v18
	v_perm_b32 v22, v42, v40, v24
	v_perm_b32 v24, v44, v47, v26
	v_dot4c_i32_i8_e32 v30, v25, v18
	v_perm_b32 v48, s6, v11, v46
	v_perm_b32 v46, s23, v12, v46
	v_perm_b32 v28, v37, v45, v33
	v_or_b32_e32 v31, 0x3020100, v34
	v_dot4c_i32_i8_e32 v29, v17, v20
	v_dot4c_i32_i8_e32 v30, v24, v20
	v_perm_b32 v18, v46, v48, v31
	v_dot4c_i32_i8_e32 v29, v23, v19
	v_dot4c_i32_i8_e32 v30, v28, v19
	;; [unrolled: 1-line block ×4, first 2 shown]
	v_mul_f32_e32 v27, 0.5, v27
	v_mul_f32_e32 v38, 0.5, v38
	v_cvt_f32_i32_e32 v17, v29
	v_cvt_f32_i32_e32 v18, v30
	v_cndmask_b32_e64 v27, v13, v27, s[0:1]
	v_cndmask_b32_e32 v38, v13, v38, vcc
	v_mul_f32_e32 v19, v27, v16
	v_mul_f32_e32 v16, v38, v16
	v_fmac_f32_e32 v0, v19, v17
	v_fmac_f32_e32 v1, v16, v18
	s_andn2_b64 exec, exec, s[16:17]
	s_cbranch_execnz .LBB72_3
; %bb.4:
	s_or_b64 exec, exec, s[16:17]
.LBB72_5:
	s_or_b64 exec, exec, s[24:25]
	v_mbcnt_lo_u32_b32 v2, -1, 0
	v_mbcnt_hi_u32_b32 v4, -1, v2
	v_and_b32_e32 v2, 64, v4
	v_add_u32_e32 v5, 64, v2
	v_xor_b32_e32 v2, 32, v4
	v_cmp_lt_i32_e32 vcc, v2, v5
	v_xor_b32_e32 v6, 16, v4
	s_nop 0
	v_cndmask_b32_e32 v2, v4, v2, vcc
	v_lshlrev_b32_e32 v3, 2, v2
	ds_bpermute_b32 v2, v3, v0
	ds_bpermute_b32 v3, v3, v1
	v_cmp_lt_i32_e32 vcc, v6, v5
	s_waitcnt lgkmcnt(0)
	v_pk_add_f32 v[0:1], v[0:1], v[2:3]
	v_cndmask_b32_e32 v6, v4, v6, vcc
	v_lshlrev_b32_e32 v6, 2, v6
	ds_bpermute_b32 v2, v6, v0
	ds_bpermute_b32 v3, v6, v1
	v_xor_b32_e32 v6, 8, v4
	v_cmp_lt_i32_e32 vcc, v6, v5
	s_waitcnt lgkmcnt(0)
	v_pk_add_f32 v[0:1], v[0:1], v[2:3]
	v_cndmask_b32_e32 v6, v4, v6, vcc
	v_lshlrev_b32_e32 v6, 2, v6
	ds_bpermute_b32 v2, v6, v0
	ds_bpermute_b32 v3, v6, v1
	v_xor_b32_e32 v6, 4, v4
	v_cmp_lt_i32_e32 vcc, v6, v5
	s_waitcnt lgkmcnt(0)
	v_pk_add_f32 v[0:1], v[0:1], v[2:3]
	v_cndmask_b32_e32 v6, v4, v6, vcc
	v_lshlrev_b32_e32 v6, 2, v6
	ds_bpermute_b32 v2, v6, v0
	ds_bpermute_b32 v3, v6, v1
	v_xor_b32_e32 v6, 2, v4
	v_cmp_lt_i32_e32 vcc, v6, v5
	s_waitcnt lgkmcnt(0)
	v_pk_add_f32 v[0:1], v[0:1], v[2:3]
	v_cndmask_b32_e32 v6, v4, v6, vcc
	v_lshlrev_b32_e32 v6, 2, v6
	ds_bpermute_b32 v2, v6, v0
	ds_bpermute_b32 v3, v6, v1
	v_xor_b32_e32 v6, 1, v4
	v_cmp_lt_i32_e32 vcc, v6, v5
	s_waitcnt lgkmcnt(0)
	v_pk_add_f32 v[0:1], v[0:1], v[2:3]
	v_cndmask_b32_e32 v4, v4, v6, vcc
	v_lshlrev_b32_e32 v4, 2, v4
	ds_bpermute_b32 v2, v4, v0
	ds_bpermute_b32 v3, v4, v1
	v_add_u32_e32 v4, s2, v9
	v_cmp_gt_u32_e32 vcc, 2, v9
	v_cmp_gt_u32_e64 s[0:1], s4, v4
	s_and_b64 s[0:1], vcc, s[0:1]
	s_and_b64 exec, exec, s[0:1]
	s_cbranch_execz .LBB72_7
; %bb.6:
	v_cmp_eq_u32_e32 vcc, 1, v9
	s_mul_i32 s3, s3, s10
	v_mov_b32_e32 v4, s18
	s_waitcnt lgkmcnt(0)
	v_cndmask_b32_e32 v2, v2, v3, vcc
	v_cndmask_b32_e32 v0, v0, v1, vcc
	v_add_f32_e32 v2, v0, v2
	v_mul_lo_u32 v0, v8, s7
	v_or_b32_e32 v1, s2, v9
	v_mov_b32_e32 v5, s19
	v_add3_u32 v0, v1, v0, s3
	v_mov_b32_e32 v1, 0
	v_lshl_add_u64 v[0:1], v[0:1], 2, v[4:5]
	global_store_dword v[0:1], v2, off
.LBB72_7:
	s_endpgm
	.section	.rodata,"a",@progbits
	.p2align	6, 0x0
	.amdhsa_kernel _ZL17mul_mat_vec_q_moeIL9ggml_type39ELi2EEvPKvS2_PKiPfj15HIP_vector_typeIjLj3EEjjjjjjjjj
		.amdhsa_group_segment_fixed_size 0
		.amdhsa_private_segment_fixed_size 0
		.amdhsa_kernarg_size 84
		.amdhsa_user_sgpr_count 2
		.amdhsa_user_sgpr_dispatch_ptr 0
		.amdhsa_user_sgpr_queue_ptr 0
		.amdhsa_user_sgpr_kernarg_segment_ptr 1
		.amdhsa_user_sgpr_dispatch_id 0
		.amdhsa_user_sgpr_kernarg_preload_length 0
		.amdhsa_user_sgpr_kernarg_preload_offset 0
		.amdhsa_user_sgpr_private_segment_size 0
		.amdhsa_uses_dynamic_stack 0
		.amdhsa_enable_private_segment 0
		.amdhsa_system_sgpr_workgroup_id_x 1
		.amdhsa_system_sgpr_workgroup_id_y 1
		.amdhsa_system_sgpr_workgroup_id_z 0
		.amdhsa_system_sgpr_workgroup_info 0
		.amdhsa_system_vgpr_workitem_id 1
		.amdhsa_next_free_vgpr 49
		.amdhsa_next_free_sgpr 29
		.amdhsa_accum_offset 52
		.amdhsa_reserve_vcc 1
		.amdhsa_float_round_mode_32 0
		.amdhsa_float_round_mode_16_64 0
		.amdhsa_float_denorm_mode_32 3
		.amdhsa_float_denorm_mode_16_64 3
		.amdhsa_dx10_clamp 1
		.amdhsa_ieee_mode 1
		.amdhsa_fp16_overflow 0
		.amdhsa_tg_split 0
		.amdhsa_exception_fp_ieee_invalid_op 0
		.amdhsa_exception_fp_denorm_src 0
		.amdhsa_exception_fp_ieee_div_zero 0
		.amdhsa_exception_fp_ieee_overflow 0
		.amdhsa_exception_fp_ieee_underflow 0
		.amdhsa_exception_fp_ieee_inexact 0
		.amdhsa_exception_int_div_zero 0
	.end_amdhsa_kernel
	.section	.text._ZL17mul_mat_vec_q_moeIL9ggml_type39ELi2EEvPKvS2_PKiPfj15HIP_vector_typeIjLj3EEjjjjjjjjj,"axG",@progbits,_ZL17mul_mat_vec_q_moeIL9ggml_type39ELi2EEvPKvS2_PKiPfj15HIP_vector_typeIjLj3EEjjjjjjjjj,comdat
.Lfunc_end72:
	.size	_ZL17mul_mat_vec_q_moeIL9ggml_type39ELi2EEvPKvS2_PKiPfj15HIP_vector_typeIjLj3EEjjjjjjjjj, .Lfunc_end72-_ZL17mul_mat_vec_q_moeIL9ggml_type39ELi2EEvPKvS2_PKiPfj15HIP_vector_typeIjLj3EEjjjjjjjjj
                                        ; -- End function
	.section	.AMDGPU.csdata,"",@progbits
; Kernel info:
; codeLenInByte = 1440
; NumSgprs: 35
; NumVgprs: 49
; NumAgprs: 0
; TotalNumVgprs: 49
; ScratchSize: 0
; MemoryBound: 0
; FloatMode: 240
; IeeeMode: 1
; LDSByteSize: 0 bytes/workgroup (compile time only)
; SGPRBlocks: 4
; VGPRBlocks: 6
; NumSGPRsForWavesPerEU: 35
; NumVGPRsForWavesPerEU: 49
; AccumOffset: 52
; Occupancy: 8
; WaveLimiterHint : 1
; COMPUTE_PGM_RSRC2:SCRATCH_EN: 0
; COMPUTE_PGM_RSRC2:USER_SGPR: 2
; COMPUTE_PGM_RSRC2:TRAP_HANDLER: 0
; COMPUTE_PGM_RSRC2:TGID_X_EN: 1
; COMPUTE_PGM_RSRC2:TGID_Y_EN: 1
; COMPUTE_PGM_RSRC2:TGID_Z_EN: 0
; COMPUTE_PGM_RSRC2:TIDIG_COMP_CNT: 1
; COMPUTE_PGM_RSRC3_GFX90A:ACCUM_OFFSET: 12
; COMPUTE_PGM_RSRC3_GFX90A:TG_SPLIT: 0
	.section	.text._ZL13mul_mat_vec_qIL9ggml_type39ELi1ELb1ELb1EEvPKvS2_PKi31ggml_cuda_mm_fusion_args_devicePfj15HIP_vector_typeIjLj3EEjjjS8_jjjS8_jjjj,"axG",@progbits,_ZL13mul_mat_vec_qIL9ggml_type39ELi1ELb1ELb1EEvPKvS2_PKi31ggml_cuda_mm_fusion_args_devicePfj15HIP_vector_typeIjLj3EEjjjS8_jjjS8_jjjj,comdat
	.globl	_ZL13mul_mat_vec_qIL9ggml_type39ELi1ELb1ELb1EEvPKvS2_PKi31ggml_cuda_mm_fusion_args_devicePfj15HIP_vector_typeIjLj3EEjjjS8_jjjS8_jjjj ; -- Begin function _ZL13mul_mat_vec_qIL9ggml_type39ELi1ELb1ELb1EEvPKvS2_PKi31ggml_cuda_mm_fusion_args_devicePfj15HIP_vector_typeIjLj3EEjjjS8_jjjS8_jjjj
	.p2align	8
	.type	_ZL13mul_mat_vec_qIL9ggml_type39ELi1ELb1ELb1EEvPKvS2_PKi31ggml_cuda_mm_fusion_args_devicePfj15HIP_vector_typeIjLj3EEjjjS8_jjjS8_jjjj,@function
_ZL13mul_mat_vec_qIL9ggml_type39ELi1ELb1ELb1EEvPKvS2_PKi31ggml_cuda_mm_fusion_args_devicePfj15HIP_vector_typeIjLj3EEjjjS8_jjjS8_jjjj: ; @_ZL13mul_mat_vec_qIL9ggml_type39ELi1ELb1ELb1EEvPKvS2_PKi31ggml_cuda_mm_fusion_args_devicePfj15HIP_vector_typeIjLj3EEjjjS8_jjjS8_jjjj
; %bb.0:
	s_load_dwordx8 s[16:23], s[2:3], 0x0
	s_load_dwordx4 s[36:39], s[2:3], 0x20
	s_load_dwordx4 s[40:43], s[2:3], 0x40
	;; [unrolled: 1-line block ×3, first 2 shown]
	s_mov_b32 s14, s5
	s_waitcnt lgkmcnt(0)
	s_cmp_lg_u64 s[20:21], 0
	s_cselect_b64 s[8:9], -1, 0
	s_cmp_eq_u64 s[20:21], 0
	s_mov_b64 s[10:11], 0
	s_cbranch_scc1 .LBB73_5
; %bb.1:
	s_mov_b32 s15, 0
	s_lshl_b64 s[12:13], s[14:15], 2
	s_add_u32 s12, s20, s12
	s_addc_u32 s13, s21, s13
	s_load_dword s44, s[12:13], 0x0
	s_load_dword s33, s[2:3], 0x50
	s_load_dword s45, s[2:3], 0x78
	s_andn2_b64 vcc, exec, s[10:11]
	s_cbranch_vccnz .LBB73_3
.LBB73_2:
	s_load_dwordx2 s[10:11], s[2:3], 0x5c
	s_waitcnt lgkmcnt(0)
	s_mul_hi_u32 s5, s10, s14
	s_add_i32 s5, s14, s5
	s_lshr_b32 s44, s5, s11
.LBB73_3:
	s_andn2_b64 vcc, exec, s[8:9]
	s_cbranch_vccnz .LBB73_6
; %bb.4:
	s_mul_hi_u32 s5, s41, s14
	s_add_i32 s5, s14, s5
	s_lshr_b32 s5, s5, s42
	s_mul_i32 s5, s5, s43
	s_sub_i32 s41, s14, s5
	s_waitcnt lgkmcnt(0)
	s_mov_b32 s15, s44
	s_branch .LBB73_7
.LBB73_5:
                                        ; implicit-def: $sgpr44
	s_load_dword s33, s[2:3], 0x50
	s_load_dword s45, s[2:3], 0x78
	s_branch .LBB73_2
.LBB73_6:
	s_mov_b32 s15, s14
	s_mov_b32 s41, s14
.LBB73_7:
	s_load_dword s7, s[2:3], 0x58
	s_load_dwordx4 s[28:31], s[2:3], 0x80
	s_lshl_b32 s20, s4, 1
	s_cmp_eq_u64 s[22:23], 0
	v_and_b32_e32 v14, 0x3ff, v0
	v_bfe_u32 v19, v0, 10, 10
	s_cselect_b64 s[8:9], -1, 0
	s_and_b64 vcc, exec, s[8:9]
	v_mov_b32_e32 v15, 0
	v_cmp_gt_u32_e64 s[4:5], 2, v14
	v_cmp_eq_u32_e64 s[10:11], 0, v19
	v_or_b32_e32 v1, s20, v14
	v_mov_b32_e32 v16, 0
	s_cbranch_vccnz .LBB73_11
; %bb.8:
	s_waitcnt lgkmcnt(0)
	v_cmp_gt_u32_e32 vcc, s7, v1
	s_and_b64 s[4:5], s[4:5], vcc
	s_mov_b32 s13, 0
	s_and_b64 s[10:11], s[4:5], s[10:11]
	v_mov_b32_e32 v16, 0
	s_and_saveexec_b64 s[4:5], s[10:11]
	s_cbranch_execz .LBB73_10
; %bb.9:
	s_mul_i32 s12, s6, s30
	s_lshl_b64 s[10:11], s[12:13], 2
	s_add_u32 s21, s22, s10
	s_mul_i32 s12, s15, s26
	s_addc_u32 s22, s23, s11
	s_lshl_b64 s[10:11], s[12:13], 2
	s_add_u32 s12, s21, s10
	s_addc_u32 s13, s22, s11
	s_ashr_i32 s21, s20, 31
	s_lshl_b64 s[10:11], s[20:21], 2
	s_add_u32 s10, s12, s10
	s_addc_u32 s11, s13, s11
	v_lshlrev_b32_e32 v2, 2, v14
	global_load_dword v16, v2, s[10:11]
.LBB73_10:
	s_or_b64 exec, exec, s[4:5]
.LBB73_11:
	s_cmp_lg_u64 s[36:37], 0
	s_cselect_b64 s[34:35], -1, 0
	s_cmp_eq_u64 s[36:37], 0
	s_cselect_b64 s[22:23], -1, 0
	s_cmp_lg_u64 s[38:39], 0
	s_cselect_b64 s[4:5], -1, 0
	s_and_b64 s[10:11], s[4:5], s[34:35]
	s_andn2_b64 vcc, exec, s[10:11]
	s_cbranch_vccnz .LBB73_15
; %bb.12:
	v_cmp_gt_u32_e32 vcc, 2, v14
	s_waitcnt lgkmcnt(0)
	v_cmp_gt_u32_e64 s[12:13], s7, v1
	v_cmp_eq_u32_e64 s[10:11], 0, v19
	s_and_b64 s[12:13], vcc, s[12:13]
	s_mov_b32 s43, 0
	s_and_b64 s[12:13], s[12:13], s[10:11]
	v_mov_b32_e32 v15, 0
	s_and_saveexec_b64 s[10:11], s[12:13]
	s_cbranch_execz .LBB73_14
; %bb.13:
	s_mul_i32 s42, s6, s30
	s_lshl_b64 s[12:13], s[42:43], 2
	s_add_u32 s21, s38, s12
	s_mul_i32 s42, s15, s26
	s_addc_u32 s31, s39, s13
	s_lshl_b64 s[12:13], s[42:43], 2
	s_add_u32 s15, s21, s12
	s_addc_u32 s31, s31, s13
	s_ashr_i32 s21, s20, 31
	s_lshl_b64 s[12:13], s[20:21], 2
	s_add_u32 s12, s15, s12
	s_addc_u32 s13, s31, s13
	v_lshlrev_b32_e32 v1, 2, v14
	global_load_dword v15, v1, s[12:13]
.LBB73_14:
	s_or_b64 exec, exec, s[10:11]
.LBB73_15:
	s_load_dwordx2 s[0:1], s[0:1], 0x4
	v_bfe_u32 v1, v0, 20, 10
	v_lshlrev_b32_e32 v0, 6, v19
	s_lshr_b32 s15, s40, 5
	v_mov_b32_e32 v24, 0
	s_waitcnt lgkmcnt(0)
	s_lshr_b32 s0, s0, 16
	v_mul_u32_u24_e32 v2, s1, v19
	s_mul_i32 s0, s0, s1
	v_mad_u32_u24 v2, s0, v14, v2
	v_add_lshl_u32 v1, v2, v1, 3
	v_add_u32_e32 v18, 0x800, v1
	v_add_u32_e32 v17, 0x400, v1
	v_add_u16_e32 v1, v0, v14
	v_lshrrev_b16_e32 v20, 1, v1
	v_cndmask_b32_e64 v1, 0, 1, s[34:35]
	v_cmp_gt_u32_e32 vcc, s15, v20
	v_cmp_ne_u32_e64 s[10:11], 1, v1
	v_mov_b32_e32 v21, 0
	v_mov_b32_e32 v23, 0
	;; [unrolled: 1-line block ×3, first 2 shown]
	ds_write2_b32 v18, v24, v24 offset1:1
	ds_write2_b32 v17, v24, v24 offset1:1
	s_and_saveexec_b64 s[0:1], vcc
	s_cbranch_execz .LBB73_23
; %bb.16:
	s_mul_hi_u32 s21, s27, s6
	s_add_i32 s21, s6, s21
	s_mul_i32 s12, s6, s29
	s_lshr_b32 s21, s21, s45
	s_mul_i32 s21, s21, s28
	s_mul_hi_u32 s28, s12, 36
	s_mul_i32 s12, s12, 36
	s_mul_i32 s13, s41, s25
	s_add_u32 s12, s18, s12
	s_mul_hi_u32 s27, s13, 36
	s_mul_i32 s13, s13, 36
	s_addc_u32 s18, s19, s28
	v_add_u32_e32 v4, v0, v14
	s_add_u32 s12, s12, s13
	v_lshrrev_b32_e32 v4, 1, v4
	s_addc_u32 s13, s18, s27
	v_mad_u64_u32 v[4:5], s[12:13], v4, 36, s[12:13]
	s_mul_i32 s24, s44, s24
	s_add_i32 s12, s20, 1
	v_lshlrev_b32_e32 v0, 3, v14
	v_mov_b32_e32 v1, 0
	s_mul_i32 s25, s20, s33
	v_and_b32_e32 v2, 1, v14
	s_add_i32 s24, s21, s24
	s_mul_i32 s33, s33, s12
	v_and_b32_e32 v0, 8, v0
	v_lshlrev_b32_e32 v2, 3, v2
	v_mov_b32_e32 v3, v1
	s_add_i32 s21, s24, s33
	s_add_i32 s24, s24, s25
	s_mov_b64 s[12:13], 0
	s_mov_b32 s25, 0xc080604
	s_mov_b32 s27, 0xf4f8fafc
	s_mov_b64 s[18:19], 0x900
	v_mov_b32_e32 v25, 0x3020100
	v_mov_b32_e32 v26, 0xfdfeff00
	;; [unrolled: 1-line block ×8, first 2 shown]
	s_branch .LBB73_18
.LBB73_17:                              ;   in Loop: Header=BB73_18 Depth=1
	s_waitcnt vmcnt(1)
	v_ashrrev_i32_e32 v32, 4, v12
	v_and_b32_e32 v33, 0x7070707, v12
	v_lshrrev_b32_e32 v12, 1, v12
	v_and_b32_e32 v35, 0x7070707, v32
	v_and_b32_e32 v12, 0x4040404, v12
	v_lshrrev_b32_e32 v32, 1, v32
	v_perm_b32 v34, s25, v25, v33
	v_perm_b32 v33, s27, v26, v33
	v_or_b32_e32 v12, 0x3020100, v12
	v_and_b32_e32 v32, 0x4040404, v32
	v_perm_b32 v36, s25, v25, v35
	v_perm_b32 v35, s27, v26, v35
	;; [unrolled: 1-line block ×3, first 2 shown]
	v_or_b32_e32 v32, 0x3020100, v32
	v_mov_b32_e32 v33, 0
	v_perm_b32 v32, v35, v36, v32
	v_dot4c_i32_i8_e32 v33, v12, v8
	v_dot4c_i32_i8_e32 v33, v32, v6
	v_ashrrev_i32_e32 v12, 4, v13
	v_and_b32_e32 v32, 0x7070707, v13
	v_lshrrev_b32_e32 v13, 1, v13
	v_and_b32_e32 v35, 0x7070707, v12
	v_and_b32_e32 v13, 0x4040404, v13
	v_lshrrev_b32_e32 v12, 1, v12
	v_perm_b32 v34, s25, v25, v32
	v_perm_b32 v32, s27, v26, v32
	v_or_b32_e32 v13, 0x3020100, v13
	v_and_b32_e32 v12, 0x4040404, v12
	v_perm_b32 v36, s25, v25, v35
	v_perm_b32 v35, s27, v26, v35
	;; [unrolled: 1-line block ×3, first 2 shown]
	v_or_b32_e32 v12, 0x3020100, v12
	v_perm_b32 v12, v35, v36, v12
	v_dot4c_i32_i8_e32 v33, v13, v9
	v_dot4c_i32_i8_e32 v33, v12, v7
	s_waitcnt vmcnt(0)
	v_lshlrev_b32_sdwa v12, v28, v31 dst_sel:DWORD dst_unused:UNUSED_PAD src0_sel:DWORD src1_sel:BYTE_0
	v_mul_f32_e32 v12, 0.5, v12
	v_cmp_ne_u16_sdwa vcc, v31, v1 src0_sel:BYTE_0 src1_sel:DWORD
	v_cvt_f32_i32_e32 v13, v33
	v_add_u32_e32 v20, 64, v20
	v_cndmask_b32_e32 v12, v27, v12, vcc
	v_mul_f32_e32 v12, v12, v30
	v_fmac_f32_e32 v21, v12, v13
	v_ashrrev_i32_e32 v12, 4, v10
	v_and_b32_e32 v13, 0x7070707, v10
	v_lshrrev_b32_e32 v10, 1, v10
	v_and_b32_e32 v32, 0x7070707, v12
	v_and_b32_e32 v10, 0x4040404, v10
	v_lshrrev_b32_e32 v12, 1, v12
	v_perm_b32 v31, s25, v25, v13
	v_perm_b32 v13, s27, v26, v13
	v_or_b32_e32 v10, 0x3020100, v10
	v_and_b32_e32 v12, 0x4040404, v12
	v_perm_b32 v33, s25, v25, v32
	v_perm_b32 v32, s27, v26, v32
	;; [unrolled: 1-line block ×3, first 2 shown]
	v_or_b32_e32 v12, 0x3020100, v12
	v_mov_b32_e32 v13, 0
	v_perm_b32 v12, v32, v33, v12
	v_dot4c_i32_i8_e32 v13, v10, v8
	v_dot4c_i32_i8_e32 v13, v12, v6
	v_ashrrev_i32_e32 v6, 4, v11
	v_and_b32_e32 v8, 0x7070707, v11
	v_lshrrev_b32_e32 v11, 1, v11
	v_and_b32_e32 v12, 0x7070707, v6
	v_and_b32_e32 v11, 0x4040404, v11
	v_lshrrev_b32_e32 v6, 1, v6
	v_perm_b32 v10, s25, v25, v8
	v_perm_b32 v8, s27, v26, v8
	v_or_b32_e32 v11, 0x3020100, v11
	v_and_b32_e32 v6, 0x4040404, v6
	v_perm_b32 v31, s25, v25, v12
	v_perm_b32 v12, s27, v26, v12
	;; [unrolled: 1-line block ×3, first 2 shown]
	v_or_b32_e32 v6, 0x3020100, v6
	v_perm_b32 v6, v12, v31, v6
	v_dot4c_i32_i8_e32 v13, v8, v9
	v_dot4c_i32_i8_e32 v13, v6, v7
	v_lshlrev_b32_sdwa v6, v28, v29 dst_sel:DWORD dst_unused:UNUSED_PAD src0_sel:DWORD src1_sel:BYTE_0
	v_mul_f32_e32 v6, 0.5, v6
	v_cmp_ne_u16_sdwa vcc, v29, v1 src0_sel:BYTE_0 src1_sel:DWORD
	v_cvt_f32_i32_e32 v7, v13
	v_lshl_add_u64 v[4:5], v[4:5], 0, s[18:19]
	v_cndmask_b32_e32 v6, v27, v6, vcc
	v_mul_f32_e32 v6, v6, v30
	v_cmp_le_u32_e32 vcc, s15, v20
	v_fmac_f32_e32 v24, v6, v7
	s_or_b64 s[12:13], vcc, s[12:13]
	s_andn2_b64 exec, exec, s[12:13]
	s_cbranch_execz .LBB73_22
.LBB73_18:                              ; =>This Inner Loop Header: Depth=1
	v_lshl_add_u64 v[10:11], v[4:5], 0, v[2:3]
	global_load_dwordx2 v[8:9], v[10:11], off offset:4
	global_load_dwordx2 v[6:7], v[10:11], off offset:20
	global_load_dword v13, v[4:5], off
	v_add_u32_e32 v12, s24, v20
	v_mad_i64_i32 v[30:31], s[28:29], v12, 17, s[16:17]
	v_lshl_add_u64 v[32:33], v[30:31], 0, v[0:1]
	global_load_dwordx2 v[10:11], v[32:33], off offset:1
	global_load_ubyte v29, v[30:31], off
	s_and_b64 vcc, exec, s[10:11]
	s_waitcnt vmcnt(2)
	v_cvt_f32_f16_e32 v30, v13
	s_cbranch_vccnz .LBB73_20
; %bb.19:                               ;   in Loop: Header=BB73_18 Depth=1
	v_mad_i64_i32 v[12:13], s[28:29], v12, 17, s[36:37]
	v_lshl_add_u64 v[32:33], v[12:13], 0, v[0:1]
	global_load_dword v31, v[32:33], off offset:1
	global_load_dword v34, v[32:33], off offset:5
	global_load_ubyte v35, v[12:13], off
	v_mov_b32_e32 v12, 0
	s_waitcnt vmcnt(2)
	v_ashrrev_i32_e32 v13, 4, v31
	v_and_b32_e32 v32, 0x7070707, v31
	v_lshrrev_b32_e32 v31, 1, v31
	v_and_b32_e32 v39, 0x7070707, v13
	v_and_b32_e32 v31, 0x4040404, v31
	v_lshrrev_b32_e32 v13, 1, v13
	s_waitcnt vmcnt(1)
	v_ashrrev_i32_e32 v33, 4, v34
	v_and_b32_e32 v36, 0x7070707, v34
	v_lshrrev_b32_e32 v34, 1, v34
	v_perm_b32 v38, s25, v25, v32
	v_perm_b32 v32, s27, v26, v32
	v_or_b32_e32 v31, 0x3020100, v31
	v_and_b32_e32 v13, 0x4040404, v13
	v_and_b32_e32 v41, 0x7070707, v33
	v_and_b32_e32 v34, 0x4040404, v34
	v_lshrrev_b32_e32 v33, 1, v33
	v_perm_b32 v42, s25, v25, v39
	v_perm_b32 v39, s27, v26, v39
	;; [unrolled: 1-line block ×3, first 2 shown]
	v_or_b32_e32 v13, 0x3020100, v13
	v_perm_b32 v40, s25, v25, v36
	v_perm_b32 v36, s27, v26, v36
	v_or_b32_e32 v34, 0x3020100, v34
	v_and_b32_e32 v33, 0x4040404, v33
	v_perm_b32 v13, v39, v42, v13
	v_dot4c_i32_i8_e32 v12, v31, v8
	v_perm_b32 v43, s25, v25, v41
	v_perm_b32 v41, s27, v26, v41
	;; [unrolled: 1-line block ×3, first 2 shown]
	v_or_b32_e32 v33, 0x3020100, v33
	v_dot4c_i32_i8_e32 v12, v13, v6
	v_perm_b32 v31, v41, v43, v33
	v_dot4c_i32_i8_e32 v12, v32, v9
	v_dot4c_i32_i8_e32 v12, v31, v7
	s_waitcnt vmcnt(0)
	v_lshlrev_b32_e32 v37, 23, v35
	v_mul_f32_e32 v13, 0.5, v37
	v_cmp_ne_u32_e32 vcc, 0, v35
	v_cvt_f32_i32_e32 v12, v12
	s_nop 0
	v_cndmask_b32_e32 v13, v27, v13, vcc
	v_mul_f32_e32 v13, v13, v30
	v_fmac_f32_e32 v23, v13, v12
.LBB73_20:                              ;   in Loop: Header=BB73_18 Depth=1
	v_add_u32_e32 v32, s21, v20
	v_mad_i64_i32 v[34:35], s[28:29], v32, 17, s[16:17]
	v_lshl_add_u64 v[36:37], v[34:35], 0, v[0:1]
	global_load_dwordx2 v[12:13], v[36:37], off offset:1
	global_load_ubyte v31, v[34:35], off
	s_and_b64 vcc, exec, s[10:11]
	s_cbranch_vccnz .LBB73_17
; %bb.21:                               ;   in Loop: Header=BB73_18 Depth=1
	v_mad_i64_i32 v[32:33], s[28:29], v32, 17, s[36:37]
	v_lshl_add_u64 v[34:35], v[32:33], 0, v[0:1]
	global_load_dword v36, v[34:35], off offset:1
	global_load_dword v37, v[34:35], off offset:5
	global_load_ubyte v38, v[32:33], off
	v_mov_b32_e32 v32, 0
	s_waitcnt vmcnt(2)
	v_ashrrev_i32_e32 v33, 4, v36
	v_lshrrev_b32_e32 v35, 1, v36
	v_and_b32_e32 v34, 0x7070707, v36
	v_and_b32_e32 v42, 0x7070707, v33
	;; [unrolled: 1-line block ×3, first 2 shown]
	v_lshrrev_b32_e32 v33, 1, v33
	s_waitcnt vmcnt(1)
	v_ashrrev_i32_e32 v36, 4, v37
	v_and_b32_e32 v39, 0x7070707, v37
	v_lshrrev_b32_e32 v37, 1, v37
	v_perm_b32 v41, s25, v25, v34
	v_perm_b32 v34, s27, v26, v34
	v_or_b32_e32 v35, 0x3020100, v35
	v_and_b32_e32 v33, 0x4040404, v33
	v_and_b32_e32 v44, 0x7070707, v36
	;; [unrolled: 1-line block ×3, first 2 shown]
	v_lshrrev_b32_e32 v36, 1, v36
	v_perm_b32 v45, s25, v25, v42
	v_perm_b32 v42, s27, v26, v42
	;; [unrolled: 1-line block ×3, first 2 shown]
	v_or_b32_e32 v33, 0x3020100, v33
	v_perm_b32 v43, s25, v25, v39
	v_perm_b32 v39, s27, v26, v39
	v_or_b32_e32 v37, 0x3020100, v37
	v_and_b32_e32 v36, 0x4040404, v36
	v_perm_b32 v33, v42, v45, v33
	v_dot4c_i32_i8_e32 v32, v34, v8
	v_perm_b32 v46, s25, v25, v44
	v_perm_b32 v44, s27, v26, v44
	;; [unrolled: 1-line block ×3, first 2 shown]
	v_or_b32_e32 v36, 0x3020100, v36
	v_dot4c_i32_i8_e32 v32, v33, v6
	v_perm_b32 v34, v44, v46, v36
	v_dot4c_i32_i8_e32 v32, v35, v9
	v_dot4c_i32_i8_e32 v32, v34, v7
	s_waitcnt vmcnt(0)
	v_lshlrev_b32_e32 v40, 23, v38
	v_mul_f32_e32 v33, 0.5, v40
	v_cmp_ne_u32_e32 vcc, 0, v38
	v_cvt_f32_i32_e32 v32, v32
	s_nop 0
	v_cndmask_b32_e32 v33, v27, v33, vcc
	v_mul_f32_e32 v33, v33, v30
	v_fmac_f32_e32 v22, v33, v32
	s_branch .LBB73_17
.LBB73_22:
	s_or_b64 exec, exec, s[12:13]
	ds_write2_b32 v18, v24, v21 offset1:1
	ds_write2_b32 v17, v23, v22 offset1:1
.LBB73_23:
	s_or_b64 exec, exec, s[0:1]
	s_load_dword s15, s[2:3], 0x30
	v_cmp_eq_u32_e64 s[0:1], 0, v19
	v_cmp_ne_u32_e32 vcc, 0, v19
	v_lshlrev_b32_e32 v0, 2, v14
	s_and_saveexec_b64 s[12:13], vcc
	s_cbranch_execz .LBB73_28
; %bb.24:
	v_add_u32_e32 v1, -1, v19
	v_lshl_or_b32 v1, v1, 9, v0
	s_mov_b64 s[16:17], -1
	s_and_b64 vcc, exec, s[22:23]
	ds_write_b32 v1, v24
	s_cbranch_vccz .LBB73_26
; %bb.25:
	ds_write_b32 v1, v21 offset:256
	s_mov_b64 s[16:17], 0
.LBB73_26:
	s_andn2_b64 vcc, exec, s[16:17]
	s_cbranch_vccnz .LBB73_28
; %bb.27:
	ds_write_b32 v1, v21 offset:256
	ds_write2st64_b32 v1, v23, v22 offset0:2 offset1:3
.LBB73_28:
	s_or_b64 exec, exec, s[12:13]
	s_waitcnt lgkmcnt(0)
	s_barrier
	s_and_saveexec_b64 s[12:13], s[0:1]
	s_cbranch_execz .LBB73_61
; %bb.29:
	ds_read_b32 v2, v0
	ds_read_b32 v3, v18
	s_and_b64 vcc, exec, s[10:11]
	s_cbranch_vccnz .LBB73_31
; %bb.30:
	ds_read_b32 v1, v0 offset:512
	ds_read_b32 v4, v17
	s_waitcnt lgkmcnt(0)
	v_add_f32_e32 v1, v1, v4
	ds_write_b32 v17, v1
.LBB73_31:
	v_mbcnt_lo_u32_b32 v1, -1, 0
	v_mbcnt_hi_u32_b32 v6, -1, v1
	v_and_b32_e32 v1, 64, v6
	v_add_u32_e32 v7, 64, v1
	v_xor_b32_e32 v1, 32, v6
	v_cmp_lt_i32_e32 vcc, v1, v7
	s_waitcnt lgkmcnt(0)
	v_add_f32_e32 v3, v2, v3
	v_xor_b32_e32 v2, 16, v6
	v_cndmask_b32_e32 v1, v6, v1, vcc
	v_lshlrev_b32_e32 v1, 2, v1
	ds_bpermute_b32 v4, v1, v3
	v_cmp_lt_i32_e32 vcc, v2, v7
	v_xor_b32_e32 v10, 1, v6
	s_waitcnt lgkmcnt(0)
	v_add_f32_e32 v4, v3, v4
	v_cndmask_b32_e32 v2, v6, v2, vcc
	v_lshlrev_b32_e32 v2, 2, v2
	ds_bpermute_b32 v5, v2, v4
	v_xor_b32_e32 v3, 8, v6
	v_cmp_lt_i32_e32 vcc, v3, v7
	s_waitcnt lgkmcnt(0)
	v_add_f32_e32 v5, v4, v5
	v_cndmask_b32_e32 v3, v6, v3, vcc
	v_lshlrev_b32_e32 v3, 2, v3
	ds_bpermute_b32 v8, v3, v5
	v_xor_b32_e32 v4, 4, v6
	v_cmp_lt_i32_e32 vcc, v4, v7
	;; [unrolled: 7-line block ×3, first 2 shown]
	s_waitcnt lgkmcnt(0)
	v_add_f32_e32 v8, v8, v9
	v_cndmask_b32_e32 v5, v6, v5, vcc
	v_lshlrev_b32_e32 v5, 2, v5
	ds_bpermute_b32 v9, v5, v8
	v_cmp_lt_i32_e32 vcc, v10, v7
	s_waitcnt lgkmcnt(0)
	v_add_f32_e32 v7, v8, v9
	v_cndmask_b32_e32 v6, v6, v10, vcc
	v_lshlrev_b32_e32 v6, 2, v6
	ds_bpermute_b32 v8, v6, v7
	s_and_b64 vcc, exec, s[10:11]
	s_waitcnt lgkmcnt(0)
	v_add_f32_e32 v7, v7, v8
	ds_write_b32 v18, v7
	s_cbranch_vccnz .LBB73_33
; %bb.32:
	ds_read_b32 v7, v17
	s_waitcnt lgkmcnt(0)
	ds_bpermute_b32 v8, v1, v7
	s_waitcnt lgkmcnt(0)
	v_add_f32_e32 v7, v7, v8
	ds_bpermute_b32 v8, v2, v7
	s_waitcnt lgkmcnt(0)
	v_add_f32_e32 v7, v7, v8
	;; [unrolled: 3-line block ×6, first 2 shown]
	ds_write_b32 v17, v7
.LBB73_33:
	ds_read_b32 v7, v0 offset:256
	ds_read_b32 v8, v18 offset:4
	s_and_b64 vcc, exec, s[10:11]
	s_cbranch_vccnz .LBB73_35
; %bb.34:
	ds_read_b32 v9, v0 offset:768
	ds_read_b32 v10, v17 offset:4
	s_waitcnt lgkmcnt(0)
	v_add_f32_e32 v9, v9, v10
	ds_write_b32 v17, v9 offset:4
.LBB73_35:
	s_waitcnt lgkmcnt(0)
	v_add_f32_e32 v7, v7, v8
	ds_bpermute_b32 v8, v1, v7
	s_and_b64 vcc, exec, s[10:11]
	s_waitcnt lgkmcnt(0)
	v_add_f32_e32 v7, v7, v8
	ds_bpermute_b32 v8, v2, v7
	s_waitcnt lgkmcnt(0)
	v_add_f32_e32 v7, v7, v8
	ds_bpermute_b32 v8, v3, v7
	;; [unrolled: 3-line block ×5, first 2 shown]
	s_waitcnt lgkmcnt(0)
	v_add_f32_e32 v7, v7, v8
	ds_write_b32 v18, v7 offset:4
	s_cbranch_vccnz .LBB73_37
; %bb.36:
	ds_read_b32 v7, v17 offset:4
	s_waitcnt lgkmcnt(0)
	ds_bpermute_b32 v1, v1, v7
	s_waitcnt lgkmcnt(0)
	v_add_f32_e32 v1, v7, v1
	ds_bpermute_b32 v2, v2, v1
	s_waitcnt lgkmcnt(0)
	v_add_f32_e32 v1, v1, v2
	;; [unrolled: 3-line block ×6, first 2 shown]
	ds_write_b32 v17, v1 offset:4
.LBB73_37:
	v_add_u32_e32 v1, s20, v14
	v_cmp_gt_u32_e32 vcc, 2, v14
	v_cmp_gt_u32_e64 s[0:1], s7, v1
	s_and_b64 s[0:1], vcc, s[0:1]
	s_and_b64 exec, exec, s[0:1]
	s_cbranch_execz .LBB73_61
; %bb.38:
	v_lshl_add_u32 v1, v14, 2, v18
	ds_read_b32 v1, v1
	s_and_b64 vcc, exec, s[10:11]
	s_waitcnt vmcnt(0) lgkmcnt(0)
	v_add_f32_e32 v2, v16, v1
	v_cndmask_b32_e64 v1, v2, v1, s[8:9]
	s_cbranch_vccnz .LBB73_60
; %bb.39:
	v_lshl_add_u32 v2, v14, 2, v17
	ds_read_b32 v2, v2
	s_cmp_lt_i32 s15, 2
	s_mov_b64 s[0:1], 0
	s_waitcnt lgkmcnt(0)
	v_add_f32_e32 v3, v15, v2
	v_cndmask_b32_e64 v2, v2, v3, s[4:5]
	s_cbranch_scc1 .LBB73_43
; %bb.40:
	s_cmp_gt_i32 s15, 2
	s_cbranch_scc0 .LBB73_44
; %bb.41:
	s_cmp_eq_u32 s15, 3
	s_cbranch_scc0 .LBB73_45
; %bb.42:
	v_max_f32_e32 v3, v2, v2
	v_min_f32_e32 v3, 0x40e00000, v3
	v_mul_f32_e32 v5, 0xbfd9db23, v3
	s_mov_b32 s4, 0x3fb8aa3b
	v_mul_f32_e32 v4, 0x3fb8aa3b, v5
	v_fma_f32 v6, v5, s4, -v4
	v_rndne_f32_e32 v7, v4
	v_fmamk_f32 v6, v5, 0x32a5705f, v6
	v_sub_f32_e32 v4, v4, v7
	v_add_f32_e32 v4, v4, v6
	v_exp_f32_e32 v6, v4
	v_cvt_i32_f32_e32 v7, v7
	s_mov_b32 s4, 0xc2ce8ed0
	v_max_f32_e32 v4, v1, v1
	v_cmp_ngt_f32_e32 vcc, s4, v5
	v_ldexp_f32 v6, v6, v7
	s_mov_b32 s4, 0x42b17218
	v_min_f32_e32 v4, 0x40e00000, v4
	v_cndmask_b32_e32 v6, 0, v6, vcc
	v_mov_b32_e32 v7, 0x7f800000
	v_cmp_nlt_f32_e32 vcc, s4, v5
	v_max_f32_e32 v4, 0xc0e00000, v4
	s_nop 0
	v_cndmask_b32_e32 v5, v7, v6, vcc
	v_pk_add_f32 v[4:5], v[4:5], 1.0 op_sel_hi:[1,0]
	s_nop 0
	v_div_scale_f32 v6, s[4:5], v5, v5, v3
	v_rcp_f32_e32 v7, v6
	s_mov_b64 s[4:5], 0
	v_fma_f32 v8, -v6, v7, 1.0
	v_fmac_f32_e32 v7, v8, v7
	v_div_scale_f32 v8, vcc, v3, v5, v3
	v_mul_f32_e32 v9, v8, v7
	v_fma_f32 v10, -v6, v9, v8
	v_fmac_f32_e32 v9, v10, v7
	v_fma_f32 v6, -v6, v9, v8
	v_div_fmas_f32 v6, v6, v7, v9
	v_div_fixup_f32 v3, v6, v5, v3
	v_mul_f32_e32 v3, v4, v3
	s_branch .LBB73_46
.LBB73_43:
                                        ; implicit-def: $vgpr3
	s_mov_b64 s[4:5], 0
	s_cbranch_execnz .LBB73_50
	s_branch .LBB73_51
.LBB73_44:
	s_mov_b64 s[8:9], -1
	s_mov_b64 s[4:5], 0
                                        ; implicit-def: $vgpr3
	s_branch .LBB73_47
.LBB73_45:
	s_mov_b64 s[4:5], -1
                                        ; implicit-def: $vgpr3
.LBB73_46:
	s_mov_b64 s[8:9], 0
.LBB73_47:
	s_and_b64 vcc, exec, s[8:9]
	s_cbranch_vccz .LBB73_49
; %bb.48:
	v_mul_f32_e32 v3, 0xbfb8aa3b, v2
	s_mov_b32 s7, 0xbfb8aa3b
	v_rndne_f32_e32 v4, v3
	v_sub_f32_e32 v5, v3, v4
	v_fma_f32 v3, v2, s7, -v3
	v_fmamk_f32 v3, v2, 0xb2a5705f, v3
	v_add_f32_e32 v3, v5, v3
	v_exp_f32_e32 v3, v3
	v_cvt_i32_f32_e32 v4, v4
	s_mov_b32 s7, 0x42ce8ed0
	v_cmp_nlt_f32_e32 vcc, s7, v2
	s_mov_b32 s7, 0xc2b17218
	v_ldexp_f32 v3, v3, v4
	v_cndmask_b32_e32 v3, 0, v3, vcc
	v_mov_b32_e32 v4, 0x7f800000
	v_cmp_ngt_f32_e32 vcc, s7, v2
	s_nop 1
	v_cndmask_b32_e32 v3, v4, v3, vcc
	v_add_f32_e32 v3, 1.0, v3
	v_div_scale_f32 v4, s[8:9], v3, v3, v2
	v_rcp_f32_e32 v5, v4
	s_nop 0
	v_fma_f32 v6, -v4, v5, 1.0
	v_fmac_f32_e32 v5, v6, v5
	v_div_scale_f32 v6, vcc, v2, v3, v2
	v_mul_f32_e32 v7, v6, v5
	v_fma_f32 v8, -v4, v7, v6
	v_fmac_f32_e32 v7, v8, v5
	v_fma_f32 v4, -v4, v7, v6
	v_div_fmas_f32 v4, v4, v5, v7
	v_div_fixup_f32 v3, v4, v3, v2
	v_mul_f32_e32 v3, v1, v3
.LBB73_49:
	s_branch .LBB73_51
.LBB73_50:
	s_cmp_lg_u32 s15, 1
	s_mov_b64 s[0:1], -1
	s_cselect_b64 s[4:5], -1, 0
                                        ; implicit-def: $vgpr3
.LBB73_51:
	s_andn2_b64 vcc, exec, s[4:5]
	s_cbranch_vccz .LBB73_53
; %bb.52:
	s_andn2_b64 vcc, exec, s[0:1]
	s_cbranch_vccz .LBB73_54
	s_branch .LBB73_59
.LBB73_53:
	v_mul_f32_e32 v3, v1, v2
	s_cbranch_execnz .LBB73_59
.LBB73_54:
	v_mul_f32_e32 v4, 0x3d372713, v2
	v_mul_f32_e32 v3, 0x3f4c422a, v2
	v_fma_f32 v4, v2, v4, 1.0
	v_mul_f32_e32 v3, v3, v4
	s_mov_b32 s0, 0x3f200000
	v_cmp_nlt_f32_e64 s[0:1], |v3|, s0
                                        ; implicit-def: $vgpr4
	s_and_saveexec_b64 s[4:5], s[0:1]
	s_xor_b64 s[0:1], exec, s[4:5]
	s_cbranch_execz .LBB73_56
; %bb.55:
	v_add_f32_e64 v4, |v3|, |v3|
	v_mul_f32_e32 v5, 0x3fb8aa3b, v4
	s_mov_b32 s4, 0x3fb8aa3b
	v_rndne_f32_e32 v6, v5
	v_sub_f32_e32 v7, v5, v6
	v_fma_f32 v5, v4, s4, -v5
	v_fmamk_f32 v5, v4, 0x32a5705f, v5
	v_add_f32_e32 v5, v7, v5
	v_exp_f32_e32 v5, v5
	v_cvt_i32_f32_e32 v6, v6
	s_mov_b32 s4, 0xc2ce8ed0
	v_cmp_ngt_f32_e32 vcc, s4, v4
	s_mov_b32 s4, 0x42b17218
	v_ldexp_f32 v5, v5, v6
	v_cndmask_b32_e32 v5, 0, v5, vcc
	v_mov_b32_e32 v6, 0x7f800000
	v_cmp_nlt_f32_e32 vcc, s4, v4
	s_nop 1
	v_cndmask_b32_e32 v4, v6, v5, vcc
	v_add_f32_e32 v4, 1.0, v4
	v_rcp_f32_e32 v4, v4
	s_nop 0
	v_fma_f32 v4, v4, -2.0, 1.0
.LBB73_56:
	s_andn2_saveexec_b64 s[0:1], s[0:1]
; %bb.57:
	v_mul_f32_e32 v4, v3, v3
	v_mov_b32_e32 v5, 0x3ca908c9
	v_fmac_f32_e32 v5, 0xbbbac73d, v4
	v_fmaak_f32 v5, v4, v5, 0xbd5c1c4e
	v_fmaak_f32 v5, v4, v5, 0x3e088382
	;; [unrolled: 1-line block ×3, first 2 shown]
	v_mul_f32_e64 v5, |v3|, v5
	v_fma_f32 v4, v4, v5, |v3|
; %bb.58:
	s_or_b64 exec, exec, s[0:1]
	s_brev_b32 s0, -2
	v_bfi_b32 v3, s0, v4, v3
	v_mul_f32_e32 v2, 0.5, v2
	v_add_f32_e32 v3, 1.0, v3
	v_mul_f32_e32 v2, v2, v3
	v_mul_f32_e32 v3, v1, v2
.LBB73_59:
	v_mov_b32_e32 v1, v3
.LBB73_60:
	s_load_dwordx2 s[0:1], s[2:3], 0x38
	s_mul_i32 s4, s14, s26
	s_mul_i32 s6, s6, s30
	s_add_i32 s2, s4, s20
	s_add_i32 s2, s2, s6
	s_mov_b32 s3, 0
	s_lshl_b64 s[2:3], s[2:3], 2
	s_waitcnt lgkmcnt(0)
	s_add_u32 s0, s0, s2
	s_addc_u32 s1, s1, s3
	global_store_dword v0, v1, s[0:1]
.LBB73_61:
	s_endpgm
	.section	.rodata,"a",@progbits
	.p2align	6, 0x0
	.amdhsa_kernel _ZL13mul_mat_vec_qIL9ggml_type39ELi1ELb1ELb1EEvPKvS2_PKi31ggml_cuda_mm_fusion_args_devicePfj15HIP_vector_typeIjLj3EEjjjS8_jjjS8_jjjj
		.amdhsa_group_segment_fixed_size 3072
		.amdhsa_private_segment_fixed_size 0
		.amdhsa_kernarg_size 144
		.amdhsa_user_sgpr_count 4
		.amdhsa_user_sgpr_dispatch_ptr 1
		.amdhsa_user_sgpr_queue_ptr 0
		.amdhsa_user_sgpr_kernarg_segment_ptr 1
		.amdhsa_user_sgpr_dispatch_id 0
		.amdhsa_user_sgpr_kernarg_preload_length 0
		.amdhsa_user_sgpr_kernarg_preload_offset 0
		.amdhsa_user_sgpr_private_segment_size 0
		.amdhsa_uses_dynamic_stack 0
		.amdhsa_enable_private_segment 0
		.amdhsa_system_sgpr_workgroup_id_x 1
		.amdhsa_system_sgpr_workgroup_id_y 1
		.amdhsa_system_sgpr_workgroup_id_z 1
		.amdhsa_system_sgpr_workgroup_info 0
		.amdhsa_system_vgpr_workitem_id 2
		.amdhsa_next_free_vgpr 47
		.amdhsa_next_free_sgpr 46
		.amdhsa_accum_offset 48
		.amdhsa_reserve_vcc 1
		.amdhsa_float_round_mode_32 0
		.amdhsa_float_round_mode_16_64 0
		.amdhsa_float_denorm_mode_32 3
		.amdhsa_float_denorm_mode_16_64 3
		.amdhsa_dx10_clamp 1
		.amdhsa_ieee_mode 1
		.amdhsa_fp16_overflow 0
		.amdhsa_tg_split 0
		.amdhsa_exception_fp_ieee_invalid_op 0
		.amdhsa_exception_fp_denorm_src 0
		.amdhsa_exception_fp_ieee_div_zero 0
		.amdhsa_exception_fp_ieee_overflow 0
		.amdhsa_exception_fp_ieee_underflow 0
		.amdhsa_exception_fp_ieee_inexact 0
		.amdhsa_exception_int_div_zero 0
	.end_amdhsa_kernel
	.section	.text._ZL13mul_mat_vec_qIL9ggml_type39ELi1ELb1ELb1EEvPKvS2_PKi31ggml_cuda_mm_fusion_args_devicePfj15HIP_vector_typeIjLj3EEjjjS8_jjjS8_jjjj,"axG",@progbits,_ZL13mul_mat_vec_qIL9ggml_type39ELi1ELb1ELb1EEvPKvS2_PKi31ggml_cuda_mm_fusion_args_devicePfj15HIP_vector_typeIjLj3EEjjjS8_jjjS8_jjjj,comdat
.Lfunc_end73:
	.size	_ZL13mul_mat_vec_qIL9ggml_type39ELi1ELb1ELb1EEvPKvS2_PKi31ggml_cuda_mm_fusion_args_devicePfj15HIP_vector_typeIjLj3EEjjjS8_jjjS8_jjjj, .Lfunc_end73-_ZL13mul_mat_vec_qIL9ggml_type39ELi1ELb1ELb1EEvPKvS2_PKi31ggml_cuda_mm_fusion_args_devicePfj15HIP_vector_typeIjLj3EEjjjS8_jjjS8_jjjj
                                        ; -- End function
	.section	.AMDGPU.csdata,"",@progbits
; Kernel info:
; codeLenInByte = 4048
; NumSgprs: 52
; NumVgprs: 47
; NumAgprs: 0
; TotalNumVgprs: 47
; ScratchSize: 0
; MemoryBound: 0
; FloatMode: 240
; IeeeMode: 1
; LDSByteSize: 3072 bytes/workgroup (compile time only)
; SGPRBlocks: 6
; VGPRBlocks: 5
; NumSGPRsForWavesPerEU: 52
; NumVGPRsForWavesPerEU: 47
; AccumOffset: 48
; Occupancy: 8
; WaveLimiterHint : 0
; COMPUTE_PGM_RSRC2:SCRATCH_EN: 0
; COMPUTE_PGM_RSRC2:USER_SGPR: 4
; COMPUTE_PGM_RSRC2:TRAP_HANDLER: 0
; COMPUTE_PGM_RSRC2:TGID_X_EN: 1
; COMPUTE_PGM_RSRC2:TGID_Y_EN: 1
; COMPUTE_PGM_RSRC2:TGID_Z_EN: 1
; COMPUTE_PGM_RSRC2:TIDIG_COMP_CNT: 2
; COMPUTE_PGM_RSRC3_GFX90A:ACCUM_OFFSET: 11
; COMPUTE_PGM_RSRC3_GFX90A:TG_SPLIT: 0
	.section	.text._ZL13mul_mat_vec_qIL9ggml_type39ELi1ELb0ELb1EEvPKvS2_PKi31ggml_cuda_mm_fusion_args_devicePfj15HIP_vector_typeIjLj3EEjjjS8_jjjS8_jjjj,"axG",@progbits,_ZL13mul_mat_vec_qIL9ggml_type39ELi1ELb0ELb1EEvPKvS2_PKi31ggml_cuda_mm_fusion_args_devicePfj15HIP_vector_typeIjLj3EEjjjS8_jjjS8_jjjj,comdat
	.globl	_ZL13mul_mat_vec_qIL9ggml_type39ELi1ELb0ELb1EEvPKvS2_PKi31ggml_cuda_mm_fusion_args_devicePfj15HIP_vector_typeIjLj3EEjjjS8_jjjS8_jjjj ; -- Begin function _ZL13mul_mat_vec_qIL9ggml_type39ELi1ELb0ELb1EEvPKvS2_PKi31ggml_cuda_mm_fusion_args_devicePfj15HIP_vector_typeIjLj3EEjjjS8_jjjS8_jjjj
	.p2align	8
	.type	_ZL13mul_mat_vec_qIL9ggml_type39ELi1ELb0ELb1EEvPKvS2_PKi31ggml_cuda_mm_fusion_args_devicePfj15HIP_vector_typeIjLj3EEjjjS8_jjjS8_jjjj,@function
_ZL13mul_mat_vec_qIL9ggml_type39ELi1ELb0ELb1EEvPKvS2_PKi31ggml_cuda_mm_fusion_args_devicePfj15HIP_vector_typeIjLj3EEjjjS8_jjjS8_jjjj: ; @_ZL13mul_mat_vec_qIL9ggml_type39ELi1ELb0ELb1EEvPKvS2_PKi31ggml_cuda_mm_fusion_args_devicePfj15HIP_vector_typeIjLj3EEjjjS8_jjjS8_jjjj
; %bb.0:
	s_load_dwordx2 s[8:9], s[2:3], 0x10
	s_load_dwordx4 s[16:19], s[2:3], 0x40
	s_mov_b32 s20, s5
	s_mov_b64 s[14:15], 0
	s_waitcnt lgkmcnt(0)
	s_cmp_lg_u64 s[8:9], 0
	s_cselect_b64 s[12:13], -1, 0
	s_cmp_eq_u64 s[8:9], 0
	s_cbranch_scc1 .LBB74_5
; %bb.1:
	s_mov_b32 s21, 0
	s_lshl_b64 s[10:11], s[20:21], 2
	s_add_u32 s8, s8, s10
	s_addc_u32 s9, s9, s11
	s_load_dword s22, s[8:9], 0x0
	s_nop 0
	s_load_dwordx4 s[8:11], s[2:3], 0x68
	s_load_dword s21, s[2:3], 0x50
	s_andn2_b64 vcc, exec, s[14:15]
	s_cbranch_vccnz .LBB74_3
.LBB74_2:
	s_load_dwordx2 s[14:15], s[2:3], 0x5c
	s_waitcnt lgkmcnt(0)
	s_mul_hi_u32 s5, s14, s20
	s_add_i32 s5, s20, s5
	s_lshr_b32 s22, s5, s15
.LBB74_3:
	s_load_dword s23, s[2:3], 0x78
	s_andn2_b64 vcc, exec, s[12:13]
	s_cbranch_vccnz .LBB74_6
; %bb.4:
	s_mul_hi_u32 s5, s17, s20
	s_add_i32 s5, s20, s5
	s_lshr_b32 s5, s5, s18
	s_mul_i32 s5, s5, s19
	s_sub_i32 s24, s20, s5
	s_branch .LBB74_7
.LBB74_5:
                                        ; implicit-def: $sgpr22
	s_load_dwordx4 s[8:11], s[2:3], 0x68
	s_load_dword s21, s[2:3], 0x50
	s_branch .LBB74_2
.LBB74_6:
	s_mov_b32 s24, s20
.LBB74_7:
	s_load_dwordx2 s[18:19], s[0:1], 0x4
	s_load_dwordx4 s[12:15], s[2:3], 0x80
	v_bfe_u32 v10, v0, 10, 10
	v_and_b32_e32 v9, 0x3ff, v0
	v_bfe_u32 v0, v0, 20, 10
	s_waitcnt lgkmcnt(0)
	s_lshr_b32 s0, s18, 16
	v_mul_u32_u24_e32 v1, s19, v10
	s_mul_i32 s0, s0, s19
	v_mad_u32_u24 v1, s0, v9, v1
	v_add_lshl_u32 v1, v1, v0, 3
	v_lshlrev_b32_e32 v0, 6, v10
	v_mov_b32_e32 v2, 0
	v_add_u32_e32 v8, 0x200, v1
	ds_write2_b32 v1, v2, v2 offset0:128 offset1:129
	v_add_u16_e32 v1, v0, v9
	s_lshr_b32 s15, s16, 5
	v_lshrrev_b16_e32 v11, 1, v1
	s_lshl_b32 s7, s4, 1
	v_cmp_gt_u32_e32 vcc, s15, v11
	v_mov_b32_e32 v3, v2
	s_and_saveexec_b64 s[4:5], vcc
	s_cbranch_execz .LBB74_11
; %bb.8:
	s_load_dwordx4 s[16:19], s[2:3], 0x0
	s_mul_i32 s1, s24, s9
	s_mul_hi_u32 s9, s11, s6
	s_mul_i32 s0, s6, s13
	s_add_i32 s9, s6, s9
	s_lshr_b32 s9, s9, s23
	s_mul_hi_u32 s13, s0, 36
	s_mul_i32 s0, s0, 36
	s_waitcnt lgkmcnt(0)
	s_add_u32 s0, s18, s0
	s_mul_hi_u32 s11, s1, 36
	s_mul_i32 s1, s1, 36
	s_addc_u32 s13, s19, s13
	v_add_u32_e32 v2, v0, v9
	s_add_u32 s0, s0, s1
	v_lshrrev_b32_e32 v2, 1, v2
	s_addc_u32 s1, s13, s11
	v_mad_u64_u32 v[6:7], s[0:1], v2, 36, s[0:1]
	s_mul_i32 s8, s22, s8
	s_mul_i32 s9, s9, s12
	s_add_i32 s0, s7, 1
	v_lshlrev_b32_e32 v0, 3, v9
	v_mov_b32_e32 v1, 0
	s_mul_i32 s12, s7, s21
	v_and_b32_e32 v3, 1, v9
	s_add_i32 s18, s9, s8
	s_mul_i32 s21, s21, s0
	v_and_b32_e32 v0, 8, v0
	v_lshlrev_b32_e32 v4, 3, v3
	v_mov_b32_e32 v5, v1
	s_add_i32 s11, s18, s21
	s_add_i32 s18, s18, s12
	s_mov_b64 s[8:9], 0
	s_mov_b32 s19, 0xc080604
	v_mov_b32_e32 v12, 0x3020100
	s_mov_b32 s21, 0xf4f8fafc
	v_mov_b32_e32 v13, 0xfdfeff00
	v_mov_b32_e32 v14, 0x200000
	s_mov_b64 s[12:13], 0x900
	v_mov_b32_e32 v2, v1
	v_mov_b32_e32 v3, v1
.LBB74_9:                               ; =>This Inner Loop Header: Depth=1
	v_lshl_add_u64 v[16:17], v[6:7], 0, v[4:5]
	global_load_dword v15, v[6:7], off
	v_add_u32_e32 v22, s18, v11
	v_add_u32_e32 v23, s11, v11
	global_load_dwordx2 v[18:19], v[16:17], off offset:4
	global_load_dwordx2 v[20:21], v[16:17], off offset:20
	v_mad_i64_i32 v[16:17], s[0:1], v22, 17, s[16:17]
	v_mad_i64_i32 v[22:23], s[0:1], v23, 17, s[16:17]
	v_lshl_add_u64 v[24:25], v[16:17], 0, v[0:1]
	v_lshl_add_u64 v[26:27], v[22:23], 0, v[0:1]
	global_load_dword v30, v[24:25], off offset:1
	global_load_dword v31, v[24:25], off offset:5
	;; [unrolled: 1-line block ×4, first 2 shown]
	global_load_ubyte v34, v[22:23], off
	global_load_ubyte v35, v[16:17], off
	v_add_u32_e32 v11, 64, v11
	v_cmp_le_u32_e32 vcc, s15, v11
	v_mov_b32_e32 v28, 0
	v_mov_b32_e32 v29, 0
	s_or_b64 s[8:9], vcc, s[8:9]
	v_lshl_add_u64 v[6:7], v[6:7], 0, s[12:13]
	s_waitcnt vmcnt(8)
	v_cvt_f32_f16_e32 v16, v15
	s_waitcnt vmcnt(5)
	v_ashrrev_i32_e32 v15, 4, v30
	v_and_b32_e32 v17, 0x7070707, v30
	v_lshrrev_b32_e32 v24, 1, v30
	s_waitcnt vmcnt(4)
	v_ashrrev_i32_e32 v25, 4, v31
	v_and_b32_e32 v26, 0x7070707, v31
	v_lshrrev_b32_e32 v27, 1, v31
	;; [unrolled: 4-line block ×3, first 2 shown]
	v_and_b32_e32 v39, 0x7070707, v15
	v_and_b32_e32 v24, 0x4040404, v24
	v_lshrrev_b32_e32 v15, 1, v15
	v_and_b32_e32 v41, 0x7070707, v25
	v_and_b32_e32 v27, 0x4040404, v27
	v_lshrrev_b32_e32 v25, 1, v25
	;; [unrolled: 3-line block ×3, first 2 shown]
	s_waitcnt vmcnt(2)
	v_ashrrev_i32_e32 v36, 4, v33
	v_and_b32_e32 v37, 0x7070707, v33
	v_lshrrev_b32_e32 v33, 1, v33
	v_perm_b32 v38, s19, v12, v17
	v_perm_b32 v17, s21, v13, v17
	;; [unrolled: 1-line block ×6, first 2 shown]
	v_or_b32_e32 v24, 0x3020100, v24
	v_and_b32_e32 v15, 0x4040404, v15
	v_or_b32_e32 v27, 0x3020100, v27
	v_and_b32_e32 v25, 0x4040404, v25
	;; [unrolled: 2-line block ×3, first 2 shown]
	s_waitcnt vmcnt(1)
	v_lshlrev_b32_e32 v23, 23, v34
	s_waitcnt vmcnt(0)
	v_lshlrev_b32_e32 v22, 23, v35
	v_and_b32_e32 v45, 0x7070707, v36
	v_and_b32_e32 v33, 0x4040404, v33
	v_lshrrev_b32_e32 v36, 1, v36
	v_cmp_ne_u16_e32 vcc, 0, v35
	v_cmp_ne_u16_e64 s[0:1], 0, v34
	v_perm_b32 v34, s19, v12, v39
	v_perm_b32 v35, s21, v13, v39
	;; [unrolled: 1-line block ×7, first 2 shown]
	v_or_b32_e32 v15, 0x3020100, v15
	v_perm_b32 v24, v26, v40, v27
	v_or_b32_e32 v25, 0x3020100, v25
	v_perm_b32 v26, v31, v42, v32
	;; [unrolled: 2-line block ×3, first 2 shown]
	v_perm_b32 v37, s21, v13, v37
	v_or_b32_e32 v33, 0x3020100, v33
	v_and_b32_e32 v36, 0x4040404, v36
	v_perm_b32 v15, v35, v34, v15
	v_dot4c_i32_i8_e32 v28, v17, v18
	v_perm_b32 v17, v41, v39, v25
	v_perm_b32 v25, v43, v46, v27
	v_dot4c_i32_i8_e32 v29, v26, v18
	v_perm_b32 v47, s19, v12, v45
	v_perm_b32 v45, s21, v13, v45
	;; [unrolled: 1-line block ×3, first 2 shown]
	v_or_b32_e32 v31, 0x3020100, v36
	v_dot4c_i32_i8_e32 v28, v15, v20
	v_dot4c_i32_i8_e32 v29, v25, v20
	v_perm_b32 v18, v45, v47, v31
	v_dot4c_i32_i8_e32 v28, v24, v19
	v_dot4c_i32_i8_e32 v29, v30, v19
	;; [unrolled: 1-line block ×4, first 2 shown]
	v_pk_mul_f32 v[22:23], v[22:23], 0.5 op_sel_hi:[1,0]
	s_nop 0
	v_cvt_f32_i32_e32 v18, v28
	v_cvt_f32_i32_e32 v19, v29
	v_cndmask_b32_e64 v21, v14, v23, s[0:1]
	v_cndmask_b32_e32 v20, v14, v22, vcc
	v_pk_mul_f32 v[16:17], v[20:21], v[16:17] op_sel_hi:[1,0]
	s_nop 0
	v_pk_fma_f32 v[2:3], v[16:17], v[18:19], v[2:3]
	s_andn2_b64 exec, exec, s[8:9]
	s_cbranch_execnz .LBB74_9
; %bb.10:
	s_or_b64 exec, exec, s[8:9]
	ds_write2_b32 v8, v2, v3 offset1:1
.LBB74_11:
	s_or_b64 exec, exec, s[4:5]
	v_cmp_eq_u32_e32 vcc, 0, v10
	v_cmp_ne_u32_e64 s[0:1], 0, v10
	v_lshlrev_b32_e32 v0, 2, v9
	s_and_saveexec_b64 s[4:5], s[0:1]
	s_cbranch_execz .LBB74_13
; %bb.12:
	v_lshl_or_b32 v1, v10, 9, v0
	v_add_u32_e32 v1, 0xfffffe00, v1
	ds_write2st64_b32 v1, v2, v3 offset1:1
.LBB74_13:
	s_or_b64 exec, exec, s[4:5]
	s_waitcnt lgkmcnt(0)
	s_barrier
	s_and_saveexec_b64 s[0:1], vcc
	s_cbranch_execz .LBB74_16
; %bb.14:
	v_mbcnt_lo_u32_b32 v1, -1, 0
	v_mbcnt_hi_u32_b32 v1, -1, v1
	v_and_b32_e32 v2, 64, v1
	v_add_u32_e32 v6, 64, v2
	ds_read2st64_b32 v[2:3], v0 offset1:1
	ds_read2_b32 v[4:5], v8 offset1:1
	v_xor_b32_e32 v7, 32, v1
	v_cmp_lt_i32_e32 vcc, v7, v6
	s_load_dword s0, s[2:3], 0x58
	s_mov_b32 s5, 0
	v_cndmask_b32_e32 v7, v1, v7, vcc
	v_lshlrev_b32_e32 v7, 2, v7
	s_waitcnt lgkmcnt(0)
	v_pk_add_f32 v[2:3], v[2:3], v[4:5]
	ds_bpermute_b32 v4, v7, v2
	ds_bpermute_b32 v5, v7, v3
	v_xor_b32_e32 v7, 16, v1
	v_cmp_lt_i32_e32 vcc, v7, v6
	s_waitcnt lgkmcnt(0)
	v_pk_add_f32 v[2:3], v[2:3], v[4:5]
	v_cndmask_b32_e32 v7, v1, v7, vcc
	v_lshlrev_b32_e32 v7, 2, v7
	ds_bpermute_b32 v4, v7, v2
	ds_bpermute_b32 v5, v7, v3
	v_xor_b32_e32 v7, 8, v1
	v_cmp_lt_i32_e32 vcc, v7, v6
	s_waitcnt lgkmcnt(0)
	v_pk_add_f32 v[2:3], v[2:3], v[4:5]
	v_cndmask_b32_e32 v7, v1, v7, vcc
	v_lshlrev_b32_e32 v7, 2, v7
	;; [unrolled: 8-line block ×5, first 2 shown]
	ds_bpermute_b32 v4, v1, v2
	ds_bpermute_b32 v5, v1, v3
	v_or_b32_e32 v1, s7, v9
	v_cmp_gt_u32_e32 vcc, 2, v9
	v_cmp_gt_u32_e64 s[0:1], s0, v1
	s_and_b64 s[0:1], vcc, s[0:1]
	s_waitcnt lgkmcnt(0)
	v_pk_add_f32 v[2:3], v[2:3], v[4:5]
	ds_write2_b32 v8, v2, v3 offset1:1
	s_and_b64 exec, exec, s[0:1]
	s_cbranch_execz .LBB74_16
; %bb.15:
	s_load_dwordx2 s[0:1], s[2:3], 0x38
	s_mul_i32 s2, s20, s10
	v_add_u32_e32 v1, v8, v0
	s_add_i32 s2, s2, s7
	s_mul_i32 s6, s6, s14
	ds_read_b32 v1, v1
	s_add_i32 s4, s2, s6
	s_lshl_b64 s[2:3], s[4:5], 2
	s_waitcnt lgkmcnt(0)
	s_add_u32 s0, s0, s2
	s_addc_u32 s1, s1, s3
	global_store_dword v0, v1, s[0:1]
.LBB74_16:
	s_endpgm
	.section	.rodata,"a",@progbits
	.p2align	6, 0x0
	.amdhsa_kernel _ZL13mul_mat_vec_qIL9ggml_type39ELi1ELb0ELb1EEvPKvS2_PKi31ggml_cuda_mm_fusion_args_devicePfj15HIP_vector_typeIjLj3EEjjjS8_jjjS8_jjjj
		.amdhsa_group_segment_fixed_size 1536
		.amdhsa_private_segment_fixed_size 0
		.amdhsa_kernarg_size 144
		.amdhsa_user_sgpr_count 4
		.amdhsa_user_sgpr_dispatch_ptr 1
		.amdhsa_user_sgpr_queue_ptr 0
		.amdhsa_user_sgpr_kernarg_segment_ptr 1
		.amdhsa_user_sgpr_dispatch_id 0
		.amdhsa_user_sgpr_kernarg_preload_length 0
		.amdhsa_user_sgpr_kernarg_preload_offset 0
		.amdhsa_user_sgpr_private_segment_size 0
		.amdhsa_uses_dynamic_stack 0
		.amdhsa_enable_private_segment 0
		.amdhsa_system_sgpr_workgroup_id_x 1
		.amdhsa_system_sgpr_workgroup_id_y 1
		.amdhsa_system_sgpr_workgroup_id_z 1
		.amdhsa_system_sgpr_workgroup_info 0
		.amdhsa_system_vgpr_workitem_id 2
		.amdhsa_next_free_vgpr 48
		.amdhsa_next_free_sgpr 25
		.amdhsa_accum_offset 48
		.amdhsa_reserve_vcc 1
		.amdhsa_float_round_mode_32 0
		.amdhsa_float_round_mode_16_64 0
		.amdhsa_float_denorm_mode_32 3
		.amdhsa_float_denorm_mode_16_64 3
		.amdhsa_dx10_clamp 1
		.amdhsa_ieee_mode 1
		.amdhsa_fp16_overflow 0
		.amdhsa_tg_split 0
		.amdhsa_exception_fp_ieee_invalid_op 0
		.amdhsa_exception_fp_denorm_src 0
		.amdhsa_exception_fp_ieee_div_zero 0
		.amdhsa_exception_fp_ieee_overflow 0
		.amdhsa_exception_fp_ieee_underflow 0
		.amdhsa_exception_fp_ieee_inexact 0
		.amdhsa_exception_int_div_zero 0
	.end_amdhsa_kernel
	.section	.text._ZL13mul_mat_vec_qIL9ggml_type39ELi1ELb0ELb1EEvPKvS2_PKi31ggml_cuda_mm_fusion_args_devicePfj15HIP_vector_typeIjLj3EEjjjS8_jjjS8_jjjj,"axG",@progbits,_ZL13mul_mat_vec_qIL9ggml_type39ELi1ELb0ELb1EEvPKvS2_PKi31ggml_cuda_mm_fusion_args_devicePfj15HIP_vector_typeIjLj3EEjjjS8_jjjS8_jjjj,comdat
.Lfunc_end74:
	.size	_ZL13mul_mat_vec_qIL9ggml_type39ELi1ELb0ELb1EEvPKvS2_PKi31ggml_cuda_mm_fusion_args_devicePfj15HIP_vector_typeIjLj3EEjjjS8_jjjS8_jjjj, .Lfunc_end74-_ZL13mul_mat_vec_qIL9ggml_type39ELi1ELb0ELb1EEvPKvS2_PKi31ggml_cuda_mm_fusion_args_devicePfj15HIP_vector_typeIjLj3EEjjjS8_jjjS8_jjjj
                                        ; -- End function
	.section	.AMDGPU.csdata,"",@progbits
; Kernel info:
; codeLenInByte = 1744
; NumSgprs: 31
; NumVgprs: 48
; NumAgprs: 0
; TotalNumVgprs: 48
; ScratchSize: 0
; MemoryBound: 0
; FloatMode: 240
; IeeeMode: 1
; LDSByteSize: 1536 bytes/workgroup (compile time only)
; SGPRBlocks: 3
; VGPRBlocks: 5
; NumSGPRsForWavesPerEU: 31
; NumVGPRsForWavesPerEU: 48
; AccumOffset: 48
; Occupancy: 8
; WaveLimiterHint : 0
; COMPUTE_PGM_RSRC2:SCRATCH_EN: 0
; COMPUTE_PGM_RSRC2:USER_SGPR: 4
; COMPUTE_PGM_RSRC2:TRAP_HANDLER: 0
; COMPUTE_PGM_RSRC2:TGID_X_EN: 1
; COMPUTE_PGM_RSRC2:TGID_Y_EN: 1
; COMPUTE_PGM_RSRC2:TGID_Z_EN: 1
; COMPUTE_PGM_RSRC2:TIDIG_COMP_CNT: 2
; COMPUTE_PGM_RSRC3_GFX90A:ACCUM_OFFSET: 11
; COMPUTE_PGM_RSRC3_GFX90A:TG_SPLIT: 0
	.section	.text._ZL13mul_mat_vec_qIL9ggml_type39ELi1ELb1ELb0EEvPKvS2_PKi31ggml_cuda_mm_fusion_args_devicePfj15HIP_vector_typeIjLj3EEjjjS8_jjjS8_jjjj,"axG",@progbits,_ZL13mul_mat_vec_qIL9ggml_type39ELi1ELb1ELb0EEvPKvS2_PKi31ggml_cuda_mm_fusion_args_devicePfj15HIP_vector_typeIjLj3EEjjjS8_jjjS8_jjjj,comdat
	.globl	_ZL13mul_mat_vec_qIL9ggml_type39ELi1ELb1ELb0EEvPKvS2_PKi31ggml_cuda_mm_fusion_args_devicePfj15HIP_vector_typeIjLj3EEjjjS8_jjjS8_jjjj ; -- Begin function _ZL13mul_mat_vec_qIL9ggml_type39ELi1ELb1ELb0EEvPKvS2_PKi31ggml_cuda_mm_fusion_args_devicePfj15HIP_vector_typeIjLj3EEjjjS8_jjjS8_jjjj
	.p2align	8
	.type	_ZL13mul_mat_vec_qIL9ggml_type39ELi1ELb1ELb0EEvPKvS2_PKi31ggml_cuda_mm_fusion_args_devicePfj15HIP_vector_typeIjLj3EEjjjS8_jjjS8_jjjj,@function
_ZL13mul_mat_vec_qIL9ggml_type39ELi1ELb1ELb0EEvPKvS2_PKi31ggml_cuda_mm_fusion_args_devicePfj15HIP_vector_typeIjLj3EEjjjS8_jjjS8_jjjj: ; @_ZL13mul_mat_vec_qIL9ggml_type39ELi1ELb1ELb0EEvPKvS2_PKi31ggml_cuda_mm_fusion_args_devicePfj15HIP_vector_typeIjLj3EEjjjS8_jjjS8_jjjj
; %bb.0:
	s_load_dwordx8 s[16:23], s[0:1], 0x0
	s_load_dwordx4 s[36:39], s[0:1], 0x20
	s_load_dwordx4 s[8:11], s[0:1], 0x40
	;; [unrolled: 1-line block ×3, first 2 shown]
	s_mov_b32 s14, s3
	s_waitcnt lgkmcnt(0)
	s_cmp_lg_u64 s[20:21], 0
	s_cselect_b64 s[6:7], -1, 0
	s_cmp_eq_u64 s[20:21], 0
	s_mov_b64 s[12:13], 0
	s_cbranch_scc1 .LBB75_5
; %bb.1:
	s_mov_b32 s15, 0
	s_lshl_b64 s[28:29], s[14:15], 2
	s_add_u32 s20, s20, s28
	s_addc_u32 s21, s21, s29
	s_load_dword s5, s[20:21], 0x0
	s_load_dword s15, s[0:1], 0x50
	;; [unrolled: 1-line block ×3, first 2 shown]
	s_andn2_b64 vcc, exec, s[12:13]
	s_cbranch_vccnz .LBB75_3
.LBB75_2:
	s_load_dwordx2 s[12:13], s[0:1], 0x5c
	s_waitcnt lgkmcnt(0)
	s_mul_hi_u32 s3, s12, s14
	s_add_i32 s3, s14, s3
	s_lshr_b32 s5, s3, s13
.LBB75_3:
	s_andn2_b64 vcc, exec, s[6:7]
	s_cbranch_vccnz .LBB75_6
; %bb.4:
	s_mul_hi_u32 s3, s9, s14
	s_add_i32 s3, s14, s3
	s_lshr_b32 s3, s3, s10
	s_mul_i32 s3, s3, s11
	s_sub_i32 s34, s14, s3
	s_waitcnt lgkmcnt(0)
	s_mov_b32 s3, s5
	s_branch .LBB75_7
.LBB75_5:
                                        ; implicit-def: $sgpr5
	s_load_dword s15, s[0:1], 0x50
	s_load_dword s33, s[0:1], 0x78
	s_branch .LBB75_2
.LBB75_6:
	s_mov_b32 s3, s14
	s_mov_b32 s34, s14
.LBB75_7:
	s_load_dwordx4 s[28:31], s[0:1], 0x80
	v_bfe_u32 v16, v0, 10, 10
	v_and_b32_e32 v13, 0x3ff, v0
	s_cmp_lg_u64 s[22:23], 0
	v_or_b32_e32 v0, v16, v13
	s_cselect_b64 s[12:13], -1, 0
	v_cmp_eq_u32_e32 vcc, 0, v0
	s_mov_b32 s21, 0
	s_and_b64 s[40:41], vcc, s[12:13]
	v_mov_b32_e32 v14, 0
	s_mul_i32 s10, s3, s26
	v_lshlrev_b32_e32 v12, 2, v13
	v_mov_b32_e32 v15, 0
	s_and_saveexec_b64 s[6:7], s[40:41]
	s_cbranch_execz .LBB75_9
; %bb.8:
	s_waitcnt lgkmcnt(0)
	s_mul_i32 s20, s4, s30
	s_lshl_b64 s[40:41], s[20:21], 2
	s_add_u32 s3, s22, s40
	s_mov_b32 s11, s21
	s_addc_u32 s9, s23, s41
	s_lshl_b64 s[20:21], s[10:11], 2
	s_add_u32 s11, s3, s20
	s_addc_u32 s9, s9, s21
	s_ashr_i32 s3, s2, 31
	s_lshl_b64 s[20:21], s[2:3], 2
	s_add_u32 s20, s11, s20
	s_addc_u32 s21, s9, s21
	global_load_dword v15, v12, s[20:21]
.LBB75_9:
	s_or_b64 exec, exec, s[6:7]
	s_cmp_lg_u64 s[36:37], 0
	s_cselect_b64 s[20:21], -1, 0
	s_cmp_lg_u64 s[38:39], 0
	s_cselect_b64 s[6:7], -1, 0
	s_and_b64 s[22:23], s[6:7], s[20:21]
	s_and_b64 s[40:41], vcc, s[22:23]
	s_and_saveexec_b64 s[22:23], s[40:41]
	s_cbranch_execz .LBB75_11
; %bb.10:
	s_waitcnt lgkmcnt(0)
	s_mul_i32 s40, s4, s30
	s_mov_b32 s41, 0
	s_lshl_b64 s[42:43], s[40:41], 2
	s_add_u32 s3, s38, s42
	s_mov_b32 s11, s41
	s_addc_u32 s9, s39, s43
	s_lshl_b64 s[10:11], s[10:11], 2
	s_add_u32 s31, s3, s10
	s_addc_u32 s9, s9, s11
	s_ashr_i32 s3, s2, 31
	s_lshl_b64 s[10:11], s[2:3], 2
	s_add_u32 s10, s31, s10
	s_addc_u32 s11, s9, s11
	global_load_dword v14, v12, s[10:11]
.LBB75_11:
	s_or_b64 exec, exec, s[22:23]
	v_lshlrev_b32_e32 v0, 6, v16
	v_xor_b32_e32 v2, v0, v13
	v_and_b32_e32 v1, v0, v13
	v_lshrrev_b16_e32 v2, 1, v2
	s_lshr_b32 s3, s8, 5
	v_add_u16_e32 v19, v1, v2
	v_cndmask_b32_e64 v1, 0, 1, s[20:21]
	v_cmp_gt_u32_e32 vcc, s3, v19
	v_mov_b32_e32 v18, 0
	v_cmp_ne_u32_e64 s[8:9], 1, v1
	v_mov_b32_e32 v17, 0
	s_and_saveexec_b64 s[10:11], vcc
	s_cbranch_execz .LBB75_17
; %bb.12:
	s_mul_hi_u32 s22, s27, s4
	s_add_i32 s22, s4, s22
	s_waitcnt lgkmcnt(0)
	s_lshr_b32 s22, s22, s33
	s_mul_i32 s5, s5, s24
	s_mul_i32 s22, s22, s28
	;; [unrolled: 1-line block ×4, first 2 shown]
	s_add_i32 s5, s22, s5
	s_add_i32 s5, s5, s15
	s_mul_hi_u32 s22, s20, 36
	s_mul_i32 s20, s20, 36
	s_mul_i32 s21, s34, s25
	s_add_u32 s18, s18, s20
	s_mul_hi_u32 s15, s21, 36
	s_mul_i32 s21, s21, 36
	s_addc_u32 s19, s19, s22
	v_add_u32_e32 v4, v0, v13
	s_add_u32 s18, s18, s21
	v_lshrrev_b32_e32 v4, 1, v4
	s_addc_u32 s19, s19, s15
	v_lshlrev_b32_e32 v0, 3, v13
	v_mov_b32_e32 v1, 0
	v_and_b32_e32 v2, 1, v13
	v_mad_u64_u32 v[4:5], s[18:19], v4, 36, s[18:19]
	v_and_b32_e32 v0, 8, v0
	v_lshlrev_b32_e32 v2, 3, v2
	v_mov_b32_e32 v3, v1
	s_mov_b64 s[18:19], 0
	s_mov_b32 s15, 0xc080604
	s_mov_b32 s22, 0xf4f8fafc
	v_mov_b32_e32 v20, 0x3020100
	v_mov_b32_e32 v21, 0xfdfeff00
	;; [unrolled: 1-line block ×3, first 2 shown]
	s_mov_b64 s[20:21], 0x900
	v_mov_b32_e32 v23, 23
	v_mov_b32_e32 v18, v1
	;; [unrolled: 1-line block ×3, first 2 shown]
	s_branch .LBB75_14
.LBB75_13:                              ;   in Loop: Header=BB75_14 Depth=1
	s_waitcnt vmcnt(3)
	v_ashrrev_i32_e32 v26, 4, v10
	v_and_b32_e32 v27, 0x7070707, v10
	v_lshrrev_b32_e32 v10, 1, v10
	v_and_b32_e32 v29, 0x7070707, v26
	v_and_b32_e32 v10, 0x4040404, v10
	v_lshrrev_b32_e32 v26, 1, v26
	v_perm_b32 v28, s15, v20, v27
	v_perm_b32 v27, s22, v21, v27
	v_or_b32_e32 v10, 0x3020100, v10
	v_and_b32_e32 v26, 0x4040404, v26
	v_perm_b32 v30, s15, v20, v29
	v_perm_b32 v29, s22, v21, v29
	;; [unrolled: 1-line block ×3, first 2 shown]
	v_or_b32_e32 v26, 0x3020100, v26
	v_mov_b32_e32 v27, 0
	v_perm_b32 v26, v29, v30, v26
	s_waitcnt vmcnt(2)
	v_dot4c_i32_i8_e32 v27, v10, v8
	s_waitcnt vmcnt(1)
	v_dot4c_i32_i8_e32 v27, v26, v6
	v_ashrrev_i32_e32 v6, 4, v11
	v_and_b32_e32 v8, 0x7070707, v11
	v_lshrrev_b32_e32 v11, 1, v11
	v_and_b32_e32 v26, 0x7070707, v6
	v_and_b32_e32 v11, 0x4040404, v11
	v_lshrrev_b32_e32 v6, 1, v6
	v_perm_b32 v10, s15, v20, v8
	v_perm_b32 v8, s22, v21, v8
	v_or_b32_e32 v11, 0x3020100, v11
	v_and_b32_e32 v6, 0x4040404, v6
	v_perm_b32 v28, s15, v20, v26
	v_perm_b32 v26, s22, v21, v26
	;; [unrolled: 1-line block ×3, first 2 shown]
	v_or_b32_e32 v6, 0x3020100, v6
	v_perm_b32 v6, v26, v28, v6
	v_dot4c_i32_i8_e32 v27, v8, v9
	v_dot4c_i32_i8_e32 v27, v6, v7
	s_waitcnt vmcnt(0)
	v_lshlrev_b32_sdwa v6, v23, v24 dst_sel:DWORD dst_unused:UNUSED_PAD src0_sel:DWORD src1_sel:BYTE_0
	v_mul_f32_e32 v6, 0.5, v6
	v_cmp_ne_u16_sdwa vcc, v24, v1 src0_sel:BYTE_0 src1_sel:DWORD
	v_cvt_f32_i32_e32 v7, v27
	v_add_u32_e32 v19, 64, v19
	v_cndmask_b32_e32 v6, v22, v6, vcc
	v_mul_f32_e32 v6, v6, v25
	v_cmp_le_u32_e32 vcc, s3, v19
	v_fmac_f32_e32 v18, v6, v7
	s_or_b64 s[18:19], vcc, s[18:19]
	v_lshl_add_u64 v[4:5], v[4:5], 0, s[20:21]
	s_andn2_b64 exec, exec, s[18:19]
	s_cbranch_execz .LBB75_16
.LBB75_14:                              ; =>This Inner Loop Header: Depth=1
	v_add_u32_e32 v26, s5, v19
	v_mad_i64_i32 v[28:29], s[24:25], v26, 17, s[16:17]
	v_lshl_add_u64 v[30:31], v[4:5], 0, v[2:3]
	v_lshl_add_u64 v[32:33], v[28:29], 0, v[0:1]
	global_load_dword v25, v[4:5], off
	global_load_dwordx2 v[10:11], v[32:33], off offset:1
	global_load_dwordx2 v[8:9], v[30:31], off offset:4
	;; [unrolled: 1-line block ×3, first 2 shown]
	global_load_ubyte v24, v[28:29], off
	s_and_b64 vcc, exec, s[8:9]
	s_waitcnt vmcnt(4)
	v_cvt_f32_f16_e32 v25, v25
	s_cbranch_vccnz .LBB75_13
; %bb.15:                               ;   in Loop: Header=BB75_14 Depth=1
	v_mad_i64_i32 v[26:27], s[24:25], v26, 17, s[36:37]
	v_lshl_add_u64 v[28:29], v[26:27], 0, v[0:1]
	global_load_dword v30, v[28:29], off offset:1
	global_load_dword v31, v[28:29], off offset:5
	global_load_ubyte v32, v[26:27], off
	v_mov_b32_e32 v26, 0
	s_waitcnt vmcnt(2)
	v_ashrrev_i32_e32 v27, 4, v30
	v_lshrrev_b32_e32 v29, 1, v30
	v_and_b32_e32 v28, 0x7070707, v30
	v_and_b32_e32 v36, 0x7070707, v27
	;; [unrolled: 1-line block ×3, first 2 shown]
	v_lshrrev_b32_e32 v27, 1, v27
	s_waitcnt vmcnt(1)
	v_ashrrev_i32_e32 v30, 4, v31
	v_and_b32_e32 v33, 0x7070707, v31
	v_lshrrev_b32_e32 v31, 1, v31
	v_perm_b32 v35, s15, v20, v28
	v_perm_b32 v28, s22, v21, v28
	v_or_b32_e32 v29, 0x3020100, v29
	v_and_b32_e32 v27, 0x4040404, v27
	v_and_b32_e32 v38, 0x7070707, v30
	;; [unrolled: 1-line block ×3, first 2 shown]
	v_lshrrev_b32_e32 v30, 1, v30
	v_perm_b32 v39, s15, v20, v36
	v_perm_b32 v36, s22, v21, v36
	;; [unrolled: 1-line block ×3, first 2 shown]
	v_or_b32_e32 v27, 0x3020100, v27
	v_perm_b32 v37, s15, v20, v33
	v_perm_b32 v33, s22, v21, v33
	v_or_b32_e32 v31, 0x3020100, v31
	v_and_b32_e32 v30, 0x4040404, v30
	v_perm_b32 v27, v36, v39, v27
	v_dot4c_i32_i8_e32 v26, v28, v8
	v_perm_b32 v40, s15, v20, v38
	v_perm_b32 v38, s22, v21, v38
	;; [unrolled: 1-line block ×3, first 2 shown]
	v_or_b32_e32 v30, 0x3020100, v30
	v_dot4c_i32_i8_e32 v26, v27, v6
	v_perm_b32 v28, v38, v40, v30
	v_dot4c_i32_i8_e32 v26, v29, v9
	v_dot4c_i32_i8_e32 v26, v28, v7
	s_waitcnt vmcnt(0)
	v_lshlrev_b32_e32 v34, 23, v32
	v_mul_f32_e32 v27, 0.5, v34
	v_cmp_ne_u32_e32 vcc, 0, v32
	v_cvt_f32_i32_e32 v26, v26
	s_nop 0
	v_cndmask_b32_e32 v27, v22, v27, vcc
	v_mul_f32_e32 v27, v27, v25
	v_fmac_f32_e32 v17, v27, v26
	s_branch .LBB75_13
.LBB75_16:
	s_or_b64 exec, exec, s[18:19]
.LBB75_17:
	s_or_b64 exec, exec, s[10:11]
	s_load_dword s3, s[0:1], 0x30
	v_cmp_eq_u32_e64 s[10:11], 0, v16
	v_cmp_ne_u32_e32 vcc, 0, v16
	s_and_saveexec_b64 s[16:17], vcc
	s_cbranch_execz .LBB75_20
; %bb.18:
	v_add_u32_e32 v0, -1, v16
	v_lshl_add_u32 v0, v0, 8, v12
	s_and_b64 vcc, exec, s[8:9]
	ds_write_b32 v0, v18
	s_cbranch_vccnz .LBB75_20
; %bb.19:
	ds_write_b32 v0, v17 offset:256
.LBB75_20:
	s_or_b64 exec, exec, s[16:17]
	s_waitcnt lgkmcnt(0)
	s_barrier
	s_and_saveexec_b64 s[16:17], s[10:11]
	s_cbranch_execz .LBB75_49
; %bb.21:
	ds_read_b32 v0, v12
	s_and_b64 vcc, exec, s[8:9]
	s_cbranch_vccnz .LBB75_23
; %bb.22:
	ds_read_b32 v1, v12 offset:256
	s_waitcnt lgkmcnt(0)
	v_add_f32_e32 v17, v17, v1
.LBB75_23:
	s_waitcnt lgkmcnt(0)
	v_add_f32_e32 v1, v18, v0
	v_mbcnt_lo_u32_b32 v0, -1, 0
	v_mbcnt_hi_u32_b32 v4, -1, v0
	v_and_b32_e32 v0, 64, v4
	v_add_u32_e32 v7, 64, v0
	v_xor_b32_e32 v0, 32, v4
	v_cmp_lt_i32_e32 vcc, v0, v7
	v_xor_b32_e32 v3, 16, v4
	v_xor_b32_e32 v5, 8, v4
	v_cndmask_b32_e32 v0, v4, v0, vcc
	v_lshlrev_b32_e32 v0, 2, v0
	ds_bpermute_b32 v2, v0, v1
	v_cmp_lt_i32_e32 vcc, v3, v7
	v_xor_b32_e32 v6, 4, v4
	v_xor_b32_e32 v8, 2, v4
	v_xor_b32_e32 v9, 1, v4
	s_waitcnt lgkmcnt(0)
	v_add_f32_e32 v2, v1, v2
	v_cndmask_b32_e32 v1, v4, v3, vcc
	v_lshlrev_b32_e32 v1, 2, v1
	ds_bpermute_b32 v3, v1, v2
	v_cmp_lt_i32_e32 vcc, v5, v7
	s_waitcnt lgkmcnt(0)
	v_add_f32_e32 v2, v2, v3
	v_cndmask_b32_e32 v3, v4, v5, vcc
	v_lshlrev_b32_e32 v3, 2, v3
	ds_bpermute_b32 v5, v3, v2
	v_cmp_lt_i32_e32 vcc, v6, v7
	;; [unrolled: 6-line block ×4, first 2 shown]
	s_waitcnt lgkmcnt(0)
	v_add_f32_e32 v2, v2, v8
	v_cndmask_b32_e32 v4, v4, v9, vcc
	v_lshlrev_b32_e32 v7, 2, v4
	ds_bpermute_b32 v4, v7, v2
	s_and_b64 vcc, exec, s[8:9]
	s_cbranch_vccnz .LBB75_25
; %bb.24:
	ds_bpermute_b32 v0, v0, v17
	s_waitcnt lgkmcnt(0)
	v_add_f32_e32 v0, v17, v0
	ds_bpermute_b32 v1, v1, v0
	s_waitcnt lgkmcnt(0)
	v_add_f32_e32 v0, v0, v1
	;; [unrolled: 3-line block ×6, first 2 shown]
.LBB75_25:
	v_cmp_eq_u32_e32 vcc, 0, v13
	s_and_b64 exec, exec, vcc
	s_cbranch_execz .LBB75_49
; %bb.26:
	s_waitcnt lgkmcnt(0)
	v_add_f32_e32 v0, v2, v4
	s_waitcnt vmcnt(0)
	v_add_f32_e32 v1, v15, v0
	s_and_b64 vcc, exec, s[8:9]
	v_cndmask_b32_e64 v0, v0, v1, s[12:13]
	s_cbranch_vccnz .LBB75_48
; %bb.27:
	v_add_f32_e32 v1, v14, v17
	v_cndmask_b32_e64 v1, v17, v1, s[6:7]
	s_cmp_lt_i32 s3, 2
	s_mov_b64 s[6:7], 0
	s_cbranch_scc1 .LBB75_31
; %bb.28:
	s_cmp_gt_i32 s3, 2
	s_cbranch_scc0 .LBB75_32
; %bb.29:
	s_cmp_eq_u32 s3, 3
	s_cbranch_scc0 .LBB75_33
; %bb.30:
	v_max_f32_e32 v2, v1, v1
	v_min_f32_e32 v4, 0x40e00000, v2
	v_mul_f32_e32 v3, 0xbfd9db23, v4
	s_mov_b32 s5, 0x3fb8aa3b
	v_mul_f32_e32 v2, 0x3fb8aa3b, v3
	v_fma_f32 v5, v3, s5, -v2
	v_rndne_f32_e32 v6, v2
	v_fmamk_f32 v5, v3, 0x32a5705f, v5
	v_sub_f32_e32 v2, v2, v6
	v_add_f32_e32 v2, v2, v5
	v_exp_f32_e32 v5, v2
	v_cvt_i32_f32_e32 v6, v6
	s_mov_b32 s5, 0xc2ce8ed0
	v_max_f32_e32 v2, v0, v0
	v_cmp_ngt_f32_e32 vcc, s5, v3
	v_ldexp_f32 v5, v5, v6
	s_mov_b32 s5, 0x42b17218
	v_min_f32_e32 v2, 0x40e00000, v2
	v_cndmask_b32_e32 v5, 0, v5, vcc
	v_mov_b32_e32 v6, 0x7f800000
	v_cmp_nlt_f32_e32 vcc, s5, v3
	v_max_f32_e32 v2, 0xc0e00000, v2
	s_nop 0
	v_cndmask_b32_e32 v3, v6, v5, vcc
	v_pk_add_f32 v[2:3], v[2:3], 1.0 op_sel_hi:[1,0]
	s_nop 0
	v_div_scale_f32 v5, s[8:9], v3, v3, v4
	v_rcp_f32_e32 v6, v5
	s_mov_b64 s[8:9], 0
	v_fma_f32 v7, -v5, v6, 1.0
	v_fmac_f32_e32 v6, v7, v6
	v_div_scale_f32 v7, vcc, v4, v3, v4
	v_mul_f32_e32 v8, v7, v6
	v_fma_f32 v9, -v5, v8, v7
	v_fmac_f32_e32 v8, v9, v6
	v_fma_f32 v5, -v5, v8, v7
	v_div_fmas_f32 v5, v5, v6, v8
	v_div_fixup_f32 v3, v5, v3, v4
	v_mul_f32_e32 v2, v2, v3
	s_branch .LBB75_34
.LBB75_31:
                                        ; implicit-def: $vgpr2
	s_mov_b64 s[8:9], 0
	s_cbranch_execnz .LBB75_38
	s_branch .LBB75_39
.LBB75_32:
	s_mov_b64 s[10:11], -1
	s_mov_b64 s[8:9], 0
                                        ; implicit-def: $vgpr2
	s_branch .LBB75_35
.LBB75_33:
	s_mov_b64 s[8:9], -1
                                        ; implicit-def: $vgpr2
.LBB75_34:
	s_mov_b64 s[10:11], 0
.LBB75_35:
	s_and_b64 vcc, exec, s[10:11]
	s_cbranch_vccz .LBB75_37
; %bb.36:
	v_mul_f32_e32 v2, 0xbfb8aa3b, v1
	s_mov_b32 s5, 0xbfb8aa3b
	v_rndne_f32_e32 v3, v2
	v_sub_f32_e32 v4, v2, v3
	v_fma_f32 v2, v1, s5, -v2
	v_fmamk_f32 v2, v1, 0xb2a5705f, v2
	v_add_f32_e32 v2, v4, v2
	v_exp_f32_e32 v2, v2
	v_cvt_i32_f32_e32 v3, v3
	s_mov_b32 s5, 0x42ce8ed0
	v_cmp_nlt_f32_e32 vcc, s5, v1
	s_mov_b32 s5, 0xc2b17218
	v_ldexp_f32 v2, v2, v3
	v_cndmask_b32_e32 v2, 0, v2, vcc
	v_mov_b32_e32 v3, 0x7f800000
	v_cmp_ngt_f32_e32 vcc, s5, v1
	s_nop 1
	v_cndmask_b32_e32 v2, v3, v2, vcc
	v_add_f32_e32 v2, 1.0, v2
	v_div_scale_f32 v3, s[10:11], v2, v2, v1
	v_rcp_f32_e32 v4, v3
	s_nop 0
	v_fma_f32 v5, -v3, v4, 1.0
	v_fmac_f32_e32 v4, v5, v4
	v_div_scale_f32 v5, vcc, v1, v2, v1
	v_mul_f32_e32 v6, v5, v4
	v_fma_f32 v7, -v3, v6, v5
	v_fmac_f32_e32 v6, v7, v4
	v_fma_f32 v3, -v3, v6, v5
	v_div_fmas_f32 v3, v3, v4, v6
	v_div_fixup_f32 v2, v3, v2, v1
	v_mul_f32_e32 v2, v0, v2
.LBB75_37:
	s_branch .LBB75_39
.LBB75_38:
	s_cmp_lg_u32 s3, 1
	s_mov_b64 s[6:7], -1
	s_cselect_b64 s[8:9], -1, 0
                                        ; implicit-def: $vgpr2
.LBB75_39:
	s_andn2_b64 vcc, exec, s[8:9]
	s_cbranch_vccz .LBB75_41
; %bb.40:
	s_andn2_b64 vcc, exec, s[6:7]
	s_cbranch_vccz .LBB75_42
	s_branch .LBB75_47
.LBB75_41:
	v_mul_f32_e32 v2, v0, v1
	s_cbranch_execnz .LBB75_47
.LBB75_42:
	v_mul_f32_e32 v3, 0x3d372713, v1
	v_mul_f32_e32 v2, 0x3f4c422a, v1
	v_fma_f32 v3, v1, v3, 1.0
	v_mul_f32_e32 v2, v2, v3
	s_mov_b32 s3, 0x3f200000
	v_cmp_nlt_f32_e64 s[6:7], |v2|, s3
                                        ; implicit-def: $vgpr3
	s_and_saveexec_b64 s[8:9], s[6:7]
	s_xor_b64 s[6:7], exec, s[8:9]
	s_cbranch_execz .LBB75_44
; %bb.43:
	v_add_f32_e64 v3, |v2|, |v2|
	v_mul_f32_e32 v4, 0x3fb8aa3b, v3
	s_mov_b32 s3, 0x3fb8aa3b
	v_rndne_f32_e32 v5, v4
	v_sub_f32_e32 v6, v4, v5
	v_fma_f32 v4, v3, s3, -v4
	v_fmamk_f32 v4, v3, 0x32a5705f, v4
	v_add_f32_e32 v4, v6, v4
	v_exp_f32_e32 v4, v4
	v_cvt_i32_f32_e32 v5, v5
	s_mov_b32 s3, 0xc2ce8ed0
	v_cmp_ngt_f32_e32 vcc, s3, v3
	s_mov_b32 s3, 0x42b17218
	v_ldexp_f32 v4, v4, v5
	v_cndmask_b32_e32 v4, 0, v4, vcc
	v_mov_b32_e32 v5, 0x7f800000
	v_cmp_nlt_f32_e32 vcc, s3, v3
	s_nop 1
	v_cndmask_b32_e32 v3, v5, v4, vcc
	v_add_f32_e32 v3, 1.0, v3
	v_rcp_f32_e32 v3, v3
	s_nop 0
	v_fma_f32 v3, v3, -2.0, 1.0
.LBB75_44:
	s_andn2_saveexec_b64 s[6:7], s[6:7]
; %bb.45:
	v_mul_f32_e32 v3, v2, v2
	v_mov_b32_e32 v4, 0x3ca908c9
	v_fmac_f32_e32 v4, 0xbbbac73d, v3
	v_fmaak_f32 v4, v3, v4, 0xbd5c1c4e
	v_fmaak_f32 v4, v3, v4, 0x3e088382
	;; [unrolled: 1-line block ×3, first 2 shown]
	v_mul_f32_e64 v4, |v2|, v4
	v_fma_f32 v3, v3, v4, |v2|
; %bb.46:
	s_or_b64 exec, exec, s[6:7]
	s_brev_b32 s3, -2
	v_bfi_b32 v2, s3, v3, v2
	v_mul_f32_e32 v1, 0.5, v1
	v_add_f32_e32 v2, 1.0, v2
	v_mul_f32_e32 v1, v1, v2
	v_mul_f32_e32 v2, v0, v1
.LBB75_47:
	v_mov_b32_e32 v0, v2
.LBB75_48:
	s_load_dwordx2 s[0:1], s[0:1], 0x38
	s_mul_i32 s3, s14, s26
	s_mul_i32 s4, s4, s30
	s_add_i32 s2, s3, s2
	s_add_i32 s2, s2, s4
	s_mov_b32 s3, 0
	s_lshl_b64 s[2:3], s[2:3], 2
	s_waitcnt lgkmcnt(0)
	s_add_u32 s0, s0, s2
	s_addc_u32 s1, s1, s3
	global_store_dword v12, v0, s[0:1]
.LBB75_49:
	s_endpgm
	.section	.rodata,"a",@progbits
	.p2align	6, 0x0
	.amdhsa_kernel _ZL13mul_mat_vec_qIL9ggml_type39ELi1ELb1ELb0EEvPKvS2_PKi31ggml_cuda_mm_fusion_args_devicePfj15HIP_vector_typeIjLj3EEjjjS8_jjjS8_jjjj
		.amdhsa_group_segment_fixed_size 512
		.amdhsa_private_segment_fixed_size 0
		.amdhsa_kernarg_size 144
		.amdhsa_user_sgpr_count 2
		.amdhsa_user_sgpr_dispatch_ptr 0
		.amdhsa_user_sgpr_queue_ptr 0
		.amdhsa_user_sgpr_kernarg_segment_ptr 1
		.amdhsa_user_sgpr_dispatch_id 0
		.amdhsa_user_sgpr_kernarg_preload_length 0
		.amdhsa_user_sgpr_kernarg_preload_offset 0
		.amdhsa_user_sgpr_private_segment_size 0
		.amdhsa_uses_dynamic_stack 0
		.amdhsa_enable_private_segment 0
		.amdhsa_system_sgpr_workgroup_id_x 1
		.amdhsa_system_sgpr_workgroup_id_y 1
		.amdhsa_system_sgpr_workgroup_id_z 1
		.amdhsa_system_sgpr_workgroup_info 0
		.amdhsa_system_vgpr_workitem_id 1
		.amdhsa_next_free_vgpr 41
		.amdhsa_next_free_sgpr 44
		.amdhsa_accum_offset 44
		.amdhsa_reserve_vcc 1
		.amdhsa_float_round_mode_32 0
		.amdhsa_float_round_mode_16_64 0
		.amdhsa_float_denorm_mode_32 3
		.amdhsa_float_denorm_mode_16_64 3
		.amdhsa_dx10_clamp 1
		.amdhsa_ieee_mode 1
		.amdhsa_fp16_overflow 0
		.amdhsa_tg_split 0
		.amdhsa_exception_fp_ieee_invalid_op 0
		.amdhsa_exception_fp_denorm_src 0
		.amdhsa_exception_fp_ieee_div_zero 0
		.amdhsa_exception_fp_ieee_overflow 0
		.amdhsa_exception_fp_ieee_underflow 0
		.amdhsa_exception_fp_ieee_inexact 0
		.amdhsa_exception_int_div_zero 0
	.end_amdhsa_kernel
	.section	.text._ZL13mul_mat_vec_qIL9ggml_type39ELi1ELb1ELb0EEvPKvS2_PKi31ggml_cuda_mm_fusion_args_devicePfj15HIP_vector_typeIjLj3EEjjjS8_jjjS8_jjjj,"axG",@progbits,_ZL13mul_mat_vec_qIL9ggml_type39ELi1ELb1ELb0EEvPKvS2_PKi31ggml_cuda_mm_fusion_args_devicePfj15HIP_vector_typeIjLj3EEjjjS8_jjjS8_jjjj,comdat
.Lfunc_end75:
	.size	_ZL13mul_mat_vec_qIL9ggml_type39ELi1ELb1ELb0EEvPKvS2_PKi31ggml_cuda_mm_fusion_args_devicePfj15HIP_vector_typeIjLj3EEjjjS8_jjjS8_jjjj, .Lfunc_end75-_ZL13mul_mat_vec_qIL9ggml_type39ELi1ELb1ELb0EEvPKvS2_PKi31ggml_cuda_mm_fusion_args_devicePfj15HIP_vector_typeIjLj3EEjjjS8_jjjS8_jjjj
                                        ; -- End function
	.section	.AMDGPU.csdata,"",@progbits
; Kernel info:
; codeLenInByte = 2788
; NumSgprs: 50
; NumVgprs: 41
; NumAgprs: 0
; TotalNumVgprs: 41
; ScratchSize: 0
; MemoryBound: 0
; FloatMode: 240
; IeeeMode: 1
; LDSByteSize: 512 bytes/workgroup (compile time only)
; SGPRBlocks: 6
; VGPRBlocks: 5
; NumSGPRsForWavesPerEU: 50
; NumVGPRsForWavesPerEU: 41
; AccumOffset: 44
; Occupancy: 8
; WaveLimiterHint : 0
; COMPUTE_PGM_RSRC2:SCRATCH_EN: 0
; COMPUTE_PGM_RSRC2:USER_SGPR: 2
; COMPUTE_PGM_RSRC2:TRAP_HANDLER: 0
; COMPUTE_PGM_RSRC2:TGID_X_EN: 1
; COMPUTE_PGM_RSRC2:TGID_Y_EN: 1
; COMPUTE_PGM_RSRC2:TGID_Z_EN: 1
; COMPUTE_PGM_RSRC2:TIDIG_COMP_CNT: 1
; COMPUTE_PGM_RSRC3_GFX90A:ACCUM_OFFSET: 10
; COMPUTE_PGM_RSRC3_GFX90A:TG_SPLIT: 0
	.section	.text._ZL13mul_mat_vec_qIL9ggml_type39ELi1ELb0ELb0EEvPKvS2_PKi31ggml_cuda_mm_fusion_args_devicePfj15HIP_vector_typeIjLj3EEjjjS8_jjjS8_jjjj,"axG",@progbits,_ZL13mul_mat_vec_qIL9ggml_type39ELi1ELb0ELb0EEvPKvS2_PKi31ggml_cuda_mm_fusion_args_devicePfj15HIP_vector_typeIjLj3EEjjjS8_jjjS8_jjjj,comdat
	.globl	_ZL13mul_mat_vec_qIL9ggml_type39ELi1ELb0ELb0EEvPKvS2_PKi31ggml_cuda_mm_fusion_args_devicePfj15HIP_vector_typeIjLj3EEjjjS8_jjjS8_jjjj ; -- Begin function _ZL13mul_mat_vec_qIL9ggml_type39ELi1ELb0ELb0EEvPKvS2_PKi31ggml_cuda_mm_fusion_args_devicePfj15HIP_vector_typeIjLj3EEjjjS8_jjjS8_jjjj
	.p2align	8
	.type	_ZL13mul_mat_vec_qIL9ggml_type39ELi1ELb0ELb0EEvPKvS2_PKi31ggml_cuda_mm_fusion_args_devicePfj15HIP_vector_typeIjLj3EEjjjS8_jjjS8_jjjj,@function
_ZL13mul_mat_vec_qIL9ggml_type39ELi1ELb0ELb0EEvPKvS2_PKi31ggml_cuda_mm_fusion_args_devicePfj15HIP_vector_typeIjLj3EEjjjS8_jjjS8_jjjj: ; @_ZL13mul_mat_vec_qIL9ggml_type39ELi1ELb0ELb0EEvPKvS2_PKi31ggml_cuda_mm_fusion_args_devicePfj15HIP_vector_typeIjLj3EEjjjS8_jjjS8_jjjj
; %bb.0:
	s_load_dwordx2 s[8:9], s[0:1], 0x10
	s_load_dwordx4 s[16:19], s[0:1], 0x40
	s_mov_b32 s20, s3
	s_mov_b64 s[12:13], 0
	s_waitcnt lgkmcnt(0)
	s_cmp_lg_u64 s[8:9], 0
	s_cselect_b64 s[6:7], -1, 0
	s_cmp_eq_u64 s[8:9], 0
	s_cbranch_scc1 .LBB76_5
; %bb.1:
	s_mov_b32 s21, 0
	s_lshl_b64 s[10:11], s[20:21], 2
	s_add_u32 s8, s8, s10
	s_addc_u32 s9, s9, s11
	s_load_dword s5, s[8:9], 0x0
	s_nop 0
	s_load_dwordx4 s[8:11], s[0:1], 0x68
	s_load_dword s21, s[0:1], 0x50
	s_andn2_b64 vcc, exec, s[12:13]
	s_cbranch_vccnz .LBB76_3
.LBB76_2:
	s_load_dwordx2 s[12:13], s[0:1], 0x5c
	s_waitcnt lgkmcnt(0)
	s_mul_hi_u32 s3, s12, s20
	s_add_i32 s3, s20, s3
	s_lshr_b32 s5, s3, s13
.LBB76_3:
	s_load_dword s22, s[0:1], 0x78
	s_andn2_b64 vcc, exec, s[6:7]
	s_cbranch_vccnz .LBB76_6
; %bb.4:
	s_mul_hi_u32 s3, s17, s20
	s_add_i32 s3, s20, s3
	s_lshr_b32 s3, s3, s18
	s_mul_i32 s3, s3, s19
	s_sub_i32 s23, s20, s3
	s_branch .LBB76_7
.LBB76_5:
                                        ; implicit-def: $sgpr5
	s_load_dwordx4 s[8:11], s[0:1], 0x68
	s_load_dword s21, s[0:1], 0x50
	s_branch .LBB76_2
.LBB76_6:
	s_mov_b32 s23, s20
.LBB76_7:
	s_load_dwordx4 s[12:15], s[0:1], 0x80
	v_bfe_u32 v7, v0, 10, 10
	v_lshlrev_b32_e32 v1, 6, v7
	v_and_b32_e32 v6, 0x3ff, v0
	v_add_u16_e32 v0, v1, v6
	s_lshr_b32 s3, s16, 5
	v_lshrrev_b16_e32 v8, 1, v0
	v_cmp_gt_u32_e32 vcc, s3, v8
	v_mov_b32_e32 v9, 0
	s_and_saveexec_b64 s[6:7], vcc
	s_cbranch_execz .LBB76_11
; %bb.8:
	s_waitcnt lgkmcnt(0)
	s_mul_i32 s5, s5, s8
	s_mul_hi_u32 s8, s11, s4
	s_load_dwordx4 s[16:19], s[0:1], 0x0
	s_add_i32 s8, s4, s8
	s_lshr_b32 s8, s8, s22
	s_mul_i32 s8, s8, s12
	s_mul_i32 s13, s4, s13
	;; [unrolled: 1-line block ×3, first 2 shown]
	s_add_i32 s5, s8, s5
	s_add_i32 s5, s5, s15
	s_mul_hi_u32 s8, s13, 36
	s_mul_i32 s13, s13, 36
	s_mul_i32 s9, s23, s9
	s_waitcnt lgkmcnt(0)
	s_add_u32 s12, s18, s13
	s_mul_hi_u32 s11, s9, 36
	s_mul_i32 s9, s9, 36
	s_addc_u32 s13, s19, s8
	v_add_u32_e32 v4, v1, v6
	s_add_u32 s8, s12, s9
	v_lshrrev_b32_e32 v4, 1, v4
	s_addc_u32 s9, s13, s11
	v_lshlrev_b32_e32 v0, 3, v6
	v_mov_b32_e32 v1, 0
	v_and_b32_e32 v2, 1, v6
	v_mad_u64_u32 v[4:5], s[8:9], v4, 36, s[8:9]
	v_and_b32_e32 v0, 8, v0
	v_lshlrev_b32_e32 v2, 3, v2
	v_mov_b32_e32 v3, v1
	s_mov_b64 s[8:9], 0
	s_mov_b32 s11, 0xc080604
	v_mov_b32_e32 v10, 0x3020100
	s_mov_b32 s15, 0xf4f8fafc
	v_mov_b32_e32 v11, 0xfdfeff00
	v_mov_b32_e32 v12, 0x200000
	s_mov_b64 s[12:13], 0x900
	v_mov_b32_e32 v9, v1
.LBB76_9:                               ; =>This Inner Loop Header: Depth=1
	v_add_u32_e32 v13, s5, v8
	v_lshl_add_u64 v[14:15], v[4:5], 0, v[2:3]
	global_load_dword v22, v[4:5], off
	v_mad_i64_i32 v[16:17], s[18:19], v13, 17, s[16:17]
	global_load_dwordx2 v[18:19], v[14:15], off offset:4
	global_load_dwordx2 v[20:21], v[14:15], off offset:20
	v_lshl_add_u64 v[14:15], v[16:17], 0, v[0:1]
	global_load_dword v13, v[14:15], off offset:1
	global_load_dword v23, v[14:15], off offset:5
	global_load_ubyte v24, v[16:17], off
	v_mov_b32_e32 v14, 0
	v_add_u32_e32 v8, 64, v8
	v_cmp_le_u32_e32 vcc, s3, v8
	s_or_b64 s[8:9], vcc, s[8:9]
	v_lshl_add_u64 v[4:5], v[4:5], 0, s[12:13]
	s_waitcnt vmcnt(5)
	v_cvt_f32_f16_e32 v15, v22
	s_waitcnt vmcnt(2)
	v_ashrrev_i32_e32 v17, 4, v13
	v_and_b32_e32 v22, 0x7070707, v13
	v_lshrrev_b32_e32 v13, 1, v13
	v_and_b32_e32 v28, 0x7070707, v17
	v_and_b32_e32 v13, 0x4040404, v13
	v_lshrrev_b32_e32 v17, 1, v17
	s_waitcnt vmcnt(1)
	v_ashrrev_i32_e32 v25, 4, v23
	v_and_b32_e32 v26, 0x7070707, v23
	v_lshrrev_b32_e32 v23, 1, v23
	v_perm_b32 v27, s11, v10, v22
	v_perm_b32 v22, s15, v11, v22
	v_or_b32_e32 v13, 0x3020100, v13
	v_and_b32_e32 v17, 0x4040404, v17
	v_and_b32_e32 v30, 0x7070707, v25
	v_and_b32_e32 v23, 0x4040404, v23
	v_lshrrev_b32_e32 v25, 1, v25
	v_perm_b32 v31, s11, v10, v28
	v_perm_b32 v28, s15, v11, v28
	;; [unrolled: 1-line block ×3, first 2 shown]
	v_or_b32_e32 v17, 0x3020100, v17
	v_perm_b32 v29, s11, v10, v26
	v_perm_b32 v26, s15, v11, v26
	v_or_b32_e32 v23, 0x3020100, v23
	v_and_b32_e32 v25, 0x4040404, v25
	v_perm_b32 v17, v28, v31, v17
	v_dot4c_i32_i8_e32 v14, v13, v18
	v_perm_b32 v32, s11, v10, v30
	v_perm_b32 v30, s15, v11, v30
	v_perm_b32 v22, v26, v29, v23
	v_or_b32_e32 v23, 0x3020100, v25
	v_dot4c_i32_i8_e32 v14, v17, v20
	v_perm_b32 v13, v30, v32, v23
	v_dot4c_i32_i8_e32 v14, v22, v19
	v_dot4c_i32_i8_e32 v14, v13, v21
	s_waitcnt vmcnt(0)
	v_lshlrev_b32_e32 v16, 23, v24
	v_mul_f32_e32 v16, 0.5, v16
	v_cmp_ne_u32_e32 vcc, 0, v24
	v_cvt_f32_i32_e32 v13, v14
	s_nop 0
	v_cndmask_b32_e32 v14, v12, v16, vcc
	v_mul_f32_e32 v14, v14, v15
	v_fmac_f32_e32 v9, v14, v13
	s_andn2_b64 exec, exec, s[8:9]
	s_cbranch_execnz .LBB76_9
; %bb.10:
	s_or_b64 exec, exec, s[8:9]
.LBB76_11:
	s_or_b64 exec, exec, s[6:7]
	v_cmp_eq_u32_e32 vcc, 0, v7
	v_cmp_ne_u32_e64 s[6:7], 0, v7
	v_lshlrev_b32_e32 v0, 2, v6
	s_waitcnt lgkmcnt(0)
	s_and_saveexec_b64 s[8:9], s[6:7]
	s_cbranch_execz .LBB76_13
; %bb.12:
	v_lshlrev_b32_e32 v1, 8, v7
	s_movk_i32 s3, 0xff00
	v_add3_u32 v1, v1, v0, s3
	ds_write_b32 v1, v9
.LBB76_13:
	s_or_b64 exec, exec, s[8:9]
	s_waitcnt lgkmcnt(0)
	s_barrier
	s_and_saveexec_b64 s[6:7], vcc
	s_cbranch_execz .LBB76_16
; %bb.14:
	v_mbcnt_lo_u32_b32 v1, -1, 0
	ds_read_b32 v0, v0
	v_mbcnt_hi_u32_b32 v1, -1, v1
	v_and_b32_e32 v2, 64, v1
	v_add_u32_e32 v2, 64, v2
	v_xor_b32_e32 v3, 32, v1
	v_cmp_lt_i32_e32 vcc, v3, v2
	s_waitcnt lgkmcnt(0)
	v_add_f32_e32 v0, v9, v0
	s_mov_b32 s3, 0
	v_cndmask_b32_e32 v3, v1, v3, vcc
	v_lshlrev_b32_e32 v3, 2, v3
	ds_bpermute_b32 v3, v3, v0
	s_waitcnt lgkmcnt(0)
	v_add_f32_e32 v0, v0, v3
	v_xor_b32_e32 v3, 16, v1
	v_cmp_lt_i32_e32 vcc, v3, v2
	s_nop 1
	v_cndmask_b32_e32 v3, v1, v3, vcc
	v_lshlrev_b32_e32 v3, 2, v3
	ds_bpermute_b32 v3, v3, v0
	s_waitcnt lgkmcnt(0)
	v_add_f32_e32 v0, v0, v3
	v_xor_b32_e32 v3, 8, v1
	v_cmp_lt_i32_e32 vcc, v3, v2
	s_nop 1
	;; [unrolled: 8-line block ×5, first 2 shown]
	v_cndmask_b32_e32 v1, v1, v3, vcc
	v_lshlrev_b32_e32 v1, 2, v1
	ds_bpermute_b32 v1, v1, v0
	v_cmp_eq_u32_e32 vcc, 0, v6
	s_and_b64 exec, exec, vcc
	s_cbranch_execz .LBB76_16
; %bb.15:
	s_load_dwordx2 s[0:1], s[0:1], 0x38
	s_mul_i32 s5, s20, s10
	s_mul_i32 s4, s4, s14
	s_add_i32 s2, s5, s2
	s_add_i32 s2, s2, s4
	s_lshl_b64 s[2:3], s[2:3], 2
	s_waitcnt lgkmcnt(0)
	s_add_u32 s0, s0, s2
	s_addc_u32 s1, s1, s3
	v_mov_b32_e32 v2, 0
	v_add_f32_e32 v0, v0, v1
	global_store_dword v2, v0, s[0:1]
.LBB76_16:
	s_endpgm
	.section	.rodata,"a",@progbits
	.p2align	6, 0x0
	.amdhsa_kernel _ZL13mul_mat_vec_qIL9ggml_type39ELi1ELb0ELb0EEvPKvS2_PKi31ggml_cuda_mm_fusion_args_devicePfj15HIP_vector_typeIjLj3EEjjjS8_jjjS8_jjjj
		.amdhsa_group_segment_fixed_size 256
		.amdhsa_private_segment_fixed_size 0
		.amdhsa_kernarg_size 144
		.amdhsa_user_sgpr_count 2
		.amdhsa_user_sgpr_dispatch_ptr 0
		.amdhsa_user_sgpr_queue_ptr 0
		.amdhsa_user_sgpr_kernarg_segment_ptr 1
		.amdhsa_user_sgpr_dispatch_id 0
		.amdhsa_user_sgpr_kernarg_preload_length 0
		.amdhsa_user_sgpr_kernarg_preload_offset 0
		.amdhsa_user_sgpr_private_segment_size 0
		.amdhsa_uses_dynamic_stack 0
		.amdhsa_enable_private_segment 0
		.amdhsa_system_sgpr_workgroup_id_x 1
		.amdhsa_system_sgpr_workgroup_id_y 1
		.amdhsa_system_sgpr_workgroup_id_z 1
		.amdhsa_system_sgpr_workgroup_info 0
		.amdhsa_system_vgpr_workitem_id 1
		.amdhsa_next_free_vgpr 33
		.amdhsa_next_free_sgpr 24
		.amdhsa_accum_offset 36
		.amdhsa_reserve_vcc 1
		.amdhsa_float_round_mode_32 0
		.amdhsa_float_round_mode_16_64 0
		.amdhsa_float_denorm_mode_32 3
		.amdhsa_float_denorm_mode_16_64 3
		.amdhsa_dx10_clamp 1
		.amdhsa_ieee_mode 1
		.amdhsa_fp16_overflow 0
		.amdhsa_tg_split 0
		.amdhsa_exception_fp_ieee_invalid_op 0
		.amdhsa_exception_fp_denorm_src 0
		.amdhsa_exception_fp_ieee_div_zero 0
		.amdhsa_exception_fp_ieee_overflow 0
		.amdhsa_exception_fp_ieee_underflow 0
		.amdhsa_exception_fp_ieee_inexact 0
		.amdhsa_exception_int_div_zero 0
	.end_amdhsa_kernel
	.section	.text._ZL13mul_mat_vec_qIL9ggml_type39ELi1ELb0ELb0EEvPKvS2_PKi31ggml_cuda_mm_fusion_args_devicePfj15HIP_vector_typeIjLj3EEjjjS8_jjjS8_jjjj,"axG",@progbits,_ZL13mul_mat_vec_qIL9ggml_type39ELi1ELb0ELb0EEvPKvS2_PKi31ggml_cuda_mm_fusion_args_devicePfj15HIP_vector_typeIjLj3EEjjjS8_jjjS8_jjjj,comdat
.Lfunc_end76:
	.size	_ZL13mul_mat_vec_qIL9ggml_type39ELi1ELb0ELb0EEvPKvS2_PKi31ggml_cuda_mm_fusion_args_devicePfj15HIP_vector_typeIjLj3EEjjjS8_jjjS8_jjjj, .Lfunc_end76-_ZL13mul_mat_vec_qIL9ggml_type39ELi1ELb0ELb0EEvPKvS2_PKi31ggml_cuda_mm_fusion_args_devicePfj15HIP_vector_typeIjLj3EEjjjS8_jjjS8_jjjj
                                        ; -- End function
	.section	.AMDGPU.csdata,"",@progbits
; Kernel info:
; codeLenInByte = 1216
; NumSgprs: 30
; NumVgprs: 33
; NumAgprs: 0
; TotalNumVgprs: 33
; ScratchSize: 0
; MemoryBound: 0
; FloatMode: 240
; IeeeMode: 1
; LDSByteSize: 256 bytes/workgroup (compile time only)
; SGPRBlocks: 3
; VGPRBlocks: 4
; NumSGPRsForWavesPerEU: 30
; NumVGPRsForWavesPerEU: 33
; AccumOffset: 36
; Occupancy: 8
; WaveLimiterHint : 0
; COMPUTE_PGM_RSRC2:SCRATCH_EN: 0
; COMPUTE_PGM_RSRC2:USER_SGPR: 2
; COMPUTE_PGM_RSRC2:TRAP_HANDLER: 0
; COMPUTE_PGM_RSRC2:TGID_X_EN: 1
; COMPUTE_PGM_RSRC2:TGID_Y_EN: 1
; COMPUTE_PGM_RSRC2:TGID_Z_EN: 1
; COMPUTE_PGM_RSRC2:TIDIG_COMP_CNT: 1
; COMPUTE_PGM_RSRC3_GFX90A:ACCUM_OFFSET: 8
; COMPUTE_PGM_RSRC3_GFX90A:TG_SPLIT: 0
	.section	.text._ZL13mul_mat_vec_qIL9ggml_type39ELi2ELb0ELb0EEvPKvS2_PKi31ggml_cuda_mm_fusion_args_devicePfj15HIP_vector_typeIjLj3EEjjjS8_jjjS8_jjjj,"axG",@progbits,_ZL13mul_mat_vec_qIL9ggml_type39ELi2ELb0ELb0EEvPKvS2_PKi31ggml_cuda_mm_fusion_args_devicePfj15HIP_vector_typeIjLj3EEjjjS8_jjjS8_jjjj,comdat
	.globl	_ZL13mul_mat_vec_qIL9ggml_type39ELi2ELb0ELb0EEvPKvS2_PKi31ggml_cuda_mm_fusion_args_devicePfj15HIP_vector_typeIjLj3EEjjjS8_jjjS8_jjjj ; -- Begin function _ZL13mul_mat_vec_qIL9ggml_type39ELi2ELb0ELb0EEvPKvS2_PKi31ggml_cuda_mm_fusion_args_devicePfj15HIP_vector_typeIjLj3EEjjjS8_jjjS8_jjjj
	.p2align	8
	.type	_ZL13mul_mat_vec_qIL9ggml_type39ELi2ELb0ELb0EEvPKvS2_PKi31ggml_cuda_mm_fusion_args_devicePfj15HIP_vector_typeIjLj3EEjjjS8_jjjS8_jjjj,@function
_ZL13mul_mat_vec_qIL9ggml_type39ELi2ELb0ELb0EEvPKvS2_PKi31ggml_cuda_mm_fusion_args_devicePfj15HIP_vector_typeIjLj3EEjjjS8_jjjS8_jjjj: ; @_ZL13mul_mat_vec_qIL9ggml_type39ELi2ELb0ELb0EEvPKvS2_PKi31ggml_cuda_mm_fusion_args_devicePfj15HIP_vector_typeIjLj3EEjjjS8_jjjS8_jjjj
; %bb.0:
	s_load_dwordx2 s[20:21], s[0:1], 0x4
	s_load_dword s7, s[2:3], 0x40
	s_load_dwordx4 s[8:11], s[2:3], 0x50
	s_load_dword s27, s[2:3], 0x60
	s_load_dwordx4 s[12:15], s[2:3], 0x68
	;; [unrolled: 2-line block ×3, first 2 shown]
	s_waitcnt lgkmcnt(0)
	s_lshr_b32 s0, s20, 16
	v_bfe_u32 v14, v0, 10, 10
	v_and_b32_e32 v12, 0x3ff, v0
	s_mul_i32 s0, s0, s21
	v_mul_u32_u24_e32 v1, s21, v14
	v_lshlrev_b32_e32 v5, 6, v14
	v_mad_u32_u24 v1, s0, v12, v1
	v_bfe_u32 v0, v0, 20, 10
	v_add_u16_e32 v8, v5, v12
	v_add_lshl_u32 v4, v1, v0, 4
	s_lshr_b32 s7, s7, 5
	v_mov_b32_e32 v0, 0
	v_lshrrev_b16_e32 v15, 1, v8
	v_add_u32_e32 v13, 0x400, v4
	s_lshl_b32 s4, s4, 1
	v_mov_b32_e32 v1, v0
	v_mov_b32_e32 v2, v0
	;; [unrolled: 1-line block ×3, first 2 shown]
	v_cmp_gt_u32_e32 vcc, s7, v15
	ds_write_b128 v4, v[0:3] offset:1024
	s_and_saveexec_b64 s[24:25], vcc
	s_cbranch_execz .LBB77_4
; %bb.1:
	s_load_dwordx4 s[20:23], s[2:3], 0x0
	s_mul_i32 s0, s6, s17
	s_mul_i32 s1, s5, s13
	s_mul_hi_u32 s13, s0, 36
	s_mul_i32 s0, s0, 36
	s_waitcnt lgkmcnt(0)
	s_add_u32 s0, s22, s0
	s_addc_u32 s13, s23, s13
	s_mul_hi_u32 s17, s1, 36
	s_mul_i32 s1, s1, 36
	s_add_u32 s22, s0, s1
	s_mul_hi_u32 s0, s11, s5
	s_addc_u32 s23, s13, s17
	s_add_i32 s0, s5, s0
	s_lshr_b32 s0, s0, s27
	s_mul_i32 s11, s0, s12
	s_mul_hi_u32 s0, s15, s6
	s_add_i32 s0, s6, s0
	v_and_b32_e32 v1, 1, v12
	s_lshr_b32 s0, s0, s26
	v_lshlrev_b32_e32 v6, 3, v1
	v_lshrrev_b16_e32 v1, 1, v8
	s_mul_i32 s12, s0, s16
	v_mad_u64_u32 v[8:9], s[0:1], v1, 36, s[22:23]
	v_lshlrev_b32_e32 v0, 1, v12
	s_add_i32 s0, s4, 1
	v_and_b32_e32 v0, 2, v0
	v_mov_b32_e32 v5, 0
	s_mul_i32 s13, s4, s8
	s_add_i32 s11, s12, s11
	s_mul_i32 s0, s8, s0
	v_lshlrev_b32_e32 v4, 2, v0
	v_mov_b32_e32 v7, v5
	s_add_i32 s8, s11, s0
	s_add_i32 s11, s11, s13
	s_mov_b64 s[12:13], 0
	s_mov_b32 s15, 0xc080604
	v_mov_b32_e32 v16, 0x3020100
	s_mov_b32 s19, 0xf4f8fafc
	v_mov_b32_e32 v17, 0xfdfeff00
	v_mov_b32_e32 v18, 0x200000
	v_lshlrev_b32_e32 v10, 2, v0
	v_mov_b32_e32 v11, v5
	s_mov_b64 s[16:17], 0x900
	v_mov_b32_e32 v2, v5
	v_mov_b32_e32 v3, v5
	;; [unrolled: 1-line block ×4, first 2 shown]
.LBB77_2:                               ; =>This Inner Loop Header: Depth=1
	v_add_u32_e32 v19, s11, v15
	v_lshl_add_u64 v[20:21], v[8:9], 0, v[6:7]
	global_load_dword v40, v[8:9], off
	v_add_u32_e32 v26, s8, v15
	v_add_u32_e32 v28, s9, v15
	global_load_dwordx2 v[22:23], v[20:21], off offset:4
	global_load_dwordx2 v[24:25], v[20:21], off offset:20
	v_mad_i64_i32 v[20:21], s[0:1], v19, 17, s[20:21]
	v_mad_i64_i32 v[26:27], s[0:1], v26, 17, s[20:21]
	v_mad_u64_u32 v[28:29], s[0:1], v28, 36, s[22:23]
	v_lshl_add_u64 v[30:31], v[20:21], 0, v[4:5]
	v_lshl_add_u64 v[32:33], v[26:27], 0, v[4:5]
	;; [unrolled: 1-line block ×3, first 2 shown]
	global_load_dword v19, v[30:31], off offset:1
	global_load_dword v45, v[30:31], off offset:5
	;; [unrolled: 1-line block ×4, first 2 shown]
	global_load_ubyte v48, v[26:27], off
	global_load_ubyte v49, v[20:21], off
	global_load_dwordx2 v[36:37], v[34:35], off offset:20
	global_load_dword v50, v[28:29], off
	global_load_dwordx2 v[38:39], v[34:35], off offset:4
	v_add_u32_e32 v15, 64, v15
	v_cmp_le_u32_e32 vcc, s7, v15
	v_mov_b32_e32 v41, 0
	v_mov_b32_e32 v42, 0
	;; [unrolled: 1-line block ×4, first 2 shown]
	s_or_b64 s[12:13], vcc, s[12:13]
	v_lshl_add_u64 v[8:9], v[8:9], 0, s[16:17]
	s_waitcnt vmcnt(11)
	v_cvt_f32_f16_e32 v20, v40
	s_waitcnt vmcnt(8)
	v_ashrrev_i32_e32 v21, 4, v19
	v_and_b32_e32 v29, 0x7070707, v19
	v_lshrrev_b32_e32 v19, 1, v19
	s_waitcnt vmcnt(7)
	v_lshrrev_b32_e32 v32, 1, v45
	s_waitcnt vmcnt(6)
	v_ashrrev_i32_e32 v33, 4, v46
	v_lshrrev_b32_e32 v35, 1, v46
	v_and_b32_e32 v31, 0x7070707, v45
	v_and_b32_e32 v34, 0x7070707, v46
	s_waitcnt vmcnt(1)
	v_cvt_f32_f16_e32 v28, v50
	v_and_b32_e32 v50, 0x7070707, v21
	v_and_b32_e32 v19, 0x4040404, v19
	v_lshrrev_b32_e32 v21, 1, v21
	v_and_b32_e32 v32, 0x4040404, v32
	v_and_b32_e32 v54, 0x7070707, v33
	;; [unrolled: 1-line block ×3, first 2 shown]
	v_lshrrev_b32_e32 v33, 1, v33
	v_ashrrev_i32_e32 v30, 4, v45
	v_ashrrev_i32_e32 v40, 4, v47
	v_and_b32_e32 v45, 0x7070707, v47
	v_lshrrev_b32_e32 v46, 1, v47
	v_perm_b32 v47, s15, v16, v29
	v_perm_b32 v29, s19, v17, v29
	;; [unrolled: 1-line block ×6, first 2 shown]
	v_or_b32_e32 v19, 0x3020100, v19
	v_and_b32_e32 v21, 0x4040404, v21
	v_or_b32_e32 v32, 0x3020100, v32
	v_or_b32_e32 v35, 0x3020100, v35
	v_and_b32_e32 v33, 0x4040404, v33
	v_lshlrev_b32_e32 v27, 23, v48
	v_lshlrev_b32_e32 v26, 23, v49
	v_and_b32_e32 v52, 0x7070707, v30
	v_lshrrev_b32_e32 v30, 1, v30
	v_and_b32_e32 v56, 0x7070707, v40
	v_and_b32_e32 v46, 0x4040404, v46
	v_lshrrev_b32_e32 v40, 1, v40
	v_cmp_ne_u16_e32 vcc, 0, v49
	v_cmp_ne_u16_e64 s[0:1], 0, v48
	v_perm_b32 v48, s15, v16, v50
	v_perm_b32 v49, s19, v17, v50
	;; [unrolled: 1-line block ×5, first 2 shown]
	v_or_b32_e32 v21, 0x3020100, v21
	v_perm_b32 v31, v31, v51, v32
	v_perm_b32 v32, v34, v53, v35
	v_or_b32_e32 v33, 0x3020100, v33
	v_perm_b32 v55, s15, v16, v45
	v_perm_b32 v45, s19, v17, v45
	v_and_b32_e32 v30, 0x4040404, v30
	v_or_b32_e32 v46, 0x3020100, v46
	v_and_b32_e32 v40, 0x4040404, v40
	v_perm_b32 v21, v49, v48, v21
	v_dot4c_i32_i8_e32 v41, v19, v22
	v_perm_b32 v29, v47, v29, v33
	v_dot4c_i32_i8_e32 v42, v32, v22
	s_waitcnt vmcnt(0)
	v_dot4c_i32_i8_e32 v43, v19, v38
	v_dot4c_i32_i8_e32 v44, v32, v38
	v_perm_b32 v50, s15, v16, v52
	v_perm_b32 v52, s19, v17, v52
	;; [unrolled: 1-line block ×4, first 2 shown]
	v_or_b32_e32 v30, 0x3020100, v30
	v_perm_b32 v34, v45, v55, v46
	v_or_b32_e32 v35, 0x3020100, v40
	v_dot4c_i32_i8_e32 v41, v21, v24
	v_dot4c_i32_i8_e32 v42, v29, v24
	v_dot4c_i32_i8_e32 v43, v21, v36
	v_dot4c_i32_i8_e32 v44, v29, v36
	v_perm_b32 v30, v52, v50, v30
	v_perm_b32 v22, v56, v54, v35
	v_dot4c_i32_i8_e32 v41, v31, v23
	v_dot4c_i32_i8_e32 v42, v34, v23
	;; [unrolled: 1-line block ×8, first 2 shown]
	v_cvt_f32_i32_e32 v22, v41
	v_cvt_f32_i32_e32 v23, v42
	;; [unrolled: 1-line block ×4, first 2 shown]
	v_pk_mul_f32 v[26:27], v[26:27], 0.5 op_sel_hi:[1,0]
	s_nop 0
	v_cndmask_b32_e64 v27, v18, v27, s[0:1]
	v_cndmask_b32_e32 v26, v18, v26, vcc
	v_pk_mul_f32 v[20:21], v[26:27], v[20:21] op_sel_hi:[1,0]
	v_pk_mul_f32 v[26:27], v[26:27], v[28:29] op_sel_hi:[1,0]
	v_pk_fma_f32 v[2:3], v[20:21], v[22:23], v[2:3]
	v_pk_fma_f32 v[0:1], v[26:27], v[24:25], v[0:1]
	s_andn2_b64 exec, exec, s[12:13]
	s_cbranch_execnz .LBB77_2
; %bb.3:
	s_or_b64 exec, exec, s[12:13]
	v_mov_b32_e32 v4, v0
	v_mov_b32_e32 v5, v1
	ds_write_b128 v13, v[2:5]
.LBB77_4:
	s_or_b64 exec, exec, s[24:25]
	v_cmp_eq_u32_e32 vcc, 0, v14
	v_cmp_ne_u32_e64 s[0:1], 0, v14
	v_lshlrev_b32_e32 v4, 2, v12
	s_and_saveexec_b64 s[8:9], s[0:1]
	s_cbranch_execz .LBB77_6
; %bb.5:
	v_lshl_or_b32 v5, v14, 10, v4
	v_add_u32_e32 v5, 0xfffffc00, v5
	ds_write2st64_b32 v5, v2, v3 offset1:1
	ds_write2st64_b32 v5, v0, v1 offset0:2 offset1:3
.LBB77_6:
	s_or_b64 exec, exec, s[8:9]
	s_waitcnt lgkmcnt(0)
	s_barrier
	s_and_saveexec_b64 s[0:1], vcc
	s_cbranch_execz .LBB77_11
; %bb.7:
	v_mbcnt_lo_u32_b32 v0, -1, 0
	v_mbcnt_hi_u32_b32 v14, -1, v0
	ds_read2st64_b32 v[2:3], v4 offset1:1
	ds_read_b64 v[6:7], v13
	v_and_b32_e32 v0, 64, v14
	v_add_u32_e32 v15, 64, v0
	v_xor_b32_e32 v0, 32, v14
	v_cmp_lt_i32_e32 vcc, v0, v15
	s_waitcnt lgkmcnt(0)
	v_pk_add_f32 v[2:3], v[2:3], v[6:7]
	v_xor_b32_e32 v1, 16, v14
	v_cndmask_b32_e32 v0, v14, v0, vcc
	v_lshlrev_b32_e32 v0, 2, v0
	ds_bpermute_b32 v6, v0, v2
	ds_bpermute_b32 v7, v0, v3
	v_cmp_lt_i32_e32 vcc, v1, v15
	v_xor_b32_e32 v5, 2, v14
	s_load_dwordx2 s[0:1], s[2:3], 0x38
	v_cndmask_b32_e32 v1, v14, v1, vcc
	v_lshlrev_b32_e32 v1, 2, v1
	s_waitcnt lgkmcnt(0)
	v_pk_add_f32 v[6:7], v[2:3], v[6:7]
	ds_bpermute_b32 v8, v1, v6
	ds_bpermute_b32 v9, v1, v7
	v_xor_b32_e32 v2, 8, v14
	v_cmp_lt_i32_e32 vcc, v2, v15
	v_xor_b32_e32 v3, 4, v14
	s_mul_i32 s2, s5, s14
	v_cndmask_b32_e32 v2, v14, v2, vcc
	v_lshlrev_b32_e32 v2, 2, v2
	s_waitcnt lgkmcnt(0)
	v_pk_add_f32 v[6:7], v[6:7], v[8:9]
	ds_bpermute_b32 v8, v2, v6
	ds_bpermute_b32 v9, v2, v7
	v_cmp_lt_i32_e32 vcc, v3, v15
	s_mul_i32 s6, s6, s18
	s_add_i32 s2, s2, s4
	v_cndmask_b32_e32 v3, v14, v3, vcc
	v_lshlrev_b32_e32 v3, 2, v3
	s_waitcnt lgkmcnt(0)
	v_pk_add_f32 v[6:7], v[6:7], v[8:9]
	ds_bpermute_b32 v8, v3, v6
	ds_bpermute_b32 v9, v3, v7
	v_cmp_lt_i32_e32 vcc, v5, v15
	s_add_i32 s2, s2, s6
	s_mov_b32 s3, 0
	v_cndmask_b32_e32 v5, v14, v5, vcc
	v_lshlrev_b32_e32 v5, 2, v5
	s_waitcnt lgkmcnt(0)
	v_pk_add_f32 v[8:9], v[6:7], v[8:9]
	ds_bpermute_b32 v10, v5, v8
	ds_bpermute_b32 v11, v5, v9
	v_xor_b32_e32 v6, 1, v14
	v_cmp_lt_i32_e32 vcc, v6, v15
	s_lshl_b64 s[2:3], s[2:3], 2
	s_add_u32 s2, s0, s2
	v_cndmask_b32_e32 v6, v14, v6, vcc
	v_lshlrev_b32_e32 v6, 2, v6
	s_waitcnt lgkmcnt(0)
	v_pk_add_f32 v[8:9], v[8:9], v[10:11]
	ds_bpermute_b32 v10, v6, v8
	ds_bpermute_b32 v11, v6, v9
	v_or_b32_e32 v7, s4, v12
	s_addc_u32 s3, s1, s3
	v_cmp_gt_u32_e32 vcc, 2, v12
	v_cmp_gt_u32_e64 s[0:1], s10, v7
	s_and_b64 s[0:1], vcc, s[0:1]
	s_waitcnt lgkmcnt(0)
	v_pk_add_f32 v[8:9], v[8:9], v[10:11]
	ds_write_b64 v13, v[8:9]
	s_and_saveexec_b64 s[4:5], s[0:1]
	s_cbranch_execz .LBB77_9
; %bb.8:
	v_add_u32_e32 v7, v13, v4
	ds_read_b32 v7, v7
	s_waitcnt lgkmcnt(0)
	global_store_dword v4, v7, s[2:3]
.LBB77_9:
	s_or_b64 exec, exec, s[4:5]
	ds_read2st64_b32 v[8:9], v4 offset0:2 offset1:3
	ds_read_b64 v[10:11], v13 offset:8
	s_waitcnt lgkmcnt(0)
	v_pk_add_f32 v[8:9], v[8:9], v[10:11]
	ds_bpermute_b32 v10, v0, v8
	ds_bpermute_b32 v11, v0, v9
	s_waitcnt lgkmcnt(0)
	v_pk_add_f32 v[8:9], v[8:9], v[10:11]
	ds_bpermute_b32 v0, v1, v8
	ds_bpermute_b32 v1, v1, v9
	;; [unrolled: 4-line block ×6, first 2 shown]
	s_waitcnt lgkmcnt(0)
	v_pk_add_f32 v[0:1], v[0:1], v[2:3]
	ds_write_b64 v13, v[0:1] offset:8
	s_and_b64 exec, exec, s[0:1]
	s_cbranch_execz .LBB77_11
; %bb.10:
	v_lshl_add_u32 v0, v12, 2, v13
	ds_read_b32 v2, v0 offset:8
	v_add_u32_e32 v0, s10, v12
	v_mov_b32_e32 v1, 0
	v_lshl_add_u64 v[0:1], v[0:1], 2, s[2:3]
	s_waitcnt lgkmcnt(0)
	global_store_dword v[0:1], v2, off
.LBB77_11:
	s_endpgm
	.section	.rodata,"a",@progbits
	.p2align	6, 0x0
	.amdhsa_kernel _ZL13mul_mat_vec_qIL9ggml_type39ELi2ELb0ELb0EEvPKvS2_PKi31ggml_cuda_mm_fusion_args_devicePfj15HIP_vector_typeIjLj3EEjjjS8_jjjS8_jjjj
		.amdhsa_group_segment_fixed_size 3072
		.amdhsa_private_segment_fixed_size 0
		.amdhsa_kernarg_size 144
		.amdhsa_user_sgpr_count 4
		.amdhsa_user_sgpr_dispatch_ptr 1
		.amdhsa_user_sgpr_queue_ptr 0
		.amdhsa_user_sgpr_kernarg_segment_ptr 1
		.amdhsa_user_sgpr_dispatch_id 0
		.amdhsa_user_sgpr_kernarg_preload_length 0
		.amdhsa_user_sgpr_kernarg_preload_offset 0
		.amdhsa_user_sgpr_private_segment_size 0
		.amdhsa_uses_dynamic_stack 0
		.amdhsa_enable_private_segment 0
		.amdhsa_system_sgpr_workgroup_id_x 1
		.amdhsa_system_sgpr_workgroup_id_y 1
		.amdhsa_system_sgpr_workgroup_id_z 1
		.amdhsa_system_sgpr_workgroup_info 0
		.amdhsa_system_vgpr_workitem_id 2
		.amdhsa_next_free_vgpr 57
		.amdhsa_next_free_sgpr 28
		.amdhsa_accum_offset 60
		.amdhsa_reserve_vcc 1
		.amdhsa_float_round_mode_32 0
		.amdhsa_float_round_mode_16_64 0
		.amdhsa_float_denorm_mode_32 3
		.amdhsa_float_denorm_mode_16_64 3
		.amdhsa_dx10_clamp 1
		.amdhsa_ieee_mode 1
		.amdhsa_fp16_overflow 0
		.amdhsa_tg_split 0
		.amdhsa_exception_fp_ieee_invalid_op 0
		.amdhsa_exception_fp_denorm_src 0
		.amdhsa_exception_fp_ieee_div_zero 0
		.amdhsa_exception_fp_ieee_overflow 0
		.amdhsa_exception_fp_ieee_underflow 0
		.amdhsa_exception_fp_ieee_inexact 0
		.amdhsa_exception_int_div_zero 0
	.end_amdhsa_kernel
	.section	.text._ZL13mul_mat_vec_qIL9ggml_type39ELi2ELb0ELb0EEvPKvS2_PKi31ggml_cuda_mm_fusion_args_devicePfj15HIP_vector_typeIjLj3EEjjjS8_jjjS8_jjjj,"axG",@progbits,_ZL13mul_mat_vec_qIL9ggml_type39ELi2ELb0ELb0EEvPKvS2_PKi31ggml_cuda_mm_fusion_args_devicePfj15HIP_vector_typeIjLj3EEjjjS8_jjjS8_jjjj,comdat
.Lfunc_end77:
	.size	_ZL13mul_mat_vec_qIL9ggml_type39ELi2ELb0ELb0EEvPKvS2_PKi31ggml_cuda_mm_fusion_args_devicePfj15HIP_vector_typeIjLj3EEjjjS8_jjjS8_jjjj, .Lfunc_end77-_ZL13mul_mat_vec_qIL9ggml_type39ELi2ELb0ELb0EEvPKvS2_PKi31ggml_cuda_mm_fusion_args_devicePfj15HIP_vector_typeIjLj3EEjjjS8_jjjS8_jjjj
                                        ; -- End function
	.section	.AMDGPU.csdata,"",@progbits
; Kernel info:
; codeLenInByte = 2008
; NumSgprs: 34
; NumVgprs: 57
; NumAgprs: 0
; TotalNumVgprs: 57
; ScratchSize: 0
; MemoryBound: 0
; FloatMode: 240
; IeeeMode: 1
; LDSByteSize: 3072 bytes/workgroup (compile time only)
; SGPRBlocks: 4
; VGPRBlocks: 7
; NumSGPRsForWavesPerEU: 34
; NumVGPRsForWavesPerEU: 57
; AccumOffset: 60
; Occupancy: 8
; WaveLimiterHint : 0
; COMPUTE_PGM_RSRC2:SCRATCH_EN: 0
; COMPUTE_PGM_RSRC2:USER_SGPR: 4
; COMPUTE_PGM_RSRC2:TRAP_HANDLER: 0
; COMPUTE_PGM_RSRC2:TGID_X_EN: 1
; COMPUTE_PGM_RSRC2:TGID_Y_EN: 1
; COMPUTE_PGM_RSRC2:TGID_Z_EN: 1
; COMPUTE_PGM_RSRC2:TIDIG_COMP_CNT: 2
; COMPUTE_PGM_RSRC3_GFX90A:ACCUM_OFFSET: 14
; COMPUTE_PGM_RSRC3_GFX90A:TG_SPLIT: 0
	.section	.text._ZL13mul_mat_vec_qIL9ggml_type39ELi3ELb0ELb0EEvPKvS2_PKi31ggml_cuda_mm_fusion_args_devicePfj15HIP_vector_typeIjLj3EEjjjS8_jjjS8_jjjj,"axG",@progbits,_ZL13mul_mat_vec_qIL9ggml_type39ELi3ELb0ELb0EEvPKvS2_PKi31ggml_cuda_mm_fusion_args_devicePfj15HIP_vector_typeIjLj3EEjjjS8_jjjS8_jjjj,comdat
	.globl	_ZL13mul_mat_vec_qIL9ggml_type39ELi3ELb0ELb0EEvPKvS2_PKi31ggml_cuda_mm_fusion_args_devicePfj15HIP_vector_typeIjLj3EEjjjS8_jjjS8_jjjj ; -- Begin function _ZL13mul_mat_vec_qIL9ggml_type39ELi3ELb0ELb0EEvPKvS2_PKi31ggml_cuda_mm_fusion_args_devicePfj15HIP_vector_typeIjLj3EEjjjS8_jjjS8_jjjj
	.p2align	8
	.type	_ZL13mul_mat_vec_qIL9ggml_type39ELi3ELb0ELb0EEvPKvS2_PKi31ggml_cuda_mm_fusion_args_devicePfj15HIP_vector_typeIjLj3EEjjjS8_jjjS8_jjjj,@function
_ZL13mul_mat_vec_qIL9ggml_type39ELi3ELb0ELb0EEvPKvS2_PKi31ggml_cuda_mm_fusion_args_devicePfj15HIP_vector_typeIjLj3EEjjjS8_jjjS8_jjjj: ; @_ZL13mul_mat_vec_qIL9ggml_type39ELi3ELb0ELb0EEvPKvS2_PKi31ggml_cuda_mm_fusion_args_devicePfj15HIP_vector_typeIjLj3EEjjjS8_jjjS8_jjjj
; %bb.0:
	v_bfe_u32 v15, v0, 10, 10
	v_and_b32_e32 v14, 0x3ff, v0
	v_mov_b32_e32 v0, 0
	v_lshlrev_b32_e32 v10, 6, v15
	v_mov_b32_e32 v1, v0
	v_mov_b32_e32 v2, v0
	;; [unrolled: 1-line block ×3, first 2 shown]
	s_load_dword s20, s[0:1], 0x40
	s_load_dwordx4 s[8:11], s[0:1], 0x50
	s_load_dword s7, s[0:1], 0x60
	s_load_dwordx4 s[12:15], s[0:1], 0x68
	;; [unrolled: 2-line block ×3, first 2 shown]
	scratch_store_dwordx2 off, v[0:1], off offset:16
	scratch_store_dwordx4 off, v[0:3], off
	s_lshl_b32 s5, s2, 1
	s_waitcnt lgkmcnt(0)
	s_lshr_b32 s2, s20, 5
	v_add_u16_e32 v1, v10, v14
	v_lshrrev_b16_e32 v16, 1, v1
	v_cmp_gt_u32_e32 vcc, s2, v16
	v_mov_b32_e32 v1, v0
	v_mov_b32_e32 v4, v0
	;; [unrolled: 1-line block ×3, first 2 shown]
	s_and_saveexec_b64 s[24:25], vcc
	s_cbranch_execz .LBB78_4
; %bb.1:
	s_load_dwordx4 s[20:23], s[0:1], 0x0
	s_mul_i32 s17, s4, s17
	s_mul_hi_u32 s19, s17, 36
	s_mul_i32 s17, s17, 36
	s_mul_i32 s13, s3, s13
	s_waitcnt lgkmcnt(0)
	s_add_u32 s17, s22, s17
	s_addc_u32 s19, s23, s19
	s_mul_hi_u32 s23, s13, 36
	s_mul_i32 s13, s13, 36
	s_add_u32 s22, s17, s13
	s_mul_hi_u32 s11, s11, s3
	s_addc_u32 s23, s19, s23
	s_add_i32 s11, s3, s11
	s_lshr_b32 s7, s11, s7
	s_mul_i32 s12, s7, s12
	s_mul_hi_u32 s7, s15, s4
	v_and_b32_e32 v1, 1, v14
	v_xor_b32_e32 v2, v10, v14
	s_add_i32 s7, s4, s7
	v_lshlrev_b32_e32 v8, 3, v1
	v_and_b32_e32 v1, v10, v14
	v_lshrrev_b16_e32 v2, 1, v2
	s_lshr_b32 s6, s7, s6
	v_add_u16_e32 v1, v1, v2
	s_mul_i32 s13, s6, s16
	v_mad_u64_u32 v[10:11], s[6:7], v1, 36, s[22:23]
	v_lshlrev_b32_e32 v0, 1, v14
	s_add_i32 s7, s5, 1
	v_and_b32_e32 v0, 2, v0
	v_mov_b32_e32 v7, 0
	s_mul_i32 s15, s5, s8
	s_add_i32 s6, s13, s12
	s_mul_i32 s7, s8, s7
	v_lshlrev_b32_e32 v6, 2, v0
	v_mov_b32_e32 v9, v7
	s_lshl_b32 s11, s9, 1
	s_add_i32 s8, s6, s7
	s_add_i32 s15, s6, s15
	s_mov_b64 s[12:13], 0
	s_mov_b32 s19, 0xc080604
	v_mov_b32_e32 v17, 0x3020100
	s_mov_b32 s26, 0xf4f8fafc
	v_mov_b32_e32 v18, 0xfdfeff00
	v_mov_b32_e32 v19, 0x200000
	v_lshlrev_b32_e32 v12, 2, v0
	v_mov_b32_e32 v13, v7
	s_mov_b64 s[16:17], 0x900
	v_mov_b32_e32 v2, v7
	v_mov_b32_e32 v3, v7
	;; [unrolled: 1-line block ×6, first 2 shown]
.LBB78_2:                               ; =>This Inner Loop Header: Depth=1
	global_load_dword v48, v[10:11], off
	v_add_u32_e32 v26, s15, v16
	v_lshl_add_u64 v[20:21], v[10:11], 0, v[8:9]
	v_add_u32_e32 v27, s8, v16
	v_add_u32_e32 v28, s9, v16
	v_add_u32_e32 v30, s11, v16
	global_load_dwordx2 v[22:23], v[20:21], off offset:4
	global_load_dwordx2 v[24:25], v[20:21], off offset:20
	v_mad_i64_i32 v[20:21], s[6:7], v26, 17, s[20:21]
	v_mad_i64_i32 v[26:27], s[6:7], v27, 17, s[20:21]
	v_mad_u64_u32 v[28:29], s[6:7], v28, 36, s[22:23]
	v_mad_u64_u32 v[30:31], s[6:7], v30, 36, s[22:23]
	v_lshl_add_u64 v[32:33], v[20:21], 0, v[6:7]
	v_lshl_add_u64 v[34:35], v[26:27], 0, v[6:7]
	;; [unrolled: 1-line block ×4, first 2 shown]
	global_load_dword v55, v[32:33], off offset:1
	global_load_dword v56, v[32:33], off offset:5
	;; [unrolled: 1-line block ×4, first 2 shown]
	global_load_ubyte v59, v[26:27], off
	global_load_ubyte v60, v[20:21], off
	global_load_dwordx2 v[40:41], v[36:37], off offset:20
	global_load_dword v61, v[30:31], off
	global_load_dword v62, v[28:29], off
	global_load_dwordx2 v[42:43], v[36:37], off offset:4
	global_load_dwordx2 v[44:45], v[38:39], off offset:4
	;; [unrolled: 1-line block ×3, first 2 shown]
	v_mov_b32_e32 v49, 0
	v_mov_b32_e32 v50, 0
	v_mov_b32_e32 v51, 0
	v_mov_b32_e32 v52, 0
	v_mov_b32_e32 v53, 0
	v_mov_b32_e32 v54, 0
	v_add_u32_e32 v16, 64, v16
	v_cmp_le_u32_e32 vcc, s2, v16
	s_or_b64 s[12:13], vcc, s[12:13]
	v_lshl_add_u64 v[10:11], v[10:11], 0, s[16:17]
	s_waitcnt vmcnt(14)
	v_cvt_f32_f16_e32 v20, v48
	s_waitcnt vmcnt(11)
	v_lshrrev_b32_e32 v31, 1, v55
	v_and_b32_e32 v29, 0x7070707, v55
	s_waitcnt vmcnt(10)
	v_lshrrev_b32_e32 v34, 1, v56
	v_and_b32_e32 v31, 0x4040404, v31
	v_ashrrev_i32_e32 v21, 4, v55
	v_and_b32_e32 v33, 0x7070707, v56
	s_waitcnt vmcnt(9)
	v_lshrrev_b32_e32 v37, 1, v57
	v_perm_b32 v55, s19, v17, v29
	v_perm_b32 v29, s26, v18, v29
	v_or_b32_e32 v31, 0x3020100, v31
	v_and_b32_e32 v34, 0x4040404, v34
	v_and_b32_e32 v36, 0x7070707, v57
	s_waitcnt vmcnt(8)
	v_lshrrev_b32_e32 v48, 1, v58
	v_perm_b32 v31, v29, v55, v31
	v_perm_b32 v29, s19, v17, v33
	;; [unrolled: 1-line block ×3, first 2 shown]
	v_or_b32_e32 v34, 0x3020100, v34
	v_and_b32_e32 v37, 0x4040404, v37
	v_ashrrev_i32_e32 v32, 4, v56
	v_and_b32_e32 v39, 0x7070707, v58
	v_and_b32_e32 v56, 0x7070707, v21
	v_lshrrev_b32_e32 v21, 1, v21
	v_perm_b32 v33, v33, v29, v34
	v_perm_b32 v29, s19, v17, v36
	;; [unrolled: 1-line block ×3, first 2 shown]
	v_or_b32_e32 v37, 0x3020100, v37
	v_and_b32_e32 v48, 0x4040404, v48
	v_ashrrev_i32_e32 v35, 4, v57
	v_perm_b32 v36, v36, v29, v37
	v_perm_b32 v29, s19, v17, v39
	;; [unrolled: 1-line block ×3, first 2 shown]
	v_or_b32_e32 v48, 0x3020100, v48
	v_and_b32_e32 v21, 0x4040404, v21
	v_and_b32_e32 v34, 0x7070707, v35
	v_lshrrev_b32_e32 v35, 1, v35
	v_perm_b32 v39, v39, v29, v48
	v_perm_b32 v29, s19, v17, v56
	;; [unrolled: 1-line block ×3, first 2 shown]
	v_or_b32_e32 v21, 0x3020100, v21
	v_ashrrev_i32_e32 v38, 4, v58
	v_perm_b32 v48, v48, v29, v21
	v_and_b32_e32 v21, 0x4040404, v35
	v_and_b32_e32 v55, 0x7070707, v32
	v_lshrrev_b32_e32 v32, 1, v32
	v_and_b32_e32 v37, 0x7070707, v38
	v_lshrrev_b32_e32 v38, 1, v38
	v_perm_b32 v29, s19, v17, v34
	v_perm_b32 v34, s26, v18, v34
	v_or_b32_e32 v57, 0x3020100, v21
	v_and_b32_e32 v32, 0x4040404, v32
	v_and_b32_e32 v38, 0x4040404, v38
	v_dot4c_i32_i8_e32 v49, v31, v22
	v_perm_b32 v34, v34, v29, v57
	v_dot4c_i32_i8_e32 v50, v36, v22
	s_waitcnt vmcnt(2)
	v_dot4c_i32_i8_e32 v51, v31, v42
	v_dot4c_i32_i8_e32 v52, v36, v42
	s_waitcnt vmcnt(1)
	v_dot4c_i32_i8_e32 v53, v31, v44
	v_dot4c_i32_i8_e32 v54, v36, v44
	v_perm_b32 v56, s19, v17, v55
	v_perm_b32 v55, s26, v18, v55
	;; [unrolled: 1-line block ×4, first 2 shown]
	v_or_b32_e32 v32, 0x3020100, v32
	v_or_b32_e32 v38, 0x3020100, v38
	v_dot4c_i32_i8_e32 v49, v48, v24
	v_dot4c_i32_i8_e32 v50, v34, v24
	;; [unrolled: 1-line block ×4, first 2 shown]
	s_waitcnt vmcnt(0)
	v_dot4c_i32_i8_e32 v53, v48, v46
	v_dot4c_i32_i8_e32 v54, v34, v46
	v_perm_b32 v32, v55, v56, v32
	v_perm_b32 v22, v37, v35, v38
	v_dot4c_i32_i8_e32 v49, v33, v23
	v_dot4c_i32_i8_e32 v50, v39, v23
	;; [unrolled: 1-line block ×6, first 2 shown]
	v_cvt_f32_f16_e32 v28, v62
	v_cvt_f32_f16_e32 v30, v61
	v_dot4c_i32_i8_e32 v49, v32, v25
	v_dot4c_i32_i8_e32 v50, v22, v25
	;; [unrolled: 1-line block ×6, first 2 shown]
	v_lshlrev_b32_e32 v27, 23, v59
	v_lshlrev_b32_e32 v26, 23, v60
	v_cvt_f32_i32_e32 v23, v50
	v_cvt_f32_i32_e32 v22, v49
	;; [unrolled: 1-line block ×6, first 2 shown]
	v_pk_mul_f32 v[26:27], v[26:27], 0.5 op_sel_hi:[1,0]
	v_cmp_ne_u16_e32 vcc, 0, v60
	v_cmp_ne_u16_e64 s[6:7], 0, v59
	s_nop 0
	v_cndmask_b32_e32 v26, v19, v26, vcc
	v_cndmask_b32_e64 v27, v19, v27, s[6:7]
	v_pk_mul_f32 v[20:21], v[26:27], v[20:21] op_sel_hi:[1,0]
	v_pk_mul_f32 v[28:29], v[26:27], v[28:29] op_sel_hi:[1,0]
	;; [unrolled: 1-line block ×3, first 2 shown]
	v_pk_fma_f32 v[2:3], v[20:21], v[22:23], v[2:3]
	v_pk_fma_f32 v[4:5], v[28:29], v[24:25], v[4:5]
	;; [unrolled: 1-line block ×3, first 2 shown]
	s_andn2_b64 exec, exec, s[12:13]
	s_cbranch_execnz .LBB78_2
; %bb.3:
	s_or_b64 exec, exec, s[12:13]
	scratch_store_dwordx4 off, v[2:5], off
	scratch_store_dwordx2 off, v[0:1], off offset:16
.LBB78_4:
	s_or_b64 exec, exec, s[24:25]
	v_cmp_eq_u32_e32 vcc, 0, v15
	v_cmp_ne_u32_e64 s[6:7], 0, v15
	v_lshlrev_b32_e32 v6, 2, v14
	s_and_saveexec_b64 s[8:9], s[6:7]
	s_cbranch_execz .LBB78_6
; %bb.5:
	v_mul_u32_u24_e32 v7, 0x600, v15
	s_movk_i32 s2, 0xfa00
	v_add3_u32 v7, v7, v6, s2
	ds_write2st64_b32 v7, v2, v3 offset1:1
	ds_write2st64_b32 v7, v4, v5 offset0:2 offset1:3
	ds_write2st64_b32 v7, v0, v1 offset0:4 offset1:5
.LBB78_6:
	s_or_b64 exec, exec, s[8:9]
	s_waitcnt lgkmcnt(0)
	s_barrier
	s_and_saveexec_b64 s[6:7], vcc
	s_cbranch_execz .LBB78_13
; %bb.7:
	scratch_load_dwordx2 v[2:3], off, off
	v_mbcnt_lo_u32_b32 v0, -1, 0
	ds_read2st64_b32 v[4:5], v6 offset1:1
	v_mbcnt_hi_u32_b32 v7, -1, v0
	v_and_b32_e32 v0, 64, v7
	v_xor_b32_e32 v1, 32, v7
	v_add_u32_e32 v12, 64, v0
	v_cmp_lt_i32_e32 vcc, v1, v12
	v_xor_b32_e32 v8, 16, v7
	v_xor_b32_e32 v10, 8, v7
	v_cndmask_b32_e32 v0, v7, v1, vcc
	v_lshlrev_b32_e32 v0, 2, v0
	v_cmp_lt_i32_e32 vcc, v8, v12
	v_xor_b32_e32 v11, 4, v7
	v_xor_b32_e32 v13, 2, v7
	v_cndmask_b32_e32 v1, v7, v8, vcc
	v_lshlrev_b32_e32 v1, 2, v1
	v_cmp_lt_i32_e32 vcc, v10, v12
	v_xor_b32_e32 v15, 1, v7
	s_load_dwordx2 s[0:1], s[0:1], 0x38
	s_mul_i32 s2, s3, s14
	s_mul_i32 s4, s4, s18
	s_add_i32 s2, s2, s5
	s_mov_b32 s3, 0
	s_add_i32 s2, s2, s4
	s_lshl_b64 s[2:3], s[2:3], 2
	s_waitcnt lgkmcnt(0)
	s_add_u32 s2, s0, s2
	s_addc_u32 s3, s1, s3
	s_waitcnt vmcnt(0)
	v_pk_add_f32 v[2:3], v[4:5], v[2:3]
	ds_bpermute_b32 v4, v0, v2
	ds_bpermute_b32 v5, v0, v3
	s_waitcnt lgkmcnt(0)
	v_pk_add_f32 v[4:5], v[2:3], v[4:5]
	ds_bpermute_b32 v8, v1, v4
	ds_bpermute_b32 v9, v1, v5
	v_cndmask_b32_e32 v2, v7, v10, vcc
	v_lshlrev_b32_e32 v2, 2, v2
	v_cmp_lt_i32_e32 vcc, v11, v12
	s_waitcnt lgkmcnt(0)
	v_pk_add_f32 v[4:5], v[4:5], v[8:9]
	ds_bpermute_b32 v8, v2, v4
	ds_bpermute_b32 v9, v2, v5
	v_cndmask_b32_e32 v3, v7, v11, vcc
	v_lshlrev_b32_e32 v3, 2, v3
	v_cmp_lt_i32_e32 vcc, v13, v12
	;; [unrolled: 7-line block ×3, first 2 shown]
	s_waitcnt lgkmcnt(0)
	v_pk_add_f32 v[8:9], v[8:9], v[10:11]
	ds_bpermute_b32 v10, v4, v8
	ds_bpermute_b32 v11, v4, v9
	v_cndmask_b32_e32 v5, v7, v15, vcc
	v_lshlrev_b32_e32 v5, 2, v5
	v_or_b32_e32 v7, s5, v14
	v_cmp_gt_u32_e32 vcc, 2, v14
	s_waitcnt lgkmcnt(0)
	v_pk_add_f32 v[8:9], v[8:9], v[10:11]
	ds_bpermute_b32 v10, v5, v8
	ds_bpermute_b32 v11, v5, v9
	v_cmp_gt_u32_e64 s[0:1], s10, v7
	s_and_b64 s[0:1], vcc, s[0:1]
	s_waitcnt lgkmcnt(0)
	v_pk_add_f32 v[8:9], v[8:9], v[10:11]
	scratch_store_dwordx2 off, v[8:9], off
	s_and_saveexec_b64 s[4:5], s[0:1]
	s_cbranch_execz .LBB78_9
; %bb.8:
	scratch_load_dword v7, v6, off
	s_waitcnt vmcnt(0)
	global_store_dword v6, v7, s[2:3]
.LBB78_9:
	s_or_b64 exec, exec, s[4:5]
	scratch_load_dwordx2 v[8:9], off, off offset:8
	ds_read2st64_b32 v[10:11], v6 offset0:2 offset1:3
	s_waitcnt vmcnt(0) lgkmcnt(0)
	v_pk_add_f32 v[8:9], v[10:11], v[8:9]
	ds_bpermute_b32 v10, v0, v8
	ds_bpermute_b32 v11, v0, v9
	s_waitcnt lgkmcnt(0)
	v_pk_add_f32 v[8:9], v[8:9], v[10:11]
	ds_bpermute_b32 v10, v1, v8
	ds_bpermute_b32 v11, v1, v9
	s_waitcnt lgkmcnt(0)
	;; [unrolled: 4-line block ×6, first 2 shown]
	v_pk_add_f32 v[8:9], v[8:9], v[10:11]
	scratch_store_dwordx2 off, v[8:9], off offset:8
	s_and_saveexec_b64 s[4:5], s[0:1]
	s_cbranch_execz .LBB78_11
; %bb.10:
	scratch_load_dword v7, v6, off offset:8
	v_add_u32_e32 v8, s10, v14
	v_mov_b32_e32 v9, 0
	v_lshl_add_u64 v[8:9], v[8:9], 2, s[2:3]
	s_waitcnt vmcnt(0)
	global_store_dword v[8:9], v7, off
.LBB78_11:
	s_or_b64 exec, exec, s[4:5]
	scratch_load_dwordx2 v[8:9], off, off offset:16
	ds_read2st64_b32 v[10:11], v6 offset0:4 offset1:5
	s_waitcnt vmcnt(0) lgkmcnt(0)
	v_pk_add_f32 v[8:9], v[10:11], v[8:9]
	ds_bpermute_b32 v10, v0, v8
	ds_bpermute_b32 v11, v0, v9
	s_waitcnt lgkmcnt(0)
	v_pk_add_f32 v[8:9], v[8:9], v[10:11]
	ds_bpermute_b32 v0, v1, v8
	ds_bpermute_b32 v1, v1, v9
	s_waitcnt lgkmcnt(0)
	;; [unrolled: 4-line block ×6, first 2 shown]
	v_pk_add_f32 v[0:1], v[0:1], v[2:3]
	scratch_store_dwordx2 off, v[0:1], off offset:16
	s_and_b64 exec, exec, s[0:1]
	s_cbranch_execz .LBB78_13
; %bb.12:
	scratch_load_dword v2, v6, off offset:16
	v_lshl_or_b32 v0, s10, 1, v14
	v_mov_b32_e32 v1, 0
	v_lshl_add_u64 v[0:1], v[0:1], 2, s[2:3]
	s_waitcnt vmcnt(0)
	global_store_dword v[0:1], v2, off
.LBB78_13:
	s_endpgm
	.section	.rodata,"a",@progbits
	.p2align	6, 0x0
	.amdhsa_kernel _ZL13mul_mat_vec_qIL9ggml_type39ELi3ELb0ELb0EEvPKvS2_PKi31ggml_cuda_mm_fusion_args_devicePfj15HIP_vector_typeIjLj3EEjjjS8_jjjS8_jjjj
		.amdhsa_group_segment_fixed_size 1536
		.amdhsa_private_segment_fixed_size 32
		.amdhsa_kernarg_size 144
		.amdhsa_user_sgpr_count 2
		.amdhsa_user_sgpr_dispatch_ptr 0
		.amdhsa_user_sgpr_queue_ptr 0
		.amdhsa_user_sgpr_kernarg_segment_ptr 1
		.amdhsa_user_sgpr_dispatch_id 0
		.amdhsa_user_sgpr_kernarg_preload_length 0
		.amdhsa_user_sgpr_kernarg_preload_offset 0
		.amdhsa_user_sgpr_private_segment_size 0
		.amdhsa_uses_dynamic_stack 0
		.amdhsa_enable_private_segment 1
		.amdhsa_system_sgpr_workgroup_id_x 1
		.amdhsa_system_sgpr_workgroup_id_y 1
		.amdhsa_system_sgpr_workgroup_id_z 1
		.amdhsa_system_sgpr_workgroup_info 0
		.amdhsa_system_vgpr_workitem_id 1
		.amdhsa_next_free_vgpr 63
		.amdhsa_next_free_sgpr 27
		.amdhsa_accum_offset 64
		.amdhsa_reserve_vcc 1
		.amdhsa_float_round_mode_32 0
		.amdhsa_float_round_mode_16_64 0
		.amdhsa_float_denorm_mode_32 3
		.amdhsa_float_denorm_mode_16_64 3
		.amdhsa_dx10_clamp 1
		.amdhsa_ieee_mode 1
		.amdhsa_fp16_overflow 0
		.amdhsa_tg_split 0
		.amdhsa_exception_fp_ieee_invalid_op 0
		.amdhsa_exception_fp_denorm_src 0
		.amdhsa_exception_fp_ieee_div_zero 0
		.amdhsa_exception_fp_ieee_overflow 0
		.amdhsa_exception_fp_ieee_underflow 0
		.amdhsa_exception_fp_ieee_inexact 0
		.amdhsa_exception_int_div_zero 0
	.end_amdhsa_kernel
	.section	.text._ZL13mul_mat_vec_qIL9ggml_type39ELi3ELb0ELb0EEvPKvS2_PKi31ggml_cuda_mm_fusion_args_devicePfj15HIP_vector_typeIjLj3EEjjjS8_jjjS8_jjjj,"axG",@progbits,_ZL13mul_mat_vec_qIL9ggml_type39ELi3ELb0ELb0EEvPKvS2_PKi31ggml_cuda_mm_fusion_args_devicePfj15HIP_vector_typeIjLj3EEjjjS8_jjjS8_jjjj,comdat
.Lfunc_end78:
	.size	_ZL13mul_mat_vec_qIL9ggml_type39ELi3ELb0ELb0EEvPKvS2_PKi31ggml_cuda_mm_fusion_args_devicePfj15HIP_vector_typeIjLj3EEjjjS8_jjjS8_jjjj, .Lfunc_end78-_ZL13mul_mat_vec_qIL9ggml_type39ELi3ELb0ELb0EEvPKvS2_PKi31ggml_cuda_mm_fusion_args_devicePfj15HIP_vector_typeIjLj3EEjjjS8_jjjS8_jjjj
                                        ; -- End function
	.section	.AMDGPU.csdata,"",@progbits
; Kernel info:
; codeLenInByte = 2380
; NumSgprs: 33
; NumVgprs: 63
; NumAgprs: 0
; TotalNumVgprs: 63
; ScratchSize: 32
; MemoryBound: 0
; FloatMode: 240
; IeeeMode: 1
; LDSByteSize: 1536 bytes/workgroup (compile time only)
; SGPRBlocks: 4
; VGPRBlocks: 7
; NumSGPRsForWavesPerEU: 33
; NumVGPRsForWavesPerEU: 63
; AccumOffset: 64
; Occupancy: 8
; WaveLimiterHint : 0
; COMPUTE_PGM_RSRC2:SCRATCH_EN: 1
; COMPUTE_PGM_RSRC2:USER_SGPR: 2
; COMPUTE_PGM_RSRC2:TRAP_HANDLER: 0
; COMPUTE_PGM_RSRC2:TGID_X_EN: 1
; COMPUTE_PGM_RSRC2:TGID_Y_EN: 1
; COMPUTE_PGM_RSRC2:TGID_Z_EN: 1
; COMPUTE_PGM_RSRC2:TIDIG_COMP_CNT: 1
; COMPUTE_PGM_RSRC3_GFX90A:ACCUM_OFFSET: 15
; COMPUTE_PGM_RSRC3_GFX90A:TG_SPLIT: 0
	.section	.text._ZL13mul_mat_vec_qIL9ggml_type39ELi4ELb0ELb0EEvPKvS2_PKi31ggml_cuda_mm_fusion_args_devicePfj15HIP_vector_typeIjLj3EEjjjS8_jjjS8_jjjj,"axG",@progbits,_ZL13mul_mat_vec_qIL9ggml_type39ELi4ELb0ELb0EEvPKvS2_PKi31ggml_cuda_mm_fusion_args_devicePfj15HIP_vector_typeIjLj3EEjjjS8_jjjS8_jjjj,comdat
	.globl	_ZL13mul_mat_vec_qIL9ggml_type39ELi4ELb0ELb0EEvPKvS2_PKi31ggml_cuda_mm_fusion_args_devicePfj15HIP_vector_typeIjLj3EEjjjS8_jjjS8_jjjj ; -- Begin function _ZL13mul_mat_vec_qIL9ggml_type39ELi4ELb0ELb0EEvPKvS2_PKi31ggml_cuda_mm_fusion_args_devicePfj15HIP_vector_typeIjLj3EEjjjS8_jjjS8_jjjj
	.p2align	8
	.type	_ZL13mul_mat_vec_qIL9ggml_type39ELi4ELb0ELb0EEvPKvS2_PKi31ggml_cuda_mm_fusion_args_devicePfj15HIP_vector_typeIjLj3EEjjjS8_jjjS8_jjjj,@function
_ZL13mul_mat_vec_qIL9ggml_type39ELi4ELb0ELb0EEvPKvS2_PKi31ggml_cuda_mm_fusion_args_devicePfj15HIP_vector_typeIjLj3EEjjjS8_jjjS8_jjjj: ; @_ZL13mul_mat_vec_qIL9ggml_type39ELi4ELb0ELb0EEvPKvS2_PKi31ggml_cuda_mm_fusion_args_devicePfj15HIP_vector_typeIjLj3EEjjjS8_jjjS8_jjjj
; %bb.0:
	s_load_dword s20, s[0:1], 0x40
	s_load_dwordx4 s[8:11], s[0:1], 0x50
	s_load_dword s7, s[0:1], 0x60
	s_load_dwordx4 s[12:15], s[0:1], 0x68
	;; [unrolled: 2-line block ×3, first 2 shown]
	s_lshl_b32 s5, s2, 1
	s_waitcnt lgkmcnt(0)
	s_lshr_b32 s2, s20, 5
	s_mov_b32 s20, 0
	s_mov_b32 s21, s20
	v_bfe_u32 v9, v0, 10, 10
	v_and_b32_e32 v8, 0x3ff, v0
	s_mov_b32 s22, s20
	s_mov_b32 s23, s20
	v_mov_b64_e32 v[0:1], s[20:21]
	v_lshlrev_b32_e32 v14, 6, v9
	v_mov_b64_e32 v[2:3], s[22:23]
	scratch_store_dwordx4 off, v[0:3], off offset:16
	scratch_store_dwordx4 off, v[0:3], off
	v_mov_b32_e32 v6, 0
	v_mov_b32_e32 v7, v6
	v_add_u16_e32 v0, v14, v8
	v_lshrrev_b16_e32 v18, 1, v0
	v_cmp_gt_u32_e32 vcc, s2, v18
	v_mov_b32_e32 v0, 0
	v_mov_b32_e32 v1, 0
	;; [unrolled: 1-line block ×6, first 2 shown]
	s_and_saveexec_b64 s[24:25], vcc
	s_cbranch_execz .LBB79_4
; %bb.1:
	s_load_dwordx4 s[20:23], s[0:1], 0x0
	s_mul_i32 s17, s4, s17
	s_mul_hi_u32 s19, s17, 36
	s_mul_i32 s17, s17, 36
	s_mul_i32 s13, s3, s13
	s_waitcnt lgkmcnt(0)
	s_add_u32 s17, s22, s17
	s_addc_u32 s19, s23, s19
	s_mul_hi_u32 s23, s13, 36
	s_mul_i32 s13, s13, 36
	s_add_u32 s22, s17, s13
	s_mul_hi_u32 s11, s11, s3
	s_addc_u32 s23, s19, s23
	s_add_i32 s11, s3, s11
	s_lshr_b32 s7, s11, s7
	s_mul_i32 s12, s7, s12
	s_mul_hi_u32 s7, s15, s4
	v_and_b32_e32 v1, 1, v8
	v_xor_b32_e32 v2, v14, v8
	s_add_i32 s7, s4, s7
	v_lshlrev_b32_e32 v12, 3, v1
	v_and_b32_e32 v1, v14, v8
	v_lshrrev_b16_e32 v2, 1, v2
	s_lshr_b32 s6, s7, s6
	v_add_u16_e32 v1, v1, v2
	s_mul_i32 s13, s6, s16
	v_mad_u64_u32 v[14:15], s[6:7], v1, 36, s[22:23]
	v_lshlrev_b32_e32 v0, 1, v8
	s_add_i32 s6, s5, 1
	v_and_b32_e32 v0, 2, v0
	v_mov_b32_e32 v11, 0
	s_mul_i32 s16, s5, s8
	s_add_i32 s19, s13, s12
	s_mul_i32 s6, s8, s6
	v_lshlrev_b32_e32 v10, 2, v0
	v_mov_b32_e32 v13, v11
	s_lshl_b32 s11, s9, 1
	s_mul_i32 s15, s9, 3
	s_add_i32 s8, s19, s6
	s_add_i32 s19, s19, s16
	s_mov_b64 s[12:13], 0
	s_mov_b32 s26, 0xc080604
	v_mov_b32_e32 v19, 0x3020100
	s_mov_b32 s27, 0xf4f8fafc
	v_mov_b32_e32 v20, 0xfdfeff00
	v_mov_b32_e32 v21, 0x200000
	v_lshlrev_b32_e32 v16, 2, v0
	v_mov_b32_e32 v17, v11
	s_mov_b64 s[16:17], 0x900
	v_mov_b32_e32 v0, v11
	v_mov_b32_e32 v1, v11
	;; [unrolled: 1-line block ×8, first 2 shown]
.LBB79_2:                               ; =>This Inner Loop Header: Depth=1
	v_add_u32_e32 v28, s19, v18
	v_lshl_add_u64 v[22:23], v[14:15], 0, v[12:13]
	v_add_u32_e32 v29, s8, v18
	global_load_dword v48, v[14:15], off
	v_add_u32_e32 v30, s9, v18
	v_add_u32_e32 v32, s11, v18
	;; [unrolled: 1-line block ×3, first 2 shown]
	global_load_dwordx2 v[24:25], v[22:23], off offset:4
	global_load_dwordx2 v[26:27], v[22:23], off offset:20
	v_mad_i64_i32 v[22:23], s[6:7], v28, 17, s[20:21]
	v_mad_i64_i32 v[28:29], s[6:7], v29, 17, s[20:21]
	v_mad_u64_u32 v[30:31], s[6:7], v30, 36, s[22:23]
	v_mad_u64_u32 v[32:33], s[6:7], v32, 36, s[22:23]
	;; [unrolled: 1-line block ×3, first 2 shown]
	v_lshl_add_u64 v[36:37], v[22:23], 0, v[10:11]
	v_lshl_add_u64 v[38:39], v[28:29], 0, v[10:11]
	;; [unrolled: 1-line block ×5, first 2 shown]
	global_load_dword v57, v[36:37], off offset:1
	global_load_dword v58, v[36:37], off offset:5
	;; [unrolled: 1-line block ×3, first 2 shown]
	global_load_ubyte v60, v[28:29], off
	global_load_ubyte v61, v[22:23], off
	global_load_dword v62, v[38:39], off offset:1
	global_load_dwordx2 v[46:47], v[40:41], off offset:20
	global_load_dword v63, v[32:33], off
                                        ; kill: killed $vgpr36_vgpr37
                                        ; kill: killed $vgpr28_vgpr29
                                        ; kill: killed $vgpr22_vgpr23
                                        ; kill: killed $vgpr32_vgpr33
                                        ; kill: killed $vgpr38_vgpr39
	s_nop 0
	global_load_dword v39, v[30:31], off
	global_load_dwordx2 v[22:23], v[40:41], off offset:4
	global_load_dwordx2 v[28:29], v[42:43], off offset:4
	;; [unrolled: 1-line block ×4, first 2 shown]
	global_load_dword v64, v[34:35], off
                                        ; kill: killed $vgpr30_vgpr31
                                        ; kill: killed $vgpr42_vgpr43
                                        ; kill: killed $vgpr40_vgpr41
                                        ; kill: killed $vgpr34_vgpr35
	global_load_dwordx2 v[30:31], v[44:45], off offset:20
	v_add_u32_e32 v18, 64, v18
	v_mov_b32_e32 v49, 0
	v_mov_b32_e32 v50, 0
	;; [unrolled: 1-line block ×8, first 2 shown]
	v_cmp_le_u32_e32 vcc, s2, v18
	s_or_b64 s[12:13], vcc, s[12:13]
	v_lshl_add_u64 v[14:15], v[14:15], 0, s[16:17]
	s_waitcnt vmcnt(14)
	v_lshrrev_b32_e32 v41, 1, v57
	v_and_b32_e32 v40, 0x7070707, v57
	v_and_b32_e32 v41, 0x4040404, v41
	v_ashrrev_i32_e32 v38, 4, v57
	s_waitcnt vmcnt(13)
	v_lshrrev_b32_e32 v44, 1, v58
	v_perm_b32 v57, s26, v19, v40
	v_perm_b32 v40, s27, v20, v40
	v_or_b32_e32 v41, 0x3020100, v41
	v_and_b32_e32 v43, 0x7070707, v58
	v_perm_b32 v41, v40, v57, v41
	s_waitcnt vmcnt(9)
	v_lshrrev_b32_e32 v57, 1, v62
	v_and_b32_e32 v44, 0x4040404, v44
	v_ashrrev_i32_e32 v42, 4, v58
	v_and_b32_e32 v40, 0x7070707, v62
	v_perm_b32 v58, s26, v19, v43
	v_perm_b32 v43, s27, v20, v43
	v_or_b32_e32 v44, 0x3020100, v44
	v_and_b32_e32 v57, 0x4040404, v57
	v_perm_b32 v44, v43, v58, v44
	v_perm_b32 v58, s26, v19, v40
	;; [unrolled: 1-line block ×3, first 2 shown]
	v_or_b32_e32 v57, 0x3020100, v57
	v_perm_b32 v57, v40, v58, v57
	v_lshrrev_b32_e32 v58, 1, v59
	v_and_b32_e32 v40, 0x7070707, v59
	v_and_b32_e32 v58, 0x4040404, v58
	v_ashrrev_i32_e32 v43, 4, v59
	v_perm_b32 v59, s26, v19, v40
	v_perm_b32 v40, s27, v20, v40
	v_or_b32_e32 v58, 0x3020100, v58
	v_perm_b32 v58, v40, v59, v58
	v_and_b32_e32 v40, 0x7070707, v38
	v_lshrrev_b32_e32 v38, 1, v38
	v_and_b32_e32 v38, 0x4040404, v38
	v_perm_b32 v59, s26, v19, v40
	v_perm_b32 v40, s27, v20, v40
	v_or_b32_e32 v38, 0x3020100, v38
	v_perm_b32 v59, v40, v59, v38
	v_lshrrev_b32_e32 v40, 1, v42
	v_and_b32_e32 v38, 0x7070707, v42
	v_and_b32_e32 v40, 0x4040404, v40
	v_ashrrev_i32_e32 v45, 4, v62
	v_perm_b32 v42, s26, v19, v38
	v_perm_b32 v38, s27, v20, v38
	v_or_b32_e32 v40, 0x3020100, v40
	v_lshlrev_b32_e32 v35, 23, v60
	v_cmp_ne_u16_e64 s[6:7], 0, v60
	v_perm_b32 v60, v38, v42, v40
	v_lshrrev_b32_e32 v40, 1, v45
	v_and_b32_e32 v38, 0x7070707, v45
	v_and_b32_e32 v40, 0x4040404, v40
	v_perm_b32 v42, s26, v19, v38
	v_perm_b32 v38, s27, v20, v38
	v_or_b32_e32 v40, 0x3020100, v40
	v_perm_b32 v45, v38, v42, v40
	v_lshrrev_b32_e32 v40, 1, v43
	v_and_b32_e32 v38, 0x7070707, v43
	v_and_b32_e32 v40, 0x4040404, v40
	v_perm_b32 v42, s26, v19, v38
	v_perm_b32 v38, s27, v20, v38
	v_or_b32_e32 v40, 0x3020100, v40
	v_lshlrev_b32_e32 v34, 23, v61
	v_cmp_ne_u16_e32 vcc, 0, v61
	v_perm_b32 v61, v38, v42, v40
	v_cvt_f32_f16_e32 v38, v48
	s_waitcnt vmcnt(6)
	v_cvt_f32_f16_e32 v40, v39
	v_dot4c_i32_i8_e32 v49, v41, v24
	s_waitcnt vmcnt(5)
	v_dot4c_i32_i8_e32 v51, v41, v22
	s_waitcnt vmcnt(4)
	;; [unrolled: 2-line block ×3, first 2 shown]
	v_dot4c_i32_i8_e32 v55, v41, v32
	v_cvt_f32_f16_e32 v42, v63
	v_dot4c_i32_i8_e32 v50, v57, v24
	v_dot4c_i32_i8_e32 v52, v57, v22
	;; [unrolled: 1-line block ×4, first 2 shown]
	s_waitcnt vmcnt(1)
	v_cvt_f32_f16_e32 v22, v64
	v_dot4c_i32_i8_e32 v49, v59, v26
	v_dot4c_i32_i8_e32 v50, v45, v26
	;; [unrolled: 1-line block ×6, first 2 shown]
	s_waitcnt vmcnt(0)
	v_dot4c_i32_i8_e32 v55, v59, v30
	v_dot4c_i32_i8_e32 v56, v45, v30
	v_pk_mul_f32 v[34:35], v[34:35], 0.5 op_sel_hi:[1,0]
	v_dot4c_i32_i8_e32 v49, v44, v25
	v_dot4c_i32_i8_e32 v50, v58, v25
	;; [unrolled: 1-line block ×8, first 2 shown]
	v_cndmask_b32_e64 v35, v21, v35, s[6:7]
	v_cndmask_b32_e32 v34, v21, v34, vcc
	v_dot4c_i32_i8_e32 v49, v60, v27
	v_dot4c_i32_i8_e32 v50, v61, v27
	;; [unrolled: 1-line block ×8, first 2 shown]
	v_pk_mul_f32 v[38:39], v[34:35], v[38:39] op_sel_hi:[1,0]
	v_pk_mul_f32 v[40:41], v[34:35], v[40:41] op_sel_hi:[1,0]
	;; [unrolled: 1-line block ×4, first 2 shown]
	v_cvt_f32_i32_e32 v23, v50
	v_cvt_f32_i32_e32 v22, v49
	;; [unrolled: 1-line block ×8, first 2 shown]
	v_pk_fma_f32 v[0:1], v[38:39], v[22:23], v[0:1]
	v_pk_fma_f32 v[2:3], v[40:41], v[24:25], v[2:3]
	;; [unrolled: 1-line block ×4, first 2 shown]
	s_andn2_b64 exec, exec, s[12:13]
	s_cbranch_execnz .LBB79_2
; %bb.3:
	s_or_b64 exec, exec, s[12:13]
	scratch_store_dwordx4 off, v[0:3], off
	scratch_store_dwordx4 off, v[4:7], off offset:16
.LBB79_4:
	s_or_b64 exec, exec, s[24:25]
	v_cmp_eq_u32_e32 vcc, 0, v9
	v_cmp_ne_u32_e64 s[6:7], 0, v9
	v_lshlrev_b32_e32 v10, 2, v8
	s_and_saveexec_b64 s[8:9], s[6:7]
	s_cbranch_execz .LBB79_6
; %bb.5:
	v_lshlrev_b32_e32 v9, 11, v9
	s_movk_i32 s2, 0xf800
	v_add3_u32 v9, v9, v10, s2
	ds_write2st64_b32 v9, v0, v1 offset1:1
	ds_write2st64_b32 v9, v2, v3 offset0:2 offset1:3
	ds_write2st64_b32 v9, v4, v5 offset0:4 offset1:5
	;; [unrolled: 1-line block ×3, first 2 shown]
.LBB79_6:
	s_or_b64 exec, exec, s[8:9]
	s_waitcnt lgkmcnt(0)
	s_barrier
	s_and_saveexec_b64 s[6:7], vcc
	s_cbranch_execz .LBB79_15
; %bb.7:
	scratch_load_dwordx2 v[2:3], off, off
	v_mbcnt_lo_u32_b32 v0, -1, 0
	ds_read2st64_b32 v[4:5], v10 offset1:1
	v_mbcnt_hi_u32_b32 v9, -1, v0
	v_and_b32_e32 v0, 64, v9
	v_xor_b32_e32 v1, 32, v9
	v_add_u32_e32 v14, 64, v0
	v_cmp_lt_i32_e32 vcc, v1, v14
	v_xor_b32_e32 v6, 16, v9
	v_xor_b32_e32 v11, 8, v9
	v_cndmask_b32_e32 v0, v9, v1, vcc
	v_lshlrev_b32_e32 v0, 2, v0
	v_cmp_lt_i32_e32 vcc, v6, v14
	v_xor_b32_e32 v12, 4, v9
	v_xor_b32_e32 v15, 2, v9
	v_cndmask_b32_e32 v1, v9, v6, vcc
	v_lshlrev_b32_e32 v1, 2, v1
	v_cmp_lt_i32_e32 vcc, v11, v14
	s_load_dwordx2 s[0:1], s[0:1], 0x38
	s_mul_i32 s2, s3, s14
	s_mul_i32 s4, s4, s18
	s_add_i32 s2, s2, s5
	s_mov_b32 s3, 0
	s_add_i32 s2, s2, s4
	s_lshl_b64 s[2:3], s[2:3], 2
	s_waitcnt lgkmcnt(0)
	s_add_u32 s2, s0, s2
	s_addc_u32 s3, s1, s3
	s_waitcnt vmcnt(0)
	v_pk_add_f32 v[2:3], v[4:5], v[2:3]
	ds_bpermute_b32 v4, v0, v2
	ds_bpermute_b32 v5, v0, v3
	s_waitcnt lgkmcnt(0)
	v_pk_add_f32 v[4:5], v[2:3], v[4:5]
	ds_bpermute_b32 v6, v1, v4
	ds_bpermute_b32 v7, v1, v5
	v_cndmask_b32_e32 v2, v9, v11, vcc
	v_lshlrev_b32_e32 v2, 2, v2
	v_cmp_lt_i32_e32 vcc, v12, v14
	v_xor_b32_e32 v11, 1, v9
	s_waitcnt lgkmcnt(0)
	v_pk_add_f32 v[4:5], v[4:5], v[6:7]
	ds_bpermute_b32 v6, v2, v4
	ds_bpermute_b32 v7, v2, v5
	v_cndmask_b32_e32 v3, v9, v12, vcc
	v_lshlrev_b32_e32 v3, 2, v3
	v_cmp_lt_i32_e32 vcc, v15, v14
	s_waitcnt lgkmcnt(0)
	v_pk_add_f32 v[6:7], v[4:5], v[6:7]
	ds_bpermute_b32 v12, v3, v6
	ds_bpermute_b32 v13, v3, v7
	v_cndmask_b32_e32 v4, v9, v15, vcc
	v_lshlrev_b32_e32 v4, 2, v4
	v_cmp_lt_i32_e32 vcc, v11, v14
	s_waitcnt lgkmcnt(0)
	v_pk_add_f32 v[6:7], v[6:7], v[12:13]
	ds_bpermute_b32 v12, v4, v6
	ds_bpermute_b32 v13, v4, v7
	v_cndmask_b32_e32 v5, v9, v11, vcc
	v_lshlrev_b32_e32 v5, 2, v5
	v_or_b32_e32 v9, s5, v8
	v_cmp_gt_u32_e32 vcc, 2, v8
	s_waitcnt lgkmcnt(0)
	v_pk_add_f32 v[6:7], v[6:7], v[12:13]
	ds_bpermute_b32 v12, v5, v6
	ds_bpermute_b32 v13, v5, v7
	v_cmp_gt_u32_e64 s[0:1], s10, v9
	s_and_b64 s[0:1], vcc, s[0:1]
	s_waitcnt lgkmcnt(0)
	v_pk_add_f32 v[6:7], v[6:7], v[12:13]
	scratch_store_dwordx2 off, v[6:7], off
	s_and_saveexec_b64 s[4:5], s[0:1]
	s_cbranch_execz .LBB79_9
; %bb.8:
	scratch_load_dword v6, v10, off
	s_waitcnt vmcnt(0)
	global_store_dword v10, v6, s[2:3]
.LBB79_9:
	s_or_b64 exec, exec, s[4:5]
	scratch_load_dwordx2 v[6:7], off, off offset:8
	ds_read2st64_b32 v[12:13], v10 offset0:2 offset1:3
	s_waitcnt vmcnt(0) lgkmcnt(0)
	v_pk_add_f32 v[6:7], v[12:13], v[6:7]
	ds_bpermute_b32 v12, v0, v6
	ds_bpermute_b32 v13, v0, v7
	s_waitcnt lgkmcnt(0)
	v_pk_add_f32 v[6:7], v[6:7], v[12:13]
	ds_bpermute_b32 v12, v1, v6
	ds_bpermute_b32 v13, v1, v7
	s_waitcnt lgkmcnt(0)
	;; [unrolled: 4-line block ×6, first 2 shown]
	v_pk_add_f32 v[6:7], v[6:7], v[12:13]
	scratch_store_dwordx2 off, v[6:7], off offset:8
	s_and_saveexec_b64 s[4:5], s[0:1]
	s_cbranch_execz .LBB79_11
; %bb.10:
	scratch_load_dword v9, v10, off offset:8
	v_add_u32_e32 v6, s10, v8
	v_mov_b32_e32 v7, 0
	v_lshl_add_u64 v[6:7], v[6:7], 2, s[2:3]
	s_waitcnt vmcnt(0)
	global_store_dword v[6:7], v9, off
.LBB79_11:
	s_or_b64 exec, exec, s[4:5]
	scratch_load_dwordx2 v[6:7], off, off offset:16
	ds_read2st64_b32 v[12:13], v10 offset0:4 offset1:5
	s_waitcnt vmcnt(0) lgkmcnt(0)
	v_pk_add_f32 v[6:7], v[12:13], v[6:7]
	ds_bpermute_b32 v12, v0, v6
	ds_bpermute_b32 v13, v0, v7
	s_waitcnt lgkmcnt(0)
	v_pk_add_f32 v[6:7], v[6:7], v[12:13]
	ds_bpermute_b32 v12, v1, v6
	ds_bpermute_b32 v13, v1, v7
	s_waitcnt lgkmcnt(0)
	;; [unrolled: 4-line block ×6, first 2 shown]
	v_pk_add_f32 v[6:7], v[6:7], v[12:13]
	scratch_store_dwordx2 off, v[6:7], off offset:16
	s_and_saveexec_b64 s[4:5], s[0:1]
	s_cbranch_execz .LBB79_13
; %bb.12:
	scratch_load_dword v9, v10, off offset:16
	v_lshl_or_b32 v6, s10, 1, v8
	v_mov_b32_e32 v7, 0
	v_lshl_add_u64 v[6:7], v[6:7], 2, s[2:3]
	s_waitcnt vmcnt(0)
	global_store_dword v[6:7], v9, off
.LBB79_13:
	s_or_b64 exec, exec, s[4:5]
	scratch_load_dwordx2 v[6:7], off, off offset:24
	ds_read2st64_b32 v[12:13], v10 offset0:6 offset1:7
	s_waitcnt vmcnt(0) lgkmcnt(0)
	v_pk_add_f32 v[6:7], v[12:13], v[6:7]
	ds_bpermute_b32 v12, v0, v6
	ds_bpermute_b32 v13, v0, v7
	s_waitcnt lgkmcnt(0)
	v_pk_add_f32 v[6:7], v[6:7], v[12:13]
	ds_bpermute_b32 v0, v1, v6
	ds_bpermute_b32 v1, v1, v7
	s_waitcnt lgkmcnt(0)
	;; [unrolled: 4-line block ×6, first 2 shown]
	v_pk_add_f32 v[0:1], v[0:1], v[2:3]
	scratch_store_dwordx2 off, v[0:1], off offset:24
	s_and_b64 exec, exec, s[0:1]
	s_cbranch_execz .LBB79_15
; %bb.14:
	scratch_load_dword v2, v10, off offset:24
	v_mad_u64_u32 v[0:1], s[0:1], s10, 3, v[8:9]
	v_mov_b32_e32 v1, 0
	v_lshl_add_u64 v[0:1], v[0:1], 2, s[2:3]
	s_waitcnt vmcnt(0)
	global_store_dword v[0:1], v2, off
.LBB79_15:
	s_endpgm
	.section	.rodata,"a",@progbits
	.p2align	6, 0x0
	.amdhsa_kernel _ZL13mul_mat_vec_qIL9ggml_type39ELi4ELb0ELb0EEvPKvS2_PKi31ggml_cuda_mm_fusion_args_devicePfj15HIP_vector_typeIjLj3EEjjjS8_jjjS8_jjjj
		.amdhsa_group_segment_fixed_size 2048
		.amdhsa_private_segment_fixed_size 48
		.amdhsa_kernarg_size 144
		.amdhsa_user_sgpr_count 2
		.amdhsa_user_sgpr_dispatch_ptr 0
		.amdhsa_user_sgpr_queue_ptr 0
		.amdhsa_user_sgpr_kernarg_segment_ptr 1
		.amdhsa_user_sgpr_dispatch_id 0
		.amdhsa_user_sgpr_kernarg_preload_length 0
		.amdhsa_user_sgpr_kernarg_preload_offset 0
		.amdhsa_user_sgpr_private_segment_size 0
		.amdhsa_uses_dynamic_stack 0
		.amdhsa_enable_private_segment 1
		.amdhsa_system_sgpr_workgroup_id_x 1
		.amdhsa_system_sgpr_workgroup_id_y 1
		.amdhsa_system_sgpr_workgroup_id_z 1
		.amdhsa_system_sgpr_workgroup_info 0
		.amdhsa_system_vgpr_workitem_id 1
		.amdhsa_next_free_vgpr 65
		.amdhsa_next_free_sgpr 28
		.amdhsa_accum_offset 68
		.amdhsa_reserve_vcc 1
		.amdhsa_float_round_mode_32 0
		.amdhsa_float_round_mode_16_64 0
		.amdhsa_float_denorm_mode_32 3
		.amdhsa_float_denorm_mode_16_64 3
		.amdhsa_dx10_clamp 1
		.amdhsa_ieee_mode 1
		.amdhsa_fp16_overflow 0
		.amdhsa_tg_split 0
		.amdhsa_exception_fp_ieee_invalid_op 0
		.amdhsa_exception_fp_denorm_src 0
		.amdhsa_exception_fp_ieee_div_zero 0
		.amdhsa_exception_fp_ieee_overflow 0
		.amdhsa_exception_fp_ieee_underflow 0
		.amdhsa_exception_fp_ieee_inexact 0
		.amdhsa_exception_int_div_zero 0
	.end_amdhsa_kernel
	.section	.text._ZL13mul_mat_vec_qIL9ggml_type39ELi4ELb0ELb0EEvPKvS2_PKi31ggml_cuda_mm_fusion_args_devicePfj15HIP_vector_typeIjLj3EEjjjS8_jjjS8_jjjj,"axG",@progbits,_ZL13mul_mat_vec_qIL9ggml_type39ELi4ELb0ELb0EEvPKvS2_PKi31ggml_cuda_mm_fusion_args_devicePfj15HIP_vector_typeIjLj3EEjjjS8_jjjS8_jjjj,comdat
.Lfunc_end79:
	.size	_ZL13mul_mat_vec_qIL9ggml_type39ELi4ELb0ELb0EEvPKvS2_PKi31ggml_cuda_mm_fusion_args_devicePfj15HIP_vector_typeIjLj3EEjjjS8_jjjS8_jjjj, .Lfunc_end79-_ZL13mul_mat_vec_qIL9ggml_type39ELi4ELb0ELb0EEvPKvS2_PKi31ggml_cuda_mm_fusion_args_devicePfj15HIP_vector_typeIjLj3EEjjjS8_jjjS8_jjjj
                                        ; -- End function
	.section	.AMDGPU.csdata,"",@progbits
; Kernel info:
; codeLenInByte = 2796
; NumSgprs: 34
; NumVgprs: 65
; NumAgprs: 0
; TotalNumVgprs: 65
; ScratchSize: 48
; MemoryBound: 0
; FloatMode: 240
; IeeeMode: 1
; LDSByteSize: 2048 bytes/workgroup (compile time only)
; SGPRBlocks: 4
; VGPRBlocks: 8
; NumSGPRsForWavesPerEU: 34
; NumVGPRsForWavesPerEU: 65
; AccumOffset: 68
; Occupancy: 7
; WaveLimiterHint : 0
; COMPUTE_PGM_RSRC2:SCRATCH_EN: 1
; COMPUTE_PGM_RSRC2:USER_SGPR: 2
; COMPUTE_PGM_RSRC2:TRAP_HANDLER: 0
; COMPUTE_PGM_RSRC2:TGID_X_EN: 1
; COMPUTE_PGM_RSRC2:TGID_Y_EN: 1
; COMPUTE_PGM_RSRC2:TGID_Z_EN: 1
; COMPUTE_PGM_RSRC2:TIDIG_COMP_CNT: 1
; COMPUTE_PGM_RSRC3_GFX90A:ACCUM_OFFSET: 16
; COMPUTE_PGM_RSRC3_GFX90A:TG_SPLIT: 0
	.section	.text._ZL13mul_mat_vec_qIL9ggml_type39ELi5ELb0ELb0EEvPKvS2_PKi31ggml_cuda_mm_fusion_args_devicePfj15HIP_vector_typeIjLj3EEjjjS8_jjjS8_jjjj,"axG",@progbits,_ZL13mul_mat_vec_qIL9ggml_type39ELi5ELb0ELb0EEvPKvS2_PKi31ggml_cuda_mm_fusion_args_devicePfj15HIP_vector_typeIjLj3EEjjjS8_jjjS8_jjjj,comdat
	.globl	_ZL13mul_mat_vec_qIL9ggml_type39ELi5ELb0ELb0EEvPKvS2_PKi31ggml_cuda_mm_fusion_args_devicePfj15HIP_vector_typeIjLj3EEjjjS8_jjjS8_jjjj ; -- Begin function _ZL13mul_mat_vec_qIL9ggml_type39ELi5ELb0ELb0EEvPKvS2_PKi31ggml_cuda_mm_fusion_args_devicePfj15HIP_vector_typeIjLj3EEjjjS8_jjjS8_jjjj
	.p2align	8
	.type	_ZL13mul_mat_vec_qIL9ggml_type39ELi5ELb0ELb0EEvPKvS2_PKi31ggml_cuda_mm_fusion_args_devicePfj15HIP_vector_typeIjLj3EEjjjS8_jjjS8_jjjj,@function
_ZL13mul_mat_vec_qIL9ggml_type39ELi5ELb0ELb0EEvPKvS2_PKi31ggml_cuda_mm_fusion_args_devicePfj15HIP_vector_typeIjLj3EEjjjS8_jjjS8_jjjj: ; @_ZL13mul_mat_vec_qIL9ggml_type39ELi5ELb0ELb0EEvPKvS2_PKi31ggml_cuda_mm_fusion_args_devicePfj15HIP_vector_typeIjLj3EEjjjS8_jjjS8_jjjj
; %bb.0:
	v_bfe_u32 v9, v0, 10, 10
	v_lshlrev_b32_e32 v1, 6, v9
	v_and_b32_e32 v8, 0x3ff, v0
	s_mov_b32 s20, 0
	s_load_dword s5, s[0:1], 0x40
	s_load_dwordx4 s[8:11], s[0:1], 0x50
	s_load_dword s7, s[0:1], 0x60
	s_load_dwordx4 s[12:15], s[0:1], 0x68
	;; [unrolled: 2-line block ×3, first 2 shown]
	s_mov_b32 s21, s20
	v_add_u16_e32 v0, v1, v8
	s_waitcnt lgkmcnt(0)
	s_lshr_b32 s5, s5, 5
	v_mov_b32_e32 v11, 0
	s_mov_b32 s22, s20
	s_mov_b32 s23, s20
	v_mov_b64_e32 v[2:3], s[20:21]
	v_lshrrev_b16_e32 v22, 1, v0
	s_lshl_b32 s2, s2, 1
	v_mov_b32_e32 v10, v11
	v_mov_b64_e32 v[4:5], s[22:23]
	v_cmp_gt_u32_e32 vcc, s5, v22
	scratch_store_dwordx2 off, v[10:11], off offset:32
	scratch_store_dwordx4 off, v[2:5], off offset:16
	scratch_store_dwordx4 off, v[2:5], off
	s_and_saveexec_b64 s[24:25], vcc
	s_cbranch_execz .LBB80_4
; %bb.1:
	s_load_dwordx4 s[20:23], s[0:1], 0x0
	s_mul_i32 s17, s4, s17
	s_mul_hi_u32 s19, s17, 36
	s_mul_i32 s17, s17, 36
	s_mul_i32 s13, s3, s13
	s_waitcnt lgkmcnt(0)
	s_add_u32 s17, s22, s17
	s_addc_u32 s19, s23, s19
	s_mul_hi_u32 s23, s13, 36
	s_mul_i32 s13, s13, 36
	s_add_u32 s22, s17, s13
	s_mul_hi_u32 s11, s11, s3
	s_addc_u32 s23, s19, s23
	s_add_i32 s11, s3, s11
	s_lshr_b32 s7, s11, s7
	v_and_b32_e32 v2, 1, v8
	s_mul_i32 s12, s7, s12
	s_mul_hi_u32 s7, s15, s4
	v_lshlrev_b32_e32 v12, 3, v2
	v_and_b32_e32 v2, v1, v8
	v_xor_b32_e32 v1, v1, v8
	s_add_i32 s7, s4, s7
	v_lshrrev_b16_e32 v1, 1, v1
	s_lshr_b32 s6, s7, s6
	v_add_u16_e32 v1, v2, v1
	s_mul_i32 s13, s6, s16
	v_mad_u64_u32 v[14:15], s[6:7], v1, 36, s[22:23]
	v_lshlrev_b32_e32 v0, 1, v8
	s_add_i32 s6, s2, 1
	v_and_b32_e32 v0, 2, v0
	s_mul_i32 s16, s2, s8
	s_add_i32 s26, s13, s12
	s_mul_i32 s6, s8, s6
	v_lshlrev_b32_e32 v10, 2, v0
	v_mov_b32_e32 v13, v11
	s_lshl_b32 s11, s9, 1
	s_mul_i32 s15, s9, 3
	s_lshl_b32 s19, s9, 2
	s_add_i32 s8, s26, s6
	s_add_i32 s26, s26, s16
	s_mov_b64 s[12:13], 0
	s_mov_b32 s27, 0xc080604
	v_mov_b32_e32 v23, 0x3020100
	s_mov_b32 s28, 0xf4f8fafc
	v_mov_b32_e32 v24, 0xfdfeff00
	v_mov_b32_e32 v25, 0x200000
	v_lshlrev_b32_e32 v18, 2, v0
	v_mov_b32_e32 v19, v11
	s_mov_b64 s[16:17], 0x480
	v_mov_b32_e32 v4, v11
	v_mov_b32_e32 v5, v11
	;; [unrolled: 1-line block ×10, first 2 shown]
.LBB80_2:                               ; =>This Inner Loop Header: Depth=1
	global_load_dword v50, v[14:15], off
	v_add_u32_e32 v26, s26, v22
	v_add_u32_e32 v28, s8, v22
	;; [unrolled: 1-line block ×4, first 2 shown]
	v_mad_i64_i32 v[26:27], s[6:7], v26, 17, s[20:21]
	v_add_u32_e32 v32, s11, v22
	v_add_u32_e32 v34, s15, v22
	v_mad_i64_i32 v[28:29], s[6:7], v28, 17, s[20:21]
	v_mad_u64_u32 v[30:31], s[6:7], v30, 36, s[22:23]
	v_mad_u64_u32 v[36:37], s[6:7], v36, 36, s[22:23]
	v_lshl_add_u64 v[38:39], v[26:27], 0, v[10:11]
	v_mad_u64_u32 v[32:33], s[6:7], v32, 36, s[22:23]
	v_mad_u64_u32 v[34:35], s[6:7], v34, 36, s[22:23]
	v_lshl_add_u64 v[40:41], v[28:29], 0, v[10:11]
	v_lshl_add_u64 v[42:43], v[30:31], 0, v[18:19]
	;; [unrolled: 1-line block ×3, first 2 shown]
	global_load_dword v51, v[38:39], off offset:1
	global_load_dword v56, v[38:39], off offset:5
	;; [unrolled: 1-line block ×4, first 2 shown]
	global_load_ubyte v59, v[28:29], off
	global_load_ubyte v60, v[26:27], off
	global_load_dwordx2 v[46:47], v[42:43], off offset:20
	global_load_dword v61, v[32:33], off
	global_load_dword v62, v[30:31], off
	;; [unrolled: 1-line block ×3, first 2 shown]
	global_load_dwordx2 v[48:49], v[44:45], off offset:20
                                        ; kill: killed $vgpr40_vgpr41
                                        ; kill: killed $vgpr38_vgpr39
                                        ; kill: killed $vgpr30_vgpr31
                                        ; kill: killed $vgpr28_vgpr29
                                        ; kill: killed $vgpr26_vgpr27
	global_load_dword v27, v[36:37], off
	v_lshl_add_u64 v[20:21], v[14:15], 0, v[12:13]
	v_mov_b32_e32 v52, 0
	v_mov_b32_e32 v53, 0
	;; [unrolled: 1-line block ×4, first 2 shown]
	v_add_u32_e32 v22, 32, v22
	v_lshl_add_u64 v[14:15], v[14:15], 0, s[16:17]
	s_waitcnt vmcnt(12)
	v_cvt_f32_f16_e32 v26, v50
	s_waitcnt vmcnt(11)
	v_lshrrev_b32_e32 v36, 1, v51
	v_and_b32_e32 v30, 0x7070707, v51
	v_and_b32_e32 v36, 0x4040404, v36
	s_waitcnt vmcnt(10)
	v_ashrrev_i32_e32 v37, 4, v56
	v_and_b32_e32 v38, 0x7070707, v56
	v_lshrrev_b32_e32 v39, 1, v56
	v_perm_b32 v56, s27, v23, v30
	v_perm_b32 v30, s28, v24, v30
	v_or_b32_e32 v36, 0x3020100, v36
	s_waitcnt vmcnt(9)
	v_lshrrev_b32_e32 v50, 1, v57
	v_perm_b32 v56, v30, v56, v36
	v_perm_b32 v30, s27, v23, v38
	;; [unrolled: 1-line block ×3, first 2 shown]
	v_and_b32_e32 v38, 0x4040404, v39
	v_ashrrev_i32_e32 v31, 4, v51
	v_ashrrev_i32_e32 v40, 4, v57
	v_and_b32_e32 v41, 0x7070707, v57
	s_waitcnt vmcnt(8)
	v_ashrrev_i32_e32 v51, 4, v58
	v_and_b32_e32 v57, 0x7070707, v58
	v_lshrrev_b32_e32 v58, 1, v58
	v_or_b32_e32 v38, 0x3020100, v38
	v_and_b32_e32 v39, 0x4040404, v50
	s_waitcnt vmcnt(7)
	v_lshlrev_b32_e32 v29, 23, v59
	v_cmp_ne_u16_e64 s[6:7], 0, v59
	v_perm_b32 v59, v36, v30, v38
	v_perm_b32 v36, s27, v23, v41
	;; [unrolled: 1-line block ×3, first 2 shown]
	v_or_b32_e32 v39, 0x3020100, v39
	v_and_b32_e32 v41, 0x4040404, v58
	s_waitcnt vmcnt(6)
	v_lshlrev_b32_e32 v28, 23, v60
	v_cmp_ne_u16_e32 vcc, 0, v60
	v_perm_b32 v60, v38, v36, v39
	v_perm_b32 v38, s27, v23, v57
	;; [unrolled: 1-line block ×3, first 2 shown]
	v_or_b32_e32 v41, 0x3020100, v41
	v_perm_b32 v57, v39, v38, v41
	v_and_b32_e32 v38, 0x7070707, v31
	v_lshrrev_b32_e32 v31, 1, v31
	v_and_b32_e32 v31, 0x4040404, v31
	v_perm_b32 v39, s27, v23, v38
	v_perm_b32 v38, s28, v24, v38
	v_or_b32_e32 v31, 0x3020100, v31
	v_perm_b32 v58, v38, v39, v31
	v_and_b32_e32 v31, 0x7070707, v37
	v_lshrrev_b32_e32 v37, 1, v37
	v_and_b32_e32 v37, 0x4040404, v37
	v_perm_b32 v38, s27, v23, v31
	v_perm_b32 v31, s28, v24, v31
	v_or_b32_e32 v37, 0x3020100, v37
	s_waitcnt vmcnt(4)
	v_cvt_f32_f16_e32 v36, v61
	v_perm_b32 v61, v31, v38, v37
	v_lshrrev_b32_e32 v37, 1, v40
	v_and_b32_e32 v31, 0x7070707, v40
	v_and_b32_e32 v37, 0x4040404, v37
	v_perm_b32 v38, s27, v23, v31
	v_perm_b32 v31, s28, v24, v31
	v_or_b32_e32 v37, 0x3020100, v37
	s_waitcnt vmcnt(3)
	v_cvt_f32_f16_e32 v30, v62
	v_perm_b32 v62, v31, v38, v37
	v_lshrrev_b32_e32 v37, 1, v51
	v_and_b32_e32 v31, 0x7070707, v51
	v_and_b32_e32 v37, 0x4040404, v37
	v_perm_b32 v38, s27, v23, v31
	v_perm_b32 v31, s28, v24, v31
	v_or_b32_e32 v37, 0x3020100, v37
	v_perm_b32 v64, v31, v38, v37
	s_waitcnt vmcnt(2)
	v_cvt_f32_f16_e32 v38, v63
	s_waitcnt vmcnt(0)
	v_cvt_f32_f16_e32 v40, v27
	v_pk_mul_f32 v[28:29], v[28:29], 0.5 op_sel_hi:[1,0]
	v_mov_b32_e32 v63, 0
	v_cndmask_b32_e64 v29, v25, v29, s[6:7]
	v_cndmask_b32_e32 v28, v25, v28, vcc
	v_pk_mul_f32 v[26:27], v[28:29], v[26:27] op_sel_hi:[1,0]
	v_pk_mul_f32 v[30:31], v[28:29], v[30:31] op_sel_hi:[1,0]
	;; [unrolled: 1-line block ×5, first 2 shown]
	global_load_dwordx2 v[40:41], v[20:21], off offset:4
	global_load_dwordx2 v[50:51], v[20:21], off offset:20
	v_lshl_add_u64 v[20:21], v[32:33], 0, v[18:19]
	global_load_dwordx2 v[32:33], v[42:43], off offset:4
	v_mov_b32_e32 v42, 0
	v_mov_b32_e32 v43, 0
	v_cmp_le_u32_e32 vcc, s5, v22
	s_or_b64 s[12:13], vcc, s[12:13]
	s_waitcnt vmcnt(2)
	v_dot4c_i32_i8_e32 v52, v56, v40
	v_dot4c_i32_i8_e32 v53, v60, v40
	s_waitcnt vmcnt(1)
	v_dot4c_i32_i8_e32 v52, v58, v50
	s_waitcnt vmcnt(0)
	v_dot4c_i32_i8_e32 v54, v56, v32
	v_dot4c_i32_i8_e32 v55, v60, v32
	;; [unrolled: 1-line block ×9, first 2 shown]
	global_load_dwordx2 v[32:33], v[20:21], off offset:4
	global_load_dwordx2 v[40:41], v[20:21], off offset:20
	v_mov_b32_e32 v50, 0
	v_lshl_add_u64 v[20:21], v[34:35], 0, v[18:19]
	v_dot4c_i32_i8_e32 v52, v61, v51
	v_dot4c_i32_i8_e32 v53, v64, v51
	;; [unrolled: 1-line block ×4, first 2 shown]
	s_waitcnt vmcnt(1)
	v_dot4c_i32_i8_e32 v50, v56, v32
	v_dot4c_i32_i8_e32 v63, v60, v32
	s_waitcnt vmcnt(0)
	v_dot4c_i32_i8_e32 v50, v58, v40
	v_dot4c_i32_i8_e32 v63, v62, v40
	;; [unrolled: 1-line block ×4, first 2 shown]
	global_load_dwordx2 v[32:33], v[44:45], off offset:4
	global_load_dwordx2 v[34:35], v[20:21], off offset:4
	v_mov_b32_e32 v40, 0
	global_load_dwordx2 v[20:21], v[20:21], off offset:20
	v_mov_b32_e32 v44, 0
	v_dot4c_i32_i8_e32 v50, v61, v41
	v_dot4c_i32_i8_e32 v63, v64, v41
	s_waitcnt vmcnt(2)
	v_dot4c_i32_i8_e32 v42, v56, v32
	s_waitcnt vmcnt(1)
	v_dot4c_i32_i8_e32 v40, v56, v34
	v_dot4c_i32_i8_e32 v43, v60, v34
	;; [unrolled: 1-line block ×3, first 2 shown]
	s_waitcnt vmcnt(0)
	v_dot4c_i32_i8_e32 v40, v58, v20
	v_dot4c_i32_i8_e32 v42, v58, v48
	v_dot4c_i32_i8_e32 v43, v62, v20
	v_dot4c_i32_i8_e32 v44, v62, v48
	v_dot4c_i32_i8_e32 v40, v59, v35
	v_dot4c_i32_i8_e32 v43, v57, v35
	v_dot4c_i32_i8_e32 v42, v59, v33
	v_dot4c_i32_i8_e32 v44, v57, v33
	v_dot4c_i32_i8_e32 v40, v61, v21
	v_dot4c_i32_i8_e32 v43, v64, v21
	v_dot4c_i32_i8_e32 v42, v61, v49
	v_dot4c_i32_i8_e32 v44, v64, v49
	v_cvt_f32_i32_e32 v21, v53
	v_cvt_f32_i32_e32 v20, v52
	;; [unrolled: 1-line block ×10, first 2 shown]
	v_pk_fma_f32 v[4:5], v[26:27], v[20:21], v[4:5]
	v_pk_fma_f32 v[6:7], v[30:31], v[32:33], v[6:7]
	;; [unrolled: 1-line block ×5, first 2 shown]
	s_andn2_b64 exec, exec, s[12:13]
	s_cbranch_execnz .LBB80_2
; %bb.3:
	s_or_b64 exec, exec, s[12:13]
	scratch_store_dwordx4 off, v[4:7], off
	scratch_store_dwordx4 off, v[0:3], off offset:16
	scratch_store_dwordx2 off, v[16:17], off offset:32
.LBB80_4:
	s_or_b64 exec, exec, s[24:25]
	s_mov_b32 s5, 0
	v_cmp_eq_u32_e32 vcc, 0, v9
	s_waitcnt lgkmcnt(0)
	; wave barrier
	s_and_saveexec_b64 s[6:7], vcc
	s_cbranch_execz .LBB80_15
; %bb.5:
	scratch_load_dwordx2 v[2:3], off, off
	v_mbcnt_lo_u32_b32 v0, -1, 0
	v_mbcnt_hi_u32_b32 v9, -1, v0
	s_load_dwordx2 s[6:7], s[0:1], 0x38
	s_mul_i32 s0, s3, s14
	v_or_b32_e32 v1, s2, v8
	v_and_b32_e32 v0, 64, v9
	s_mul_i32 s4, s4, s18
	s_add_i32 s2, s0, s2
	v_cmp_gt_u32_e64 s[0:1], s10, v1
	v_xor_b32_e32 v1, 32, v9
	v_add_u32_e32 v14, 64, v0
	s_add_i32 s4, s2, s4
	v_cmp_lt_i32_e64 s[2:3], v1, v14
	v_cmp_gt_u32_e32 vcc, 2, v8
	s_nop 0
	v_cndmask_b32_e64 v0, v9, v1, s[2:3]
	v_lshlrev_b32_e32 v0, 2, v0
	v_xor_b32_e32 v1, 16, v9
	v_cmp_lt_i32_e64 s[2:3], v1, v14
	s_waitcnt vmcnt(0)
	ds_bpermute_b32 v4, v0, v2
	ds_bpermute_b32 v5, v0, v3
	v_cndmask_b32_e64 v1, v9, v1, s[2:3]
	v_lshlrev_b32_e32 v1, 2, v1
	s_waitcnt lgkmcnt(0)
	v_pk_add_f32 v[4:5], v[2:3], v[4:5]
	ds_bpermute_b32 v6, v1, v4
	ds_bpermute_b32 v7, v1, v5
	v_xor_b32_e32 v2, 8, v9
	v_cmp_lt_i32_e64 s[2:3], v2, v14
	v_xor_b32_e32 v3, 4, v9
	s_waitcnt lgkmcnt(0)
	v_pk_add_f32 v[4:5], v[4:5], v[6:7]
	v_cndmask_b32_e64 v2, v9, v2, s[2:3]
	v_lshlrev_b32_e32 v2, 2, v2
	ds_bpermute_b32 v6, v2, v4
	ds_bpermute_b32 v7, v2, v5
	v_cmp_lt_i32_e64 s[2:3], v3, v14
	s_waitcnt lgkmcnt(0)
	v_pk_add_f32 v[6:7], v[4:5], v[6:7]
	v_cndmask_b32_e64 v3, v9, v3, s[2:3]
	v_lshlrev_b32_e32 v3, 2, v3
	ds_bpermute_b32 v10, v3, v6
	ds_bpermute_b32 v11, v3, v7
	v_xor_b32_e32 v4, 2, v9
	v_cmp_lt_i32_e64 s[2:3], v4, v14
	v_xor_b32_e32 v5, 1, v9
	s_waitcnt lgkmcnt(0)
	v_pk_add_f32 v[10:11], v[6:7], v[10:11]
	v_cndmask_b32_e64 v4, v9, v4, s[2:3]
	v_lshlrev_b32_e32 v4, 2, v4
	ds_bpermute_b32 v12, v4, v10
	ds_bpermute_b32 v13, v4, v11
	v_cmp_lt_i32_e64 s[2:3], v5, v14
	s_waitcnt lgkmcnt(0)
	v_pk_add_f32 v[10:11], v[10:11], v[12:13]
	v_cndmask_b32_e64 v5, v9, v5, s[2:3]
	v_lshlrev_b32_e32 v6, 2, v5
	ds_bpermute_b32 v12, v6, v10
	ds_bpermute_b32 v13, v6, v11
	s_lshl_b64 s[2:3], s[4:5], 2
	s_add_u32 s2, s6, s2
	s_addc_u32 s3, s7, s3
	s_and_b64 s[0:1], vcc, s[0:1]
	s_waitcnt lgkmcnt(0)
	v_pk_add_f32 v[10:11], v[10:11], v[12:13]
	v_lshlrev_b32_e32 v5, 2, v8
	scratch_store_dwordx2 off, v[10:11], off
	s_and_saveexec_b64 s[4:5], s[0:1]
	s_cbranch_execz .LBB80_7
; %bb.6:
	scratch_load_dword v7, v5, off
	s_waitcnt vmcnt(0)
	global_store_dword v5, v7, s[2:3]
.LBB80_7:
	s_or_b64 exec, exec, s[4:5]
	scratch_load_dwordx2 v[10:11], off, off offset:8
	s_waitcnt vmcnt(0)
	ds_bpermute_b32 v12, v0, v10
	ds_bpermute_b32 v13, v0, v11
	s_waitcnt lgkmcnt(0)
	v_pk_add_f32 v[10:11], v[10:11], v[12:13]
	ds_bpermute_b32 v12, v1, v10
	ds_bpermute_b32 v13, v1, v11
	s_waitcnt lgkmcnt(0)
	v_pk_add_f32 v[10:11], v[10:11], v[12:13]
	;; [unrolled: 4-line block ×6, first 2 shown]
	scratch_store_dwordx2 off, v[10:11], off offset:8
	s_and_saveexec_b64 s[4:5], s[0:1]
	s_cbranch_execz .LBB80_9
; %bb.8:
	scratch_load_dword v7, v5, off offset:8
	v_add_u32_e32 v10, s10, v8
	v_mov_b32_e32 v11, 0
	v_lshl_add_u64 v[10:11], v[10:11], 2, s[2:3]
	s_waitcnt vmcnt(0)
	global_store_dword v[10:11], v7, off
.LBB80_9:
	s_or_b64 exec, exec, s[4:5]
	scratch_load_dwordx2 v[10:11], off, off offset:16
	s_waitcnt vmcnt(0)
	ds_bpermute_b32 v12, v0, v10
	ds_bpermute_b32 v13, v0, v11
	s_waitcnt lgkmcnt(0)
	v_pk_add_f32 v[10:11], v[10:11], v[12:13]
	ds_bpermute_b32 v12, v1, v10
	ds_bpermute_b32 v13, v1, v11
	s_waitcnt lgkmcnt(0)
	v_pk_add_f32 v[10:11], v[10:11], v[12:13]
	;; [unrolled: 4-line block ×6, first 2 shown]
	scratch_store_dwordx2 off, v[10:11], off offset:16
	s_and_saveexec_b64 s[4:5], s[0:1]
	s_cbranch_execz .LBB80_11
; %bb.10:
	scratch_load_dword v7, v5, off offset:16
	v_lshl_or_b32 v10, s10, 1, v8
	v_mov_b32_e32 v11, 0
	v_lshl_add_u64 v[10:11], v[10:11], 2, s[2:3]
	s_waitcnt vmcnt(0)
	global_store_dword v[10:11], v7, off
.LBB80_11:
	s_or_b64 exec, exec, s[4:5]
	scratch_load_dwordx2 v[10:11], off, off offset:24
	s_waitcnt vmcnt(0)
	ds_bpermute_b32 v12, v0, v10
	ds_bpermute_b32 v13, v0, v11
	s_waitcnt lgkmcnt(0)
	v_pk_add_f32 v[10:11], v[10:11], v[12:13]
	ds_bpermute_b32 v12, v1, v10
	ds_bpermute_b32 v13, v1, v11
	s_waitcnt lgkmcnt(0)
	v_pk_add_f32 v[10:11], v[10:11], v[12:13]
	;; [unrolled: 4-line block ×6, first 2 shown]
	scratch_store_dwordx2 off, v[10:11], off offset:24
	s_and_saveexec_b64 s[4:5], s[0:1]
	s_cbranch_execz .LBB80_13
; %bb.12:
	scratch_load_dword v7, v5, off offset:24
	v_mad_u64_u32 v[10:11], s[6:7], s10, 3, v[8:9]
	v_mov_b32_e32 v11, 0
	v_lshl_add_u64 v[10:11], v[10:11], 2, s[2:3]
	s_waitcnt vmcnt(0)
	global_store_dword v[10:11], v7, off
.LBB80_13:
	s_or_b64 exec, exec, s[4:5]
	scratch_load_dwordx2 v[10:11], off, off offset:32
	s_waitcnt vmcnt(0)
	ds_bpermute_b32 v12, v0, v10
	ds_bpermute_b32 v13, v0, v11
	s_waitcnt lgkmcnt(0)
	v_pk_add_f32 v[10:11], v[10:11], v[12:13]
	ds_bpermute_b32 v0, v1, v10
	ds_bpermute_b32 v1, v1, v11
	s_waitcnt lgkmcnt(0)
	v_pk_add_f32 v[0:1], v[10:11], v[0:1]
	;; [unrolled: 4-line block ×6, first 2 shown]
	scratch_store_dwordx2 off, v[0:1], off offset:32
	s_and_b64 exec, exec, s[0:1]
	s_cbranch_execz .LBB80_15
; %bb.14:
	scratch_load_dword v2, v5, off offset:32
	v_lshl_or_b32 v0, s10, 2, v8
	v_mov_b32_e32 v1, 0
	v_lshl_add_u64 v[0:1], v[0:1], 2, s[2:3]
	s_waitcnt vmcnt(0)
	global_store_dword v[0:1], v2, off
.LBB80_15:
	s_endpgm
	.section	.rodata,"a",@progbits
	.p2align	6, 0x0
	.amdhsa_kernel _ZL13mul_mat_vec_qIL9ggml_type39ELi5ELb0ELb0EEvPKvS2_PKi31ggml_cuda_mm_fusion_args_devicePfj15HIP_vector_typeIjLj3EEjjjS8_jjjS8_jjjj
		.amdhsa_group_segment_fixed_size 0
		.amdhsa_private_segment_fixed_size 48
		.amdhsa_kernarg_size 144
		.amdhsa_user_sgpr_count 2
		.amdhsa_user_sgpr_dispatch_ptr 0
		.amdhsa_user_sgpr_queue_ptr 0
		.amdhsa_user_sgpr_kernarg_segment_ptr 1
		.amdhsa_user_sgpr_dispatch_id 0
		.amdhsa_user_sgpr_kernarg_preload_length 0
		.amdhsa_user_sgpr_kernarg_preload_offset 0
		.amdhsa_user_sgpr_private_segment_size 0
		.amdhsa_uses_dynamic_stack 0
		.amdhsa_enable_private_segment 1
		.amdhsa_system_sgpr_workgroup_id_x 1
		.amdhsa_system_sgpr_workgroup_id_y 1
		.amdhsa_system_sgpr_workgroup_id_z 1
		.amdhsa_system_sgpr_workgroup_info 0
		.amdhsa_system_vgpr_workitem_id 1
		.amdhsa_next_free_vgpr 65
		.amdhsa_next_free_sgpr 29
		.amdhsa_accum_offset 68
		.amdhsa_reserve_vcc 1
		.amdhsa_float_round_mode_32 0
		.amdhsa_float_round_mode_16_64 0
		.amdhsa_float_denorm_mode_32 3
		.amdhsa_float_denorm_mode_16_64 3
		.amdhsa_dx10_clamp 1
		.amdhsa_ieee_mode 1
		.amdhsa_fp16_overflow 0
		.amdhsa_tg_split 0
		.amdhsa_exception_fp_ieee_invalid_op 0
		.amdhsa_exception_fp_denorm_src 0
		.amdhsa_exception_fp_ieee_div_zero 0
		.amdhsa_exception_fp_ieee_overflow 0
		.amdhsa_exception_fp_ieee_underflow 0
		.amdhsa_exception_fp_ieee_inexact 0
		.amdhsa_exception_int_div_zero 0
	.end_amdhsa_kernel
	.section	.text._ZL13mul_mat_vec_qIL9ggml_type39ELi5ELb0ELb0EEvPKvS2_PKi31ggml_cuda_mm_fusion_args_devicePfj15HIP_vector_typeIjLj3EEjjjS8_jjjS8_jjjj,"axG",@progbits,_ZL13mul_mat_vec_qIL9ggml_type39ELi5ELb0ELb0EEvPKvS2_PKi31ggml_cuda_mm_fusion_args_devicePfj15HIP_vector_typeIjLj3EEjjjS8_jjjS8_jjjj,comdat
.Lfunc_end80:
	.size	_ZL13mul_mat_vec_qIL9ggml_type39ELi5ELb0ELb0EEvPKvS2_PKi31ggml_cuda_mm_fusion_args_devicePfj15HIP_vector_typeIjLj3EEjjjS8_jjjS8_jjjj, .Lfunc_end80-_ZL13mul_mat_vec_qIL9ggml_type39ELi5ELb0ELb0EEvPKvS2_PKi31ggml_cuda_mm_fusion_args_devicePfj15HIP_vector_typeIjLj3EEjjjS8_jjjS8_jjjj
                                        ; -- End function
	.section	.AMDGPU.csdata,"",@progbits
; Kernel info:
; codeLenInByte = 3096
; NumSgprs: 35
; NumVgprs: 65
; NumAgprs: 0
; TotalNumVgprs: 65
; ScratchSize: 48
; MemoryBound: 0
; FloatMode: 240
; IeeeMode: 1
; LDSByteSize: 0 bytes/workgroup (compile time only)
; SGPRBlocks: 4
; VGPRBlocks: 8
; NumSGPRsForWavesPerEU: 35
; NumVGPRsForWavesPerEU: 65
; AccumOffset: 68
; Occupancy: 7
; WaveLimiterHint : 0
; COMPUTE_PGM_RSRC2:SCRATCH_EN: 1
; COMPUTE_PGM_RSRC2:USER_SGPR: 2
; COMPUTE_PGM_RSRC2:TRAP_HANDLER: 0
; COMPUTE_PGM_RSRC2:TGID_X_EN: 1
; COMPUTE_PGM_RSRC2:TGID_Y_EN: 1
; COMPUTE_PGM_RSRC2:TGID_Z_EN: 1
; COMPUTE_PGM_RSRC2:TIDIG_COMP_CNT: 1
; COMPUTE_PGM_RSRC3_GFX90A:ACCUM_OFFSET: 16
; COMPUTE_PGM_RSRC3_GFX90A:TG_SPLIT: 0
	.section	.text._ZL13mul_mat_vec_qIL9ggml_type39ELi6ELb0ELb0EEvPKvS2_PKi31ggml_cuda_mm_fusion_args_devicePfj15HIP_vector_typeIjLj3EEjjjS8_jjjS8_jjjj,"axG",@progbits,_ZL13mul_mat_vec_qIL9ggml_type39ELi6ELb0ELb0EEvPKvS2_PKi31ggml_cuda_mm_fusion_args_devicePfj15HIP_vector_typeIjLj3EEjjjS8_jjjS8_jjjj,comdat
	.globl	_ZL13mul_mat_vec_qIL9ggml_type39ELi6ELb0ELb0EEvPKvS2_PKi31ggml_cuda_mm_fusion_args_devicePfj15HIP_vector_typeIjLj3EEjjjS8_jjjS8_jjjj ; -- Begin function _ZL13mul_mat_vec_qIL9ggml_type39ELi6ELb0ELb0EEvPKvS2_PKi31ggml_cuda_mm_fusion_args_devicePfj15HIP_vector_typeIjLj3EEjjjS8_jjjS8_jjjj
	.p2align	8
	.type	_ZL13mul_mat_vec_qIL9ggml_type39ELi6ELb0ELb0EEvPKvS2_PKi31ggml_cuda_mm_fusion_args_devicePfj15HIP_vector_typeIjLj3EEjjjS8_jjjS8_jjjj,@function
_ZL13mul_mat_vec_qIL9ggml_type39ELi6ELb0ELb0EEvPKvS2_PKi31ggml_cuda_mm_fusion_args_devicePfj15HIP_vector_typeIjLj3EEjjjS8_jjjS8_jjjj: ; @_ZL13mul_mat_vec_qIL9ggml_type39ELi6ELb0ELb0EEvPKvS2_PKi31ggml_cuda_mm_fusion_args_devicePfj15HIP_vector_typeIjLj3EEjjjS8_jjjS8_jjjj
; %bb.0:
	v_bfe_u32 v13, v0, 10, 10
	v_lshlrev_b32_e32 v1, 6, v13
	v_and_b32_e32 v12, 0x3ff, v0
	s_mov_b32 s20, 0
	s_load_dword s5, s[0:1], 0x40
	s_load_dwordx4 s[8:11], s[0:1], 0x50
	s_load_dword s7, s[0:1], 0x60
	s_load_dwordx4 s[12:15], s[0:1], 0x68
	;; [unrolled: 2-line block ×3, first 2 shown]
	s_mov_b32 s21, s20
	v_add_u16_e32 v0, v1, v12
	s_waitcnt lgkmcnt(0)
	s_lshr_b32 s5, s5, 5
	s_mov_b32 s22, s20
	s_mov_b32 s23, s20
	v_mov_b64_e32 v[2:3], s[20:21]
	v_lshrrev_b16_e32 v22, 1, v0
	s_lshl_b32 s2, s2, 1
	v_mov_b64_e32 v[4:5], s[22:23]
	v_cmp_gt_u32_e32 vcc, s5, v22
	scratch_store_dwordx4 off, v[2:5], off offset:32
	scratch_store_dwordx4 off, v[2:5], off offset:16
	scratch_store_dwordx4 off, v[2:5], off
	s_and_saveexec_b64 s[24:25], vcc
	s_cbranch_execz .LBB81_4
; %bb.1:
	s_load_dwordx4 s[20:23], s[0:1], 0x0
	s_mul_i32 s17, s4, s17
	s_mul_hi_u32 s19, s17, 36
	s_mul_i32 s17, s17, 36
	s_mul_i32 s13, s3, s13
	s_waitcnt lgkmcnt(0)
	s_add_u32 s17, s22, s17
	s_addc_u32 s19, s23, s19
	s_mul_hi_u32 s23, s13, 36
	s_mul_i32 s13, s13, 36
	s_add_u32 s22, s17, s13
	s_mul_hi_u32 s11, s11, s3
	s_addc_u32 s23, s19, s23
	s_add_i32 s11, s3, s11
	s_lshr_b32 s7, s11, s7
	v_and_b32_e32 v2, 1, v12
	s_mul_i32 s12, s7, s12
	s_mul_hi_u32 s7, s15, s4
	v_lshlrev_b32_e32 v16, 3, v2
	v_and_b32_e32 v2, v1, v12
	v_xor_b32_e32 v1, v1, v12
	s_add_i32 s7, s4, s7
	v_lshrrev_b16_e32 v1, 1, v1
	s_lshr_b32 s6, s7, s6
	v_add_u16_e32 v1, v2, v1
	s_mul_i32 s13, s6, s16
	v_mad_u64_u32 v[18:19], s[6:7], v1, 36, s[22:23]
	v_lshlrev_b32_e32 v0, 1, v12
	s_add_i32 s6, s2, 1
	v_and_b32_e32 v0, 2, v0
	v_mov_b32_e32 v15, 0
	s_mul_i32 s16, s2, s8
	s_add_i32 s27, s13, s12
	s_mul_i32 s6, s8, s6
	v_lshlrev_b32_e32 v14, 2, v0
	v_mov_b32_e32 v17, v15
	s_lshl_b32 s11, s9, 1
	s_mul_i32 s15, s9, 3
	s_lshl_b32 s19, s9, 2
	s_mul_i32 s26, s9, 5
	s_add_i32 s8, s27, s6
	s_add_i32 s27, s27, s16
	s_mov_b64 s[12:13], 0
	s_mov_b32 s28, 0xc080604
	v_mov_b32_e32 v23, 0x3020100
	s_mov_b32 s29, 0xf4f8fafc
	v_mov_b32_e32 v24, 0xfdfeff00
	v_mov_b32_e32 v25, 0x200000
	v_lshlrev_b32_e32 v20, 2, v0
	v_mov_b32_e32 v21, v15
	s_mov_b64 s[16:17], 0x480
	v_mov_b32_e32 v8, v15
	v_mov_b32_e32 v9, v15
	;; [unrolled: 1-line block ×12, first 2 shown]
.LBB81_2:                               ; =>This Inner Loop Header: Depth=1
	v_add_u32_e32 v32, s27, v22
	v_lshl_add_u64 v[26:27], v[18:19], 0, v[16:17]
	v_add_u32_e32 v33, s8, v22
	v_add_u32_e32 v34, s9, v22
	global_load_dwordx2 v[28:29], v[26:27], off offset:4
	global_load_dwordx2 v[30:31], v[26:27], off offset:20
	v_mad_i64_i32 v[26:27], s[6:7], v32, 17, s[20:21]
	v_mad_i64_i32 v[32:33], s[6:7], v33, 17, s[20:21]
	v_add_u32_e32 v36, s11, v22
	v_mad_u64_u32 v[34:35], s[6:7], v34, 36, s[22:23]
	v_lshl_add_u64 v[42:43], v[26:27], 0, v[14:15]
	v_lshl_add_u64 v[44:45], v[32:33], 0, v[14:15]
	v_mad_u64_u32 v[36:37], s[6:7], v36, 36, s[22:23]
	v_lshl_add_u64 v[46:47], v[34:35], 0, v[20:21]
	global_load_dword v58, v[42:43], off offset:1
	global_load_dword v59, v[42:43], off offset:5
	;; [unrolled: 1-line block ×4, first 2 shown]
	global_load_ubyte v62, v[32:33], off
	global_load_ubyte v63, v[26:27], off
                                        ; kill: killed $vgpr42_vgpr43
                                        ; kill: killed $vgpr32_vgpr33
                                        ; kill: killed $vgpr26_vgpr27
                                        ; kill: killed $vgpr44_vgpr45
	s_nop 0
	global_load_dwordx2 v[26:27], v[46:47], off offset:20
	global_load_dword v44, v[36:37], off
	global_load_dword v45, v[34:35], off
	v_lshl_add_u64 v[48:49], v[36:37], 0, v[20:21]
	v_mov_b32_e32 v50, 0
	v_mov_b32_e32 v51, 0
	v_add_u32_e32 v40, s19, v22
	v_mad_u64_u32 v[40:41], s[6:7], v40, 36, s[22:23]
	v_add_u32_e32 v38, s15, v22
	v_mad_u64_u32 v[38:39], s[6:7], v38, 36, s[22:23]
	v_mov_b32_e32 v52, 0
	v_mov_b32_e32 v53, 0
	;; [unrolled: 1-line block ×7, first 2 shown]
	s_waitcnt vmcnt(8)
	v_lshrrev_b32_e32 v34, 1, v58
	v_and_b32_e32 v33, 0x7070707, v58
	v_and_b32_e32 v34, 0x4040404, v34
	s_waitcnt vmcnt(7)
	v_lshrrev_b32_e32 v36, 1, v59
	v_perm_b32 v42, s28, v23, v33
	v_perm_b32 v33, s29, v24, v33
	v_or_b32_e32 v34, 0x3020100, v34
	v_ashrrev_i32_e32 v32, 4, v58
	v_and_b32_e32 v35, 0x7070707, v59
	v_perm_b32 v58, v33, v42, v34
	s_waitcnt vmcnt(6)
	v_lshrrev_b32_e32 v34, 1, v60
	v_and_b32_e32 v36, 0x4040404, v36
	v_and_b32_e32 v33, 0x7070707, v60
	v_perm_b32 v42, s28, v23, v35
	v_perm_b32 v35, s29, v24, v35
	v_or_b32_e32 v36, 0x3020100, v36
	v_and_b32_e32 v34, 0x4040404, v34
	v_ashrrev_i32_e32 v37, 4, v60
	v_perm_b32 v60, v35, v42, v36
	v_perm_b32 v36, s28, v23, v33
	;; [unrolled: 1-line block ×3, first 2 shown]
	v_or_b32_e32 v34, 0x3020100, v34
	v_perm_b32 v64, v33, v36, v34
	s_waitcnt vmcnt(5)
	v_lshrrev_b32_e32 v33, 1, v61
	v_and_b32_e32 v35, 0x7070707, v61
	v_and_b32_e32 v33, 0x4040404, v33
	v_perm_b32 v34, s28, v23, v35
	v_perm_b32 v35, s29, v24, v35
	v_or_b32_e32 v33, 0x3020100, v33
	v_perm_b32 v65, v35, v34, v33
	v_and_b32_e32 v33, 0x7070707, v32
	v_lshrrev_b32_e32 v32, 1, v32
	v_and_b32_e32 v32, 0x4040404, v32
	v_perm_b32 v34, s28, v23, v33
	v_perm_b32 v33, s29, v24, v33
	v_or_b32_e32 v32, 0x3020100, v32
	v_perm_b32 v66, v33, v34, v32
	v_lshrrev_b32_e32 v33, 1, v37
	v_and_b32_e32 v32, 0x7070707, v37
	v_and_b32_e32 v33, 0x4040404, v33
	v_perm_b32 v34, s28, v23, v32
	v_perm_b32 v32, s29, v24, v32
	v_or_b32_e32 v33, 0x3020100, v33
	v_perm_b32 v67, v32, v34, v33
	v_dot4c_i32_i8_e32 v50, v58, v28
	v_dot4c_i32_i8_e32 v51, v64, v28
	v_lshl_add_u64 v[32:33], v[40:41], 0, v[20:21]
	v_dot4c_i32_i8_e32 v50, v66, v30
	v_dot4c_i32_i8_e32 v51, v67, v30
	;; [unrolled: 1-line block ×4, first 2 shown]
	global_load_dwordx2 v[28:29], v[32:33], off offset:20
	global_load_dword v30, v[40:41], off
	global_load_dword v68, v[38:39], off
	global_load_dwordx2 v[36:37], v[46:47], off offset:4
	v_lshl_add_u64 v[34:35], v[38:39], 0, v[20:21]
	s_waitcnt vmcnt(7)
	v_cmp_ne_u16_e32 vcc, 0, v63
	s_waitcnt vmcnt(0)
	v_dot4c_i32_i8_e32 v52, v58, v36
	v_dot4c_i32_i8_e32 v53, v64, v36
	;; [unrolled: 1-line block ×6, first 2 shown]
	global_load_dwordx2 v[36:37], v[48:49], off offset:4
	global_load_dwordx2 v[38:39], v[48:49], off offset:20
	v_add_u32_e32 v26, s26, v22
	v_add_u32_e32 v22, 32, v22
	s_waitcnt vmcnt(1)
	v_dot4c_i32_i8_e32 v54, v58, v36
	v_dot4c_i32_i8_e32 v55, v64, v36
	s_waitcnt vmcnt(0)
	v_dot4c_i32_i8_e32 v54, v66, v38
	v_dot4c_i32_i8_e32 v55, v67, v38
	;; [unrolled: 1-line block ×4, first 2 shown]
	global_load_dwordx2 v[36:37], v[34:35], off offset:4
	global_load_dwordx2 v[40:41], v[34:35], off offset:20
	v_mov_b32_e32 v38, 0
	global_load_dwordx2 v[32:33], v[32:33], off offset:4
	s_waitcnt vmcnt(2)
	v_dot4c_i32_i8_e32 v56, v58, v36
	v_dot4c_i32_i8_e32 v57, v64, v36
	s_waitcnt vmcnt(1)
	v_dot4c_i32_i8_e32 v56, v66, v40
	v_dot4c_i32_i8_e32 v57, v67, v40
	v_mov_b32_e32 v40, 0
	s_waitcnt vmcnt(0)
	v_dot4c_i32_i8_e32 v38, v58, v32
	v_dot4c_i32_i8_e32 v40, v64, v32
	v_dot4c_i32_i8_e32 v38, v66, v28
	v_dot4c_i32_i8_e32 v40, v67, v28
	v_dot4c_i32_i8_e32 v38, v60, v33
	v_dot4c_i32_i8_e32 v40, v65, v33
	v_mad_u64_u32 v[32:33], s[6:7], v26, 36, s[22:23]
	v_lshl_add_u64 v[34:35], v[32:33], 0, v[20:21]
	v_dot4c_i32_i8_e32 v56, v60, v37
	v_dot4c_i32_i8_e32 v57, v65, v37
	global_load_dwordx2 v[36:37], v[34:35], off offset:20
	global_load_dword v69, v[32:33], off
	global_load_dwordx2 v[42:43], v[34:35], off offset:4
	global_load_dword v26, v[18:19], off
	v_ashrrev_i32_e32 v28, 4, v59
	v_and_b32_e32 v35, 0x7070707, v28
	v_lshrrev_b32_e32 v28, 1, v28
	v_and_b32_e32 v28, 0x4040404, v28
	v_ashrrev_i32_e32 v34, 4, v61
	v_or_b32_e32 v28, 0x3020100, v28
	v_lshlrev_b32_e32 v33, 23, v62
	v_lshlrev_b32_e32 v32, 23, v63
	v_pk_mul_f32 v[32:33], v[32:33], 0.5 op_sel_hi:[1,0]
	v_cmp_ne_u16_e64 s[6:7], 0, v62
	v_cndmask_b32_e32 v32, v25, v32, vcc
	v_cmp_le_u32_e32 vcc, s5, v22
	v_cndmask_b32_e64 v33, v25, v33, s[6:7]
	v_lshl_add_u64 v[18:19], v[18:19], 0, s[16:17]
	s_or_b64 s[12:13], vcc, s[12:13]
	s_waitcnt vmcnt(1)
	v_dot4c_i32_i8_e32 v70, v58, v42
	v_mov_b32_e32 v58, 0
	v_dot4c_i32_i8_e32 v58, v64, v42
	v_dot4c_i32_i8_e32 v70, v66, v36
	v_dot4c_i32_i8_e32 v58, v67, v36
	v_perm_b32 v36, s28, v23, v35
	v_perm_b32 v35, s29, v24, v35
	s_waitcnt vmcnt(0)
	v_cvt_f32_f16_e32 v26, v26
	v_perm_b32 v36, v35, v36, v28
	v_and_b32_e32 v28, 0x7070707, v34
	v_lshrrev_b32_e32 v34, 1, v34
	v_and_b32_e32 v34, 0x4040404, v34
	v_perm_b32 v35, s28, v23, v28
	v_perm_b32 v28, s29, v24, v28
	v_or_b32_e32 v34, 0x3020100, v34
	v_perm_b32 v59, v28, v35, v34
	v_pk_mul_f32 v[34:35], v[32:33], v[26:27] op_sel_hi:[1,0]
	v_cvt_f32_f16_e32 v26, v44
	v_cvt_f32_f16_e32 v28, v45
	v_dot4c_i32_i8_e32 v70, v60, v43
	v_dot4c_i32_i8_e32 v58, v65, v43
	v_pk_mul_f32 v[44:45], v[32:33], v[26:27] op_sel_hi:[1,0]
	v_cvt_f32_f16_e32 v26, v68
	v_dot4c_i32_i8_e32 v50, v36, v31
	v_dot4c_i32_i8_e32 v51, v59, v31
	v_dot4c_i32_i8_e32 v52, v36, v27
	v_pk_mul_f32 v[46:47], v[32:33], v[26:27] op_sel_hi:[1,0]
	v_cvt_f32_f16_e32 v26, v30
	v_dot4c_i32_i8_e32 v53, v59, v27
	;; [unrolled: 5-line block ×3, first 2 shown]
	v_dot4c_i32_i8_e32 v57, v59, v41
	v_dot4c_i32_i8_e32 v38, v36, v29
	;; [unrolled: 1-line block ×5, first 2 shown]
	v_pk_mul_f32 v[42:43], v[32:33], v[28:29] op_sel_hi:[1,0]
	v_pk_mul_f32 v[32:33], v[32:33], v[26:27] op_sel_hi:[1,0]
	v_cvt_f32_i32_e32 v27, v51
	v_cvt_f32_i32_e32 v26, v50
	;; [unrolled: 1-line block ×12, first 2 shown]
	v_pk_fma_f32 v[8:9], v[34:35], v[26:27], v[8:9]
	v_pk_fma_f32 v[10:11], v[42:43], v[28:29], v[10:11]
	v_pk_fma_f32 v[4:5], v[44:45], v[30:31], v[4:5]
	v_pk_fma_f32 v[6:7], v[46:47], v[36:37], v[6:7]
	v_pk_fma_f32 v[0:1], v[48:49], v[38:39], v[0:1]
	v_pk_fma_f32 v[2:3], v[32:33], v[40:41], v[2:3]
	s_andn2_b64 exec, exec, s[12:13]
	s_cbranch_execnz .LBB81_2
; %bb.3:
	s_or_b64 exec, exec, s[12:13]
	scratch_store_dwordx4 off, v[8:11], off
	scratch_store_dwordx4 off, v[4:7], off offset:16
	scratch_store_dwordx4 off, v[0:3], off offset:32
.LBB81_4:
	s_or_b64 exec, exec, s[24:25]
	s_mov_b32 s5, 0
	v_cmp_eq_u32_e32 vcc, 0, v13
	s_waitcnt lgkmcnt(0)
	; wave barrier
	s_and_saveexec_b64 s[6:7], vcc
	s_cbranch_execz .LBB81_17
; %bb.5:
	scratch_load_dwordx2 v[2:3], off, off
	v_mbcnt_lo_u32_b32 v0, -1, 0
	v_mbcnt_hi_u32_b32 v13, -1, v0
	s_load_dwordx2 s[6:7], s[0:1], 0x38
	s_mul_i32 s0, s3, s14
	v_or_b32_e32 v1, s2, v12
	v_and_b32_e32 v0, 64, v13
	s_mul_i32 s4, s4, s18
	s_add_i32 s2, s0, s2
	v_cmp_gt_u32_e64 s[0:1], s10, v1
	v_xor_b32_e32 v1, 32, v13
	v_add_u32_e32 v14, 64, v0
	s_add_i32 s4, s2, s4
	v_cmp_lt_i32_e64 s[2:3], v1, v14
	v_cmp_gt_u32_e32 vcc, 2, v12
	s_nop 0
	v_cndmask_b32_e64 v0, v13, v1, s[2:3]
	v_lshlrev_b32_e32 v0, 2, v0
	v_xor_b32_e32 v1, 16, v13
	v_cmp_lt_i32_e64 s[2:3], v1, v14
	s_waitcnt vmcnt(0)
	ds_bpermute_b32 v4, v0, v2
	ds_bpermute_b32 v5, v0, v3
	v_cndmask_b32_e64 v1, v13, v1, s[2:3]
	v_lshlrev_b32_e32 v1, 2, v1
	s_waitcnt lgkmcnt(0)
	v_pk_add_f32 v[4:5], v[2:3], v[4:5]
	ds_bpermute_b32 v6, v1, v4
	ds_bpermute_b32 v7, v1, v5
	v_xor_b32_e32 v2, 8, v13
	v_cmp_lt_i32_e64 s[2:3], v2, v14
	v_xor_b32_e32 v3, 4, v13
	s_waitcnt lgkmcnt(0)
	v_pk_add_f32 v[4:5], v[4:5], v[6:7]
	v_cndmask_b32_e64 v2, v13, v2, s[2:3]
	v_lshlrev_b32_e32 v2, 2, v2
	ds_bpermute_b32 v6, v2, v4
	ds_bpermute_b32 v7, v2, v5
	v_cmp_lt_i32_e64 s[2:3], v3, v14
	s_waitcnt lgkmcnt(0)
	v_pk_add_f32 v[6:7], v[4:5], v[6:7]
	v_cndmask_b32_e64 v3, v13, v3, s[2:3]
	v_lshlrev_b32_e32 v3, 2, v3
	ds_bpermute_b32 v8, v3, v6
	ds_bpermute_b32 v9, v3, v7
	v_xor_b32_e32 v4, 2, v13
	v_cmp_lt_i32_e64 s[2:3], v4, v14
	v_xor_b32_e32 v5, 1, v13
	s_waitcnt lgkmcnt(0)
	v_pk_add_f32 v[8:9], v[6:7], v[8:9]
	v_cndmask_b32_e64 v4, v13, v4, s[2:3]
	v_lshlrev_b32_e32 v4, 2, v4
	ds_bpermute_b32 v10, v4, v8
	ds_bpermute_b32 v11, v4, v9
	v_cmp_lt_i32_e64 s[2:3], v5, v14
	s_waitcnt lgkmcnt(0)
	v_pk_add_f32 v[8:9], v[8:9], v[10:11]
	v_cndmask_b32_e64 v5, v13, v5, s[2:3]
	v_lshlrev_b32_e32 v6, 2, v5
	ds_bpermute_b32 v10, v6, v8
	ds_bpermute_b32 v11, v6, v9
	s_lshl_b64 s[2:3], s[4:5], 2
	s_add_u32 s2, s6, s2
	s_addc_u32 s3, s7, s3
	s_and_b64 s[0:1], vcc, s[0:1]
	s_waitcnt lgkmcnt(0)
	v_pk_add_f32 v[8:9], v[8:9], v[10:11]
	v_lshlrev_b32_e32 v5, 2, v12
	scratch_store_dwordx2 off, v[8:9], off
	s_and_saveexec_b64 s[4:5], s[0:1]
	s_cbranch_execz .LBB81_7
; %bb.6:
	scratch_load_dword v7, v5, off
	s_waitcnt vmcnt(0)
	global_store_dword v5, v7, s[2:3]
.LBB81_7:
	s_or_b64 exec, exec, s[4:5]
	scratch_load_dwordx2 v[8:9], off, off offset:8
	s_waitcnt vmcnt(0)
	ds_bpermute_b32 v10, v0, v8
	ds_bpermute_b32 v11, v0, v9
	s_waitcnt lgkmcnt(0)
	v_pk_add_f32 v[8:9], v[8:9], v[10:11]
	ds_bpermute_b32 v10, v1, v8
	ds_bpermute_b32 v11, v1, v9
	s_waitcnt lgkmcnt(0)
	v_pk_add_f32 v[8:9], v[8:9], v[10:11]
	ds_bpermute_b32 v10, v2, v8
	ds_bpermute_b32 v11, v2, v9
	s_waitcnt lgkmcnt(0)
	v_pk_add_f32 v[8:9], v[8:9], v[10:11]
	ds_bpermute_b32 v10, v3, v8
	ds_bpermute_b32 v11, v3, v9
	s_waitcnt lgkmcnt(0)
	v_pk_add_f32 v[8:9], v[8:9], v[10:11]
	ds_bpermute_b32 v10, v4, v8
	ds_bpermute_b32 v11, v4, v9
	s_waitcnt lgkmcnt(0)
	v_pk_add_f32 v[8:9], v[8:9], v[10:11]
	ds_bpermute_b32 v10, v6, v8
	ds_bpermute_b32 v11, v6, v9
	s_waitcnt lgkmcnt(0)
	v_pk_add_f32 v[8:9], v[8:9], v[10:11]
	scratch_store_dwordx2 off, v[8:9], off offset:8
	s_and_saveexec_b64 s[4:5], s[0:1]
	s_cbranch_execz .LBB81_9
; %bb.8:
	scratch_load_dword v7, v5, off offset:8
	v_add_u32_e32 v8, s10, v12
	v_mov_b32_e32 v9, 0
	v_lshl_add_u64 v[8:9], v[8:9], 2, s[2:3]
	s_waitcnt vmcnt(0)
	global_store_dword v[8:9], v7, off
.LBB81_9:
	s_or_b64 exec, exec, s[4:5]
	scratch_load_dwordx2 v[8:9], off, off offset:16
	s_waitcnt vmcnt(0)
	ds_bpermute_b32 v10, v0, v8
	ds_bpermute_b32 v11, v0, v9
	s_waitcnt lgkmcnt(0)
	v_pk_add_f32 v[8:9], v[8:9], v[10:11]
	ds_bpermute_b32 v10, v1, v8
	ds_bpermute_b32 v11, v1, v9
	s_waitcnt lgkmcnt(0)
	v_pk_add_f32 v[8:9], v[8:9], v[10:11]
	ds_bpermute_b32 v10, v2, v8
	ds_bpermute_b32 v11, v2, v9
	s_waitcnt lgkmcnt(0)
	v_pk_add_f32 v[8:9], v[8:9], v[10:11]
	ds_bpermute_b32 v10, v3, v8
	ds_bpermute_b32 v11, v3, v9
	s_waitcnt lgkmcnt(0)
	v_pk_add_f32 v[8:9], v[8:9], v[10:11]
	ds_bpermute_b32 v10, v4, v8
	ds_bpermute_b32 v11, v4, v9
	s_waitcnt lgkmcnt(0)
	v_pk_add_f32 v[8:9], v[8:9], v[10:11]
	ds_bpermute_b32 v10, v6, v8
	ds_bpermute_b32 v11, v6, v9
	s_waitcnt lgkmcnt(0)
	v_pk_add_f32 v[8:9], v[8:9], v[10:11]
	scratch_store_dwordx2 off, v[8:9], off offset:16
	s_and_saveexec_b64 s[4:5], s[0:1]
	s_cbranch_execz .LBB81_11
; %bb.10:
	scratch_load_dword v7, v5, off offset:16
	v_lshl_or_b32 v8, s10, 1, v12
	v_mov_b32_e32 v9, 0
	v_lshl_add_u64 v[8:9], v[8:9], 2, s[2:3]
	s_waitcnt vmcnt(0)
	global_store_dword v[8:9], v7, off
.LBB81_11:
	s_or_b64 exec, exec, s[4:5]
	scratch_load_dwordx2 v[8:9], off, off offset:24
	s_waitcnt vmcnt(0)
	ds_bpermute_b32 v10, v0, v8
	ds_bpermute_b32 v11, v0, v9
	s_waitcnt lgkmcnt(0)
	v_pk_add_f32 v[8:9], v[8:9], v[10:11]
	ds_bpermute_b32 v10, v1, v8
	ds_bpermute_b32 v11, v1, v9
	s_waitcnt lgkmcnt(0)
	v_pk_add_f32 v[8:9], v[8:9], v[10:11]
	ds_bpermute_b32 v10, v2, v8
	ds_bpermute_b32 v11, v2, v9
	s_waitcnt lgkmcnt(0)
	v_pk_add_f32 v[8:9], v[8:9], v[10:11]
	ds_bpermute_b32 v10, v3, v8
	ds_bpermute_b32 v11, v3, v9
	s_waitcnt lgkmcnt(0)
	v_pk_add_f32 v[8:9], v[8:9], v[10:11]
	ds_bpermute_b32 v10, v4, v8
	ds_bpermute_b32 v11, v4, v9
	s_waitcnt lgkmcnt(0)
	v_pk_add_f32 v[8:9], v[8:9], v[10:11]
	ds_bpermute_b32 v10, v6, v8
	ds_bpermute_b32 v11, v6, v9
	s_waitcnt lgkmcnt(0)
	v_pk_add_f32 v[8:9], v[8:9], v[10:11]
	scratch_store_dwordx2 off, v[8:9], off offset:24
	s_and_saveexec_b64 s[4:5], s[0:1]
	s_cbranch_execz .LBB81_13
; %bb.12:
	scratch_load_dword v7, v5, off offset:24
	v_mad_u64_u32 v[8:9], s[6:7], s10, 3, v[12:13]
	v_mov_b32_e32 v9, 0
	v_lshl_add_u64 v[8:9], v[8:9], 2, s[2:3]
	s_waitcnt vmcnt(0)
	global_store_dword v[8:9], v7, off
.LBB81_13:
	s_or_b64 exec, exec, s[4:5]
	scratch_load_dwordx2 v[8:9], off, off offset:32
	s_waitcnt vmcnt(0)
	ds_bpermute_b32 v10, v0, v8
	ds_bpermute_b32 v11, v0, v9
	s_waitcnt lgkmcnt(0)
	v_pk_add_f32 v[8:9], v[8:9], v[10:11]
	ds_bpermute_b32 v10, v1, v8
	ds_bpermute_b32 v11, v1, v9
	s_waitcnt lgkmcnt(0)
	v_pk_add_f32 v[8:9], v[8:9], v[10:11]
	;; [unrolled: 4-line block ×6, first 2 shown]
	scratch_store_dwordx2 off, v[8:9], off offset:32
	s_and_saveexec_b64 s[4:5], s[0:1]
	s_cbranch_execz .LBB81_15
; %bb.14:
	scratch_load_dword v7, v5, off offset:32
	v_lshl_or_b32 v8, s10, 2, v12
	v_mov_b32_e32 v9, 0
	v_lshl_add_u64 v[8:9], v[8:9], 2, s[2:3]
	s_waitcnt vmcnt(0)
	global_store_dword v[8:9], v7, off
.LBB81_15:
	s_or_b64 exec, exec, s[4:5]
	scratch_load_dwordx2 v[8:9], off, off offset:40
	s_waitcnt vmcnt(0)
	ds_bpermute_b32 v10, v0, v8
	ds_bpermute_b32 v11, v0, v9
	s_waitcnt lgkmcnt(0)
	v_pk_add_f32 v[8:9], v[8:9], v[10:11]
	ds_bpermute_b32 v0, v1, v8
	ds_bpermute_b32 v1, v1, v9
	s_waitcnt lgkmcnt(0)
	v_pk_add_f32 v[0:1], v[8:9], v[0:1]
	;; [unrolled: 4-line block ×6, first 2 shown]
	scratch_store_dwordx2 off, v[0:1], off offset:40
	s_and_b64 exec, exec, s[0:1]
	s_cbranch_execz .LBB81_17
; %bb.16:
	scratch_load_dword v2, v5, off offset:40
	v_mad_u64_u32 v[0:1], s[0:1], s10, 5, v[12:13]
	v_mov_b32_e32 v1, 0
	v_lshl_add_u64 v[0:1], v[0:1], 2, s[2:3]
	s_waitcnt vmcnt(0)
	global_store_dword v[0:1], v2, off
.LBB81_17:
	s_endpgm
	.section	.rodata,"a",@progbits
	.p2align	6, 0x0
	.amdhsa_kernel _ZL13mul_mat_vec_qIL9ggml_type39ELi6ELb0ELb0EEvPKvS2_PKi31ggml_cuda_mm_fusion_args_devicePfj15HIP_vector_typeIjLj3EEjjjS8_jjjS8_jjjj
		.amdhsa_group_segment_fixed_size 0
		.amdhsa_private_segment_fixed_size 64
		.amdhsa_kernarg_size 144
		.amdhsa_user_sgpr_count 2
		.amdhsa_user_sgpr_dispatch_ptr 0
		.amdhsa_user_sgpr_queue_ptr 0
		.amdhsa_user_sgpr_kernarg_segment_ptr 1
		.amdhsa_user_sgpr_dispatch_id 0
		.amdhsa_user_sgpr_kernarg_preload_length 0
		.amdhsa_user_sgpr_kernarg_preload_offset 0
		.amdhsa_user_sgpr_private_segment_size 0
		.amdhsa_uses_dynamic_stack 0
		.amdhsa_enable_private_segment 1
		.amdhsa_system_sgpr_workgroup_id_x 1
		.amdhsa_system_sgpr_workgroup_id_y 1
		.amdhsa_system_sgpr_workgroup_id_z 1
		.amdhsa_system_sgpr_workgroup_info 0
		.amdhsa_system_vgpr_workitem_id 1
		.amdhsa_next_free_vgpr 71
		.amdhsa_next_free_sgpr 30
		.amdhsa_accum_offset 72
		.amdhsa_reserve_vcc 1
		.amdhsa_float_round_mode_32 0
		.amdhsa_float_round_mode_16_64 0
		.amdhsa_float_denorm_mode_32 3
		.amdhsa_float_denorm_mode_16_64 3
		.amdhsa_dx10_clamp 1
		.amdhsa_ieee_mode 1
		.amdhsa_fp16_overflow 0
		.amdhsa_tg_split 0
		.amdhsa_exception_fp_ieee_invalid_op 0
		.amdhsa_exception_fp_denorm_src 0
		.amdhsa_exception_fp_ieee_div_zero 0
		.amdhsa_exception_fp_ieee_overflow 0
		.amdhsa_exception_fp_ieee_underflow 0
		.amdhsa_exception_fp_ieee_inexact 0
		.amdhsa_exception_int_div_zero 0
	.end_amdhsa_kernel
	.section	.text._ZL13mul_mat_vec_qIL9ggml_type39ELi6ELb0ELb0EEvPKvS2_PKi31ggml_cuda_mm_fusion_args_devicePfj15HIP_vector_typeIjLj3EEjjjS8_jjjS8_jjjj,"axG",@progbits,_ZL13mul_mat_vec_qIL9ggml_type39ELi6ELb0ELb0EEvPKvS2_PKi31ggml_cuda_mm_fusion_args_devicePfj15HIP_vector_typeIjLj3EEjjjS8_jjjS8_jjjj,comdat
.Lfunc_end81:
	.size	_ZL13mul_mat_vec_qIL9ggml_type39ELi6ELb0ELb0EEvPKvS2_PKi31ggml_cuda_mm_fusion_args_devicePfj15HIP_vector_typeIjLj3EEjjjS8_jjjS8_jjjj, .Lfunc_end81-_ZL13mul_mat_vec_qIL9ggml_type39ELi6ELb0ELb0EEvPKvS2_PKi31ggml_cuda_mm_fusion_args_devicePfj15HIP_vector_typeIjLj3EEjjjS8_jjjS8_jjjj
                                        ; -- End function
	.section	.AMDGPU.csdata,"",@progbits
; Kernel info:
; codeLenInByte = 3436
; NumSgprs: 36
; NumVgprs: 71
; NumAgprs: 0
; TotalNumVgprs: 71
; ScratchSize: 64
; MemoryBound: 0
; FloatMode: 240
; IeeeMode: 1
; LDSByteSize: 0 bytes/workgroup (compile time only)
; SGPRBlocks: 4
; VGPRBlocks: 8
; NumSGPRsForWavesPerEU: 36
; NumVGPRsForWavesPerEU: 71
; AccumOffset: 72
; Occupancy: 7
; WaveLimiterHint : 0
; COMPUTE_PGM_RSRC2:SCRATCH_EN: 1
; COMPUTE_PGM_RSRC2:USER_SGPR: 2
; COMPUTE_PGM_RSRC2:TRAP_HANDLER: 0
; COMPUTE_PGM_RSRC2:TGID_X_EN: 1
; COMPUTE_PGM_RSRC2:TGID_Y_EN: 1
; COMPUTE_PGM_RSRC2:TGID_Z_EN: 1
; COMPUTE_PGM_RSRC2:TIDIG_COMP_CNT: 1
; COMPUTE_PGM_RSRC3_GFX90A:ACCUM_OFFSET: 17
; COMPUTE_PGM_RSRC3_GFX90A:TG_SPLIT: 0
	.section	.text._ZL13mul_mat_vec_qIL9ggml_type39ELi7ELb0ELb0EEvPKvS2_PKi31ggml_cuda_mm_fusion_args_devicePfj15HIP_vector_typeIjLj3EEjjjS8_jjjS8_jjjj,"axG",@progbits,_ZL13mul_mat_vec_qIL9ggml_type39ELi7ELb0ELb0EEvPKvS2_PKi31ggml_cuda_mm_fusion_args_devicePfj15HIP_vector_typeIjLj3EEjjjS8_jjjS8_jjjj,comdat
	.globl	_ZL13mul_mat_vec_qIL9ggml_type39ELi7ELb0ELb0EEvPKvS2_PKi31ggml_cuda_mm_fusion_args_devicePfj15HIP_vector_typeIjLj3EEjjjS8_jjjS8_jjjj ; -- Begin function _ZL13mul_mat_vec_qIL9ggml_type39ELi7ELb0ELb0EEvPKvS2_PKi31ggml_cuda_mm_fusion_args_devicePfj15HIP_vector_typeIjLj3EEjjjS8_jjjS8_jjjj
	.p2align	8
	.type	_ZL13mul_mat_vec_qIL9ggml_type39ELi7ELb0ELb0EEvPKvS2_PKi31ggml_cuda_mm_fusion_args_devicePfj15HIP_vector_typeIjLj3EEjjjS8_jjjS8_jjjj,@function
_ZL13mul_mat_vec_qIL9ggml_type39ELi7ELb0ELb0EEvPKvS2_PKi31ggml_cuda_mm_fusion_args_devicePfj15HIP_vector_typeIjLj3EEjjjS8_jjjS8_jjjj: ; @_ZL13mul_mat_vec_qIL9ggml_type39ELi7ELb0ELb0EEvPKvS2_PKi31ggml_cuda_mm_fusion_args_devicePfj15HIP_vector_typeIjLj3EEjjjS8_jjjS8_jjjj
; %bb.0:
	v_bfe_u32 v13, v0, 10, 10
	v_lshlrev_b32_e32 v1, 6, v13
	v_and_b32_e32 v12, 0x3ff, v0
	s_mov_b32 s20, 0
	s_load_dword s5, s[0:1], 0x40
	s_load_dwordx4 s[8:11], s[0:1], 0x50
	s_load_dword s25, s[0:1], 0x60
	s_load_dwordx4 s[12:15], s[0:1], 0x68
	;; [unrolled: 2-line block ×3, first 2 shown]
	s_mov_b32 s21, s20
	v_add_u16_e32 v0, v1, v12
	s_waitcnt lgkmcnt(0)
	s_lshr_b32 s5, s5, 5
	v_mov_b32_e32 v15, 0
	s_mov_b32 s22, s20
	s_mov_b32 s23, s20
	v_mov_b64_e32 v[2:3], s[20:21]
	v_lshrrev_b16_e32 v26, 1, v0
	s_lshl_b32 s2, s2, 1
	v_mov_b32_e32 v14, v15
	v_mov_b64_e32 v[4:5], s[22:23]
	v_cmp_gt_u32_e32 vcc, s5, v26
	scratch_store_dwordx2 off, v[14:15], off offset:48
	scratch_store_dwordx4 off, v[2:5], off offset:32
	scratch_store_dwordx4 off, v[2:5], off offset:16
	scratch_store_dwordx4 off, v[2:5], off
	s_and_saveexec_b64 s[6:7], vcc
	s_cbranch_execz .LBB82_4
; %bb.1:
	s_load_dwordx4 s[20:23], s[0:1], 0x0
	s_mul_i32 s17, s4, s17
	s_mul_hi_u32 s19, s17, 36
	s_mul_i32 s17, s17, 36
	s_mul_i32 s13, s3, s13
	s_waitcnt lgkmcnt(0)
	s_add_u32 s17, s22, s17
	s_addc_u32 s19, s23, s19
	s_mul_hi_u32 s23, s13, 36
	s_mul_i32 s13, s13, 36
	s_add_u32 s22, s17, s13
	s_mul_hi_u32 s11, s11, s3
	s_addc_u32 s23, s19, s23
	s_add_i32 s11, s3, s11
	v_and_b32_e32 v2, 1, v12
	s_lshr_b32 s11, s11, s25
	v_lshlrev_b32_e32 v16, 3, v2
	v_and_b32_e32 v2, v1, v12
	v_xor_b32_e32 v1, v1, v12
	s_mul_i32 s17, s11, s12
	s_mul_hi_u32 s11, s15, s4
	v_lshrrev_b16_e32 v1, 1, v1
	s_add_i32 s11, s4, s11
	v_add_u16_e32 v1, v2, v1
	s_lshr_b32 s11, s11, s24
	v_mad_u64_u32 v[18:19], s[12:13], v1, 36, s[22:23]
	s_mul_i32 s16, s11, s16
	v_lshlrev_b32_e32 v0, 1, v12
	s_add_i32 s13, s2, 1
	v_and_b32_e32 v0, 2, v0
	s_mul_i32 s26, s2, s8
	s_add_i32 s12, s16, s17
	s_mul_i32 s8, s8, s13
	v_lshlrev_b32_e32 v14, 2, v0
	v_mov_b32_e32 v17, v15
	s_lshl_b32 s11, s9, 1
	s_mul_i32 s15, s9, 3
	s_lshl_b32 s19, s9, 2
	s_mul_i32 s24, s9, 5
	s_mul_i32 s25, s9, 6
	s_add_i32 s8, s12, s8
	s_add_i32 s26, s12, s26
	s_mov_b64 s[12:13], 0
	s_mov_b32 s27, 0xc080604
	v_mov_b32_e32 v27, 0x3020100
	s_mov_b32 s28, 0xf4f8fafc
	v_mov_b32_e32 v28, 0xfdfeff00
	v_mov_b32_e32 v29, 0x200000
	v_lshlrev_b32_e32 v22, 2, v0
	v_mov_b32_e32 v23, v15
	s_mov_b64 s[16:17], 0x480
	v_mov_b32_e32 v8, v15
	v_mov_b32_e32 v9, v15
	;; [unrolled: 1-line block ×14, first 2 shown]
.LBB82_2:                               ; =>This Inner Loop Header: Depth=1
	v_add_u32_e32 v30, s26, v26
	v_lshl_add_u64 v[24:25], v[18:19], 0, v[16:17]
	global_load_dwordx2 v[34:35], v[24:25], off offset:4
	global_load_dwordx2 v[36:37], v[24:25], off offset:20
	global_load_dword v31, v[18:19], off
	v_mad_i64_i32 v[24:25], s[30:31], v30, 17, s[20:21]
	v_lshl_add_u64 v[32:33], v[24:25], 0, v[14:15]
	global_load_dword v30, v[32:33], off offset:1
	v_lshl_add_u64 v[18:19], v[18:19], 0, s[16:17]
	global_load_dword v32, v[32:33], off offset:5
	s_waitcnt vmcnt(2)
	v_cvt_f32_f16_e32 v38, v31
	s_waitcnt vmcnt(1)
	v_ashrrev_i32_e32 v31, 4, v30
	v_and_b32_e32 v41, 0x7070707, v31
	v_lshrrev_b32_e32 v31, 1, v31
	v_and_b32_e32 v31, 0x4040404, v31
	v_and_b32_e32 v39, 0x7070707, v30
	v_perm_b32 v42, s27, v27, v41
	v_perm_b32 v41, s28, v28, v41
	v_lshrrev_b32_e32 v30, 1, v30
	v_or_b32_e32 v31, 0x3020100, v31
	s_waitcnt vmcnt(0)
	v_ashrrev_i32_e32 v33, 4, v32
	v_and_b32_e32 v30, 0x4040404, v30
	v_perm_b32 v31, v41, v42, v31
	v_and_b32_e32 v42, 0x7070707, v33
	v_lshrrev_b32_e32 v33, 1, v33
	v_perm_b32 v40, s27, v27, v39
	v_perm_b32 v39, s28, v28, v39
	v_or_b32_e32 v30, 0x3020100, v30
	v_and_b32_e32 v33, 0x4040404, v33
	v_perm_b32 v30, v39, v40, v30
	v_and_b32_e32 v40, 0x7070707, v32
	v_perm_b32 v43, s27, v27, v42
	v_perm_b32 v42, s28, v28, v42
	v_lshrrev_b32_e32 v32, 1, v32
	v_or_b32_e32 v33, 0x3020100, v33
	v_and_b32_e32 v32, 0x4040404, v32
	v_perm_b32 v33, v42, v43, v33
	global_load_ubyte v42, v[24:25], off
	v_add_u32_e32 v24, s8, v26
	v_perm_b32 v41, s27, v27, v40
	v_perm_b32 v40, s28, v28, v40
	v_or_b32_e32 v32, 0x3020100, v32
	v_mad_i64_i32 v[24:25], s[30:31], v24, 17, s[20:21]
	v_perm_b32 v32, v40, v41, v32
	v_lshl_add_u64 v[40:41], v[24:25], 0, v[14:15]
	global_load_dword v43, v[40:41], off offset:1
	v_mov_b32_e32 v39, 0
	v_dot4c_i32_i8_e32 v39, v30, v34
	v_dot4c_i32_i8_e32 v39, v31, v36
	;; [unrolled: 1-line block ×4, first 2 shown]
	s_waitcnt vmcnt(0)
	v_ashrrev_i32_e32 v44, 4, v43
	v_and_b32_e32 v45, 0x7070707, v43
	v_lshrrev_b32_e32 v43, 1, v43
	v_and_b32_e32 v43, 0x4040404, v43
	v_perm_b32 v46, s27, v27, v45
	v_perm_b32 v45, s28, v28, v45
	v_or_b32_e32 v43, 0x3020100, v43
	v_perm_b32 v43, v45, v46, v43
	v_mov_b32_e32 v45, 0
	v_dot4c_i32_i8_e32 v45, v43, v34
	global_load_dword v34, v[40:41], off offset:5
	v_and_b32_e32 v47, 0x7070707, v44
	v_lshrrev_b32_e32 v44, 1, v44
	v_and_b32_e32 v44, 0x4040404, v44
	v_perm_b32 v48, s27, v27, v47
	v_perm_b32 v47, s28, v28, v47
	v_or_b32_e32 v44, 0x3020100, v44
	v_perm_b32 v44, v47, v48, v44
	v_dot4c_i32_i8_e32 v45, v44, v36
	s_waitcnt vmcnt(0)
	v_ashrrev_i32_e32 v36, 4, v34
	v_and_b32_e32 v40, 0x7070707, v34
	v_lshrrev_b32_e32 v34, 1, v34
	v_and_b32_e32 v34, 0x4040404, v34
	v_perm_b32 v41, s27, v27, v40
	v_perm_b32 v40, s28, v28, v40
	v_or_b32_e32 v34, 0x3020100, v34
	v_perm_b32 v48, v40, v41, v34
	v_lshrrev_b32_e32 v34, 1, v36
	v_and_b32_e32 v46, 0x7070707, v36
	v_and_b32_e32 v34, 0x4040404, v34
	v_perm_b32 v47, s27, v27, v46
	v_perm_b32 v46, s28, v28, v46
	v_or_b32_e32 v34, 0x3020100, v34
	v_perm_b32 v46, v46, v47, v34
	global_load_ubyte v34, v[24:25], off
	v_dot4c_i32_i8_e32 v45, v48, v35
	v_dot4c_i32_i8_e32 v45, v46, v37
	v_lshlrev_b32_e32 v24, 23, v42
	v_cvt_f32_i32_e32 v36, v39
	s_waitcnt vmcnt(0)
	v_lshlrev_b32_e32 v25, 23, v34
	v_pk_mul_f32 v[24:25], v[24:25], 0.5 op_sel_hi:[1,0]
	v_cmp_ne_u16_e32 vcc, 0, v34
	v_cvt_f32_i32_e32 v37, v45
	s_nop 0
	v_cndmask_b32_e32 v25, v29, v25, vcc
	v_cmp_ne_u16_e32 vcc, 0, v42
	s_nop 1
	v_cndmask_b32_e32 v24, v29, v24, vcc
	v_pk_mul_f32 v[34:35], v[24:25], v[38:39] op_sel_hi:[1,0]
	s_nop 0
	v_pk_fma_f32 v[8:9], v[34:35], v[36:37], v[8:9]
	v_add_u32_e32 v34, s9, v26
	v_mad_u64_u32 v[34:35], s[30:31], v34, 36, s[22:23]
	v_lshl_add_u64 v[36:37], v[34:35], 0, v[22:23]
	global_load_dwordx2 v[38:39], v[36:37], off offset:4
	global_load_dwordx2 v[40:41], v[36:37], off offset:20
	global_load_dword v42, v[34:35], off
	v_mov_b32_e32 v36, 0
	v_mov_b32_e32 v37, 0
	s_waitcnt vmcnt(2)
	v_dot4c_i32_i8_e32 v36, v30, v38
	v_dot4c_i32_i8_e32 v37, v43, v38
	s_waitcnt vmcnt(1)
	v_dot4c_i32_i8_e32 v36, v31, v40
	v_dot4c_i32_i8_e32 v37, v44, v40
	v_dot4c_i32_i8_e32 v36, v32, v39
	v_dot4c_i32_i8_e32 v37, v48, v39
	s_waitcnt vmcnt(0)
	v_cvt_f32_f16_e32 v34, v42
	v_dot4c_i32_i8_e32 v36, v33, v41
	v_dot4c_i32_i8_e32 v37, v46, v41
	v_pk_mul_f32 v[34:35], v[24:25], v[34:35] op_sel_hi:[1,0]
	s_nop 0
	v_cvt_f32_i32_e32 v36, v36
	v_cvt_f32_i32_e32 v37, v37
	v_pk_fma_f32 v[10:11], v[34:35], v[36:37], v[10:11]
	v_add_u32_e32 v34, s11, v26
	v_mad_u64_u32 v[34:35], s[30:31], v34, 36, s[22:23]
	v_lshl_add_u64 v[36:37], v[34:35], 0, v[22:23]
	global_load_dwordx2 v[38:39], v[36:37], off offset:4
	global_load_dwordx2 v[40:41], v[36:37], off offset:20
	global_load_dword v42, v[34:35], off
	v_mov_b32_e32 v36, 0
	v_mov_b32_e32 v37, 0
	s_waitcnt vmcnt(2)
	v_dot4c_i32_i8_e32 v36, v30, v38
	v_dot4c_i32_i8_e32 v37, v43, v38
	s_waitcnt vmcnt(1)
	v_dot4c_i32_i8_e32 v36, v31, v40
	v_dot4c_i32_i8_e32 v37, v44, v40
	v_dot4c_i32_i8_e32 v36, v32, v39
	v_dot4c_i32_i8_e32 v37, v48, v39
	s_waitcnt vmcnt(0)
	v_cvt_f32_f16_e32 v34, v42
	v_dot4c_i32_i8_e32 v36, v33, v41
	v_dot4c_i32_i8_e32 v37, v46, v41
	v_pk_mul_f32 v[34:35], v[24:25], v[34:35] op_sel_hi:[1,0]
	s_nop 0
	v_cvt_f32_i32_e32 v36, v36
	v_cvt_f32_i32_e32 v37, v37
	;; [unrolled: 25-line block ×5, first 2 shown]
	v_pk_fma_f32 v[2:3], v[34:35], v[36:37], v[2:3]
	v_add_u32_e32 v34, s25, v26
	v_mad_u64_u32 v[34:35], s[30:31], v34, 36, s[22:23]
	v_lshl_add_u64 v[36:37], v[34:35], 0, v[22:23]
	global_load_dwordx2 v[38:39], v[36:37], off offset:4
	global_load_dwordx2 v[40:41], v[36:37], off offset:20
	global_load_dword v42, v[34:35], off
	v_mov_b32_e32 v35, 0
	v_add_u32_e32 v26, 32, v26
	v_cmp_le_u32_e32 vcc, s5, v26
	s_or_b64 s[12:13], vcc, s[12:13]
	s_waitcnt vmcnt(2)
	v_dot4c_i32_i8_e32 v35, v30, v38
	v_mov_b32_e32 v30, 0
	v_dot4c_i32_i8_e32 v30, v43, v38
	s_waitcnt vmcnt(1)
	v_dot4c_i32_i8_e32 v35, v31, v40
	v_dot4c_i32_i8_e32 v30, v44, v40
	;; [unrolled: 1-line block ×4, first 2 shown]
	s_waitcnt vmcnt(0)
	v_cvt_f32_f16_e32 v34, v42
	v_dot4c_i32_i8_e32 v35, v33, v41
	v_dot4c_i32_i8_e32 v30, v46, v41
	s_nop 1
	v_pk_mul_f32 v[24:25], v[24:25], v[34:35] op_sel_hi:[1,0]
	v_cvt_f32_i32_e32 v31, v30
	v_cvt_f32_i32_e32 v30, v35
	v_pk_fma_f32 v[20:21], v[24:25], v[30:31], v[20:21]
	s_andn2_b64 exec, exec, s[12:13]
	s_cbranch_execnz .LBB82_2
; %bb.3:
	s_or_b64 exec, exec, s[12:13]
	scratch_store_dwordx4 off, v[8:11], off
	scratch_store_dwordx4 off, v[4:7], off offset:16
	scratch_store_dwordx4 off, v[0:3], off offset:32
	scratch_store_dwordx2 off, v[20:21], off offset:48
.LBB82_4:
	s_or_b64 exec, exec, s[6:7]
	s_mov_b32 s5, 0
	v_cmp_eq_u32_e32 vcc, 0, v13
	s_waitcnt lgkmcnt(0)
	; wave barrier
	s_and_saveexec_b64 s[6:7], vcc
	s_cbranch_execz .LBB82_19
; %bb.5:
	scratch_load_dwordx2 v[2:3], off, off
	v_mbcnt_lo_u32_b32 v0, -1, 0
	v_mbcnt_hi_u32_b32 v13, -1, v0
	s_load_dwordx2 s[6:7], s[0:1], 0x38
	s_mul_i32 s0, s3, s14
	v_or_b32_e32 v1, s2, v12
	v_and_b32_e32 v0, 64, v13
	s_mul_i32 s4, s4, s18
	s_add_i32 s2, s0, s2
	v_cmp_gt_u32_e64 s[0:1], s10, v1
	v_xor_b32_e32 v1, 32, v13
	v_add_u32_e32 v14, 64, v0
	s_add_i32 s4, s2, s4
	v_cmp_lt_i32_e64 s[2:3], v1, v14
	v_cmp_gt_u32_e32 vcc, 2, v12
	s_nop 0
	v_cndmask_b32_e64 v0, v13, v1, s[2:3]
	v_lshlrev_b32_e32 v0, 2, v0
	v_xor_b32_e32 v1, 16, v13
	v_cmp_lt_i32_e64 s[2:3], v1, v14
	s_waitcnt vmcnt(0)
	ds_bpermute_b32 v4, v0, v2
	ds_bpermute_b32 v5, v0, v3
	v_cndmask_b32_e64 v1, v13, v1, s[2:3]
	v_lshlrev_b32_e32 v1, 2, v1
	s_waitcnt lgkmcnt(0)
	v_pk_add_f32 v[4:5], v[2:3], v[4:5]
	ds_bpermute_b32 v6, v1, v4
	ds_bpermute_b32 v7, v1, v5
	v_xor_b32_e32 v2, 8, v13
	v_cmp_lt_i32_e64 s[2:3], v2, v14
	v_xor_b32_e32 v3, 4, v13
	s_waitcnt lgkmcnt(0)
	v_pk_add_f32 v[4:5], v[4:5], v[6:7]
	v_cndmask_b32_e64 v2, v13, v2, s[2:3]
	v_lshlrev_b32_e32 v2, 2, v2
	ds_bpermute_b32 v6, v2, v4
	ds_bpermute_b32 v7, v2, v5
	v_cmp_lt_i32_e64 s[2:3], v3, v14
	s_waitcnt lgkmcnt(0)
	v_pk_add_f32 v[6:7], v[4:5], v[6:7]
	v_cndmask_b32_e64 v3, v13, v3, s[2:3]
	v_lshlrev_b32_e32 v3, 2, v3
	ds_bpermute_b32 v8, v3, v6
	ds_bpermute_b32 v9, v3, v7
	v_xor_b32_e32 v4, 2, v13
	v_cmp_lt_i32_e64 s[2:3], v4, v14
	v_xor_b32_e32 v5, 1, v13
	s_waitcnt lgkmcnt(0)
	v_pk_add_f32 v[8:9], v[6:7], v[8:9]
	v_cndmask_b32_e64 v4, v13, v4, s[2:3]
	v_lshlrev_b32_e32 v4, 2, v4
	ds_bpermute_b32 v10, v4, v8
	ds_bpermute_b32 v11, v4, v9
	v_cmp_lt_i32_e64 s[2:3], v5, v14
	s_waitcnt lgkmcnt(0)
	v_pk_add_f32 v[8:9], v[8:9], v[10:11]
	v_cndmask_b32_e64 v5, v13, v5, s[2:3]
	v_lshlrev_b32_e32 v6, 2, v5
	ds_bpermute_b32 v10, v6, v8
	ds_bpermute_b32 v11, v6, v9
	s_lshl_b64 s[2:3], s[4:5], 2
	s_add_u32 s2, s6, s2
	s_addc_u32 s3, s7, s3
	s_and_b64 s[0:1], vcc, s[0:1]
	s_waitcnt lgkmcnt(0)
	v_pk_add_f32 v[8:9], v[8:9], v[10:11]
	v_lshlrev_b32_e32 v5, 2, v12
	scratch_store_dwordx2 off, v[8:9], off
	s_and_saveexec_b64 s[4:5], s[0:1]
	s_cbranch_execz .LBB82_7
; %bb.6:
	scratch_load_dword v7, v5, off
	s_waitcnt vmcnt(0)
	global_store_dword v5, v7, s[2:3]
.LBB82_7:
	s_or_b64 exec, exec, s[4:5]
	scratch_load_dwordx2 v[8:9], off, off offset:8
	s_waitcnt vmcnt(0)
	ds_bpermute_b32 v10, v0, v8
	ds_bpermute_b32 v11, v0, v9
	s_waitcnt lgkmcnt(0)
	v_pk_add_f32 v[8:9], v[8:9], v[10:11]
	ds_bpermute_b32 v10, v1, v8
	ds_bpermute_b32 v11, v1, v9
	s_waitcnt lgkmcnt(0)
	v_pk_add_f32 v[8:9], v[8:9], v[10:11]
	;; [unrolled: 4-line block ×6, first 2 shown]
	scratch_store_dwordx2 off, v[8:9], off offset:8
	s_and_saveexec_b64 s[4:5], s[0:1]
	s_cbranch_execz .LBB82_9
; %bb.8:
	scratch_load_dword v7, v5, off offset:8
	v_add_u32_e32 v8, s10, v12
	v_mov_b32_e32 v9, 0
	v_lshl_add_u64 v[8:9], v[8:9], 2, s[2:3]
	s_waitcnt vmcnt(0)
	global_store_dword v[8:9], v7, off
.LBB82_9:
	s_or_b64 exec, exec, s[4:5]
	scratch_load_dwordx2 v[8:9], off, off offset:16
	s_waitcnt vmcnt(0)
	ds_bpermute_b32 v10, v0, v8
	ds_bpermute_b32 v11, v0, v9
	s_waitcnt lgkmcnt(0)
	v_pk_add_f32 v[8:9], v[8:9], v[10:11]
	ds_bpermute_b32 v10, v1, v8
	ds_bpermute_b32 v11, v1, v9
	s_waitcnt lgkmcnt(0)
	v_pk_add_f32 v[8:9], v[8:9], v[10:11]
	;; [unrolled: 4-line block ×6, first 2 shown]
	scratch_store_dwordx2 off, v[8:9], off offset:16
	s_and_saveexec_b64 s[4:5], s[0:1]
	s_cbranch_execz .LBB82_11
; %bb.10:
	scratch_load_dword v7, v5, off offset:16
	v_lshl_or_b32 v8, s10, 1, v12
	v_mov_b32_e32 v9, 0
	v_lshl_add_u64 v[8:9], v[8:9], 2, s[2:3]
	s_waitcnt vmcnt(0)
	global_store_dword v[8:9], v7, off
.LBB82_11:
	s_or_b64 exec, exec, s[4:5]
	scratch_load_dwordx2 v[8:9], off, off offset:24
	s_waitcnt vmcnt(0)
	ds_bpermute_b32 v10, v0, v8
	ds_bpermute_b32 v11, v0, v9
	s_waitcnt lgkmcnt(0)
	v_pk_add_f32 v[8:9], v[8:9], v[10:11]
	ds_bpermute_b32 v10, v1, v8
	ds_bpermute_b32 v11, v1, v9
	s_waitcnt lgkmcnt(0)
	v_pk_add_f32 v[8:9], v[8:9], v[10:11]
	;; [unrolled: 4-line block ×6, first 2 shown]
	scratch_store_dwordx2 off, v[8:9], off offset:24
	s_and_saveexec_b64 s[4:5], s[0:1]
	s_cbranch_execz .LBB82_13
; %bb.12:
	scratch_load_dword v7, v5, off offset:24
	v_mad_u64_u32 v[8:9], s[6:7], s10, 3, v[12:13]
	v_mov_b32_e32 v9, 0
	v_lshl_add_u64 v[8:9], v[8:9], 2, s[2:3]
	s_waitcnt vmcnt(0)
	global_store_dword v[8:9], v7, off
.LBB82_13:
	s_or_b64 exec, exec, s[4:5]
	scratch_load_dwordx2 v[8:9], off, off offset:32
	s_waitcnt vmcnt(0)
	ds_bpermute_b32 v10, v0, v8
	ds_bpermute_b32 v11, v0, v9
	s_waitcnt lgkmcnt(0)
	v_pk_add_f32 v[8:9], v[8:9], v[10:11]
	ds_bpermute_b32 v10, v1, v8
	ds_bpermute_b32 v11, v1, v9
	s_waitcnt lgkmcnt(0)
	v_pk_add_f32 v[8:9], v[8:9], v[10:11]
	;; [unrolled: 4-line block ×6, first 2 shown]
	scratch_store_dwordx2 off, v[8:9], off offset:32
	s_and_saveexec_b64 s[4:5], s[0:1]
	s_cbranch_execz .LBB82_15
; %bb.14:
	scratch_load_dword v7, v5, off offset:32
	v_lshl_or_b32 v8, s10, 2, v12
	v_mov_b32_e32 v9, 0
	v_lshl_add_u64 v[8:9], v[8:9], 2, s[2:3]
	s_waitcnt vmcnt(0)
	global_store_dword v[8:9], v7, off
.LBB82_15:
	s_or_b64 exec, exec, s[4:5]
	scratch_load_dwordx2 v[8:9], off, off offset:40
	s_waitcnt vmcnt(0)
	ds_bpermute_b32 v10, v0, v8
	ds_bpermute_b32 v11, v0, v9
	s_waitcnt lgkmcnt(0)
	v_pk_add_f32 v[8:9], v[8:9], v[10:11]
	ds_bpermute_b32 v10, v1, v8
	ds_bpermute_b32 v11, v1, v9
	s_waitcnt lgkmcnt(0)
	v_pk_add_f32 v[8:9], v[8:9], v[10:11]
	;; [unrolled: 4-line block ×6, first 2 shown]
	scratch_store_dwordx2 off, v[8:9], off offset:40
	s_and_saveexec_b64 s[4:5], s[0:1]
	s_cbranch_execz .LBB82_17
; %bb.16:
	scratch_load_dword v7, v5, off offset:40
	v_mad_u64_u32 v[8:9], s[6:7], s10, 5, v[12:13]
	v_mov_b32_e32 v9, 0
	v_lshl_add_u64 v[8:9], v[8:9], 2, s[2:3]
	s_waitcnt vmcnt(0)
	global_store_dword v[8:9], v7, off
.LBB82_17:
	s_or_b64 exec, exec, s[4:5]
	scratch_load_dwordx2 v[8:9], off, off offset:48
	s_waitcnt vmcnt(0)
	ds_bpermute_b32 v10, v0, v8
	ds_bpermute_b32 v11, v0, v9
	s_waitcnt lgkmcnt(0)
	v_pk_add_f32 v[8:9], v[8:9], v[10:11]
	ds_bpermute_b32 v0, v1, v8
	ds_bpermute_b32 v1, v1, v9
	s_waitcnt lgkmcnt(0)
	v_pk_add_f32 v[0:1], v[8:9], v[0:1]
	;; [unrolled: 4-line block ×6, first 2 shown]
	scratch_store_dwordx2 off, v[0:1], off offset:48
	s_and_b64 exec, exec, s[0:1]
	s_cbranch_execz .LBB82_19
; %bb.18:
	scratch_load_dword v2, v5, off offset:48
	s_mul_i32 s0, s10, 6
	v_or_b32_e32 v0, s0, v12
	v_mov_b32_e32 v1, 0
	v_lshl_add_u64 v[0:1], v[0:1], 2, s[2:3]
	s_waitcnt vmcnt(0)
	global_store_dword v[0:1], v2, off
.LBB82_19:
	s_endpgm
	.section	.rodata,"a",@progbits
	.p2align	6, 0x0
	.amdhsa_kernel _ZL13mul_mat_vec_qIL9ggml_type39ELi7ELb0ELb0EEvPKvS2_PKi31ggml_cuda_mm_fusion_args_devicePfj15HIP_vector_typeIjLj3EEjjjS8_jjjS8_jjjj
		.amdhsa_group_segment_fixed_size 0
		.amdhsa_private_segment_fixed_size 64
		.amdhsa_kernarg_size 144
		.amdhsa_user_sgpr_count 2
		.amdhsa_user_sgpr_dispatch_ptr 0
		.amdhsa_user_sgpr_queue_ptr 0
		.amdhsa_user_sgpr_kernarg_segment_ptr 1
		.amdhsa_user_sgpr_dispatch_id 0
		.amdhsa_user_sgpr_kernarg_preload_length 0
		.amdhsa_user_sgpr_kernarg_preload_offset 0
		.amdhsa_user_sgpr_private_segment_size 0
		.amdhsa_uses_dynamic_stack 0
		.amdhsa_enable_private_segment 1
		.amdhsa_system_sgpr_workgroup_id_x 1
		.amdhsa_system_sgpr_workgroup_id_y 1
		.amdhsa_system_sgpr_workgroup_id_z 1
		.amdhsa_system_sgpr_workgroup_info 0
		.amdhsa_system_vgpr_workitem_id 1
		.amdhsa_next_free_vgpr 49
		.amdhsa_next_free_sgpr 32
		.amdhsa_accum_offset 52
		.amdhsa_reserve_vcc 1
		.amdhsa_float_round_mode_32 0
		.amdhsa_float_round_mode_16_64 0
		.amdhsa_float_denorm_mode_32 3
		.amdhsa_float_denorm_mode_16_64 3
		.amdhsa_dx10_clamp 1
		.amdhsa_ieee_mode 1
		.amdhsa_fp16_overflow 0
		.amdhsa_tg_split 0
		.amdhsa_exception_fp_ieee_invalid_op 0
		.amdhsa_exception_fp_denorm_src 0
		.amdhsa_exception_fp_ieee_div_zero 0
		.amdhsa_exception_fp_ieee_overflow 0
		.amdhsa_exception_fp_ieee_underflow 0
		.amdhsa_exception_fp_ieee_inexact 0
		.amdhsa_exception_int_div_zero 0
	.end_amdhsa_kernel
	.section	.text._ZL13mul_mat_vec_qIL9ggml_type39ELi7ELb0ELb0EEvPKvS2_PKi31ggml_cuda_mm_fusion_args_devicePfj15HIP_vector_typeIjLj3EEjjjS8_jjjS8_jjjj,"axG",@progbits,_ZL13mul_mat_vec_qIL9ggml_type39ELi7ELb0ELb0EEvPKvS2_PKi31ggml_cuda_mm_fusion_args_devicePfj15HIP_vector_typeIjLj3EEjjjS8_jjjS8_jjjj,comdat
.Lfunc_end82:
	.size	_ZL13mul_mat_vec_qIL9ggml_type39ELi7ELb0ELb0EEvPKvS2_PKi31ggml_cuda_mm_fusion_args_devicePfj15HIP_vector_typeIjLj3EEjjjS8_jjjS8_jjjj, .Lfunc_end82-_ZL13mul_mat_vec_qIL9ggml_type39ELi7ELb0ELb0EEvPKvS2_PKi31ggml_cuda_mm_fusion_args_devicePfj15HIP_vector_typeIjLj3EEjjjS8_jjjS8_jjjj
                                        ; -- End function
	.section	.AMDGPU.csdata,"",@progbits
; Kernel info:
; codeLenInByte = 3888
; NumSgprs: 38
; NumVgprs: 49
; NumAgprs: 0
; TotalNumVgprs: 49
; ScratchSize: 64
; MemoryBound: 0
; FloatMode: 240
; IeeeMode: 1
; LDSByteSize: 0 bytes/workgroup (compile time only)
; SGPRBlocks: 4
; VGPRBlocks: 6
; NumSGPRsForWavesPerEU: 38
; NumVGPRsForWavesPerEU: 49
; AccumOffset: 52
; Occupancy: 8
; WaveLimiterHint : 0
; COMPUTE_PGM_RSRC2:SCRATCH_EN: 1
; COMPUTE_PGM_RSRC2:USER_SGPR: 2
; COMPUTE_PGM_RSRC2:TRAP_HANDLER: 0
; COMPUTE_PGM_RSRC2:TGID_X_EN: 1
; COMPUTE_PGM_RSRC2:TGID_Y_EN: 1
; COMPUTE_PGM_RSRC2:TGID_Z_EN: 1
; COMPUTE_PGM_RSRC2:TIDIG_COMP_CNT: 1
; COMPUTE_PGM_RSRC3_GFX90A:ACCUM_OFFSET: 12
; COMPUTE_PGM_RSRC3_GFX90A:TG_SPLIT: 0
	.section	.text._ZL13mul_mat_vec_qIL9ggml_type39ELi8ELb0ELb0EEvPKvS2_PKi31ggml_cuda_mm_fusion_args_devicePfj15HIP_vector_typeIjLj3EEjjjS8_jjjS8_jjjj,"axG",@progbits,_ZL13mul_mat_vec_qIL9ggml_type39ELi8ELb0ELb0EEvPKvS2_PKi31ggml_cuda_mm_fusion_args_devicePfj15HIP_vector_typeIjLj3EEjjjS8_jjjS8_jjjj,comdat
	.globl	_ZL13mul_mat_vec_qIL9ggml_type39ELi8ELb0ELb0EEvPKvS2_PKi31ggml_cuda_mm_fusion_args_devicePfj15HIP_vector_typeIjLj3EEjjjS8_jjjS8_jjjj ; -- Begin function _ZL13mul_mat_vec_qIL9ggml_type39ELi8ELb0ELb0EEvPKvS2_PKi31ggml_cuda_mm_fusion_args_devicePfj15HIP_vector_typeIjLj3EEjjjS8_jjjS8_jjjj
	.p2align	8
	.type	_ZL13mul_mat_vec_qIL9ggml_type39ELi8ELb0ELb0EEvPKvS2_PKi31ggml_cuda_mm_fusion_args_devicePfj15HIP_vector_typeIjLj3EEjjjS8_jjjS8_jjjj,@function
_ZL13mul_mat_vec_qIL9ggml_type39ELi8ELb0ELb0EEvPKvS2_PKi31ggml_cuda_mm_fusion_args_devicePfj15HIP_vector_typeIjLj3EEjjjS8_jjjS8_jjjj: ; @_ZL13mul_mat_vec_qIL9ggml_type39ELi8ELb0ELb0EEvPKvS2_PKi31ggml_cuda_mm_fusion_args_devicePfj15HIP_vector_typeIjLj3EEjjjS8_jjjS8_jjjj
; %bb.0:
	v_bfe_u32 v17, v0, 10, 10
	v_lshlrev_b32_e32 v1, 6, v17
	v_and_b32_e32 v16, 0x3ff, v0
	s_mov_b32 s20, 0
	s_load_dword s5, s[0:1], 0x40
	s_load_dwordx4 s[8:11], s[0:1], 0x50
	s_load_dword s25, s[0:1], 0x60
	s_load_dwordx4 s[12:15], s[0:1], 0x68
	;; [unrolled: 2-line block ×3, first 2 shown]
	s_mov_b32 s21, s20
	v_add_u16_e32 v0, v1, v16
	s_waitcnt lgkmcnt(0)
	s_lshr_b32 s5, s5, 5
	s_mov_b32 s22, s20
	s_mov_b32 s23, s20
	v_mov_b64_e32 v[2:3], s[20:21]
	v_lshrrev_b16_e32 v28, 1, v0
	s_lshl_b32 s2, s2, 1
	v_mov_b64_e32 v[4:5], s[22:23]
	v_cmp_gt_u32_e32 vcc, s5, v28
	scratch_store_dwordx4 off, v[2:5], off offset:48
	scratch_store_dwordx4 off, v[2:5], off offset:32
	;; [unrolled: 1-line block ×3, first 2 shown]
	scratch_store_dwordx4 off, v[2:5], off
	s_and_saveexec_b64 s[6:7], vcc
	s_cbranch_execz .LBB83_4
; %bb.1:
	s_load_dwordx4 s[20:23], s[0:1], 0x0
	s_mul_i32 s17, s4, s17
	s_mul_hi_u32 s19, s17, 36
	s_mul_i32 s17, s17, 36
	s_mul_i32 s13, s3, s13
	s_waitcnt lgkmcnt(0)
	s_add_u32 s17, s22, s17
	s_addc_u32 s19, s23, s19
	s_mul_hi_u32 s23, s13, 36
	s_mul_i32 s13, s13, 36
	s_add_u32 s22, s17, s13
	s_mul_hi_u32 s11, s11, s3
	s_addc_u32 s23, s19, s23
	s_add_i32 s11, s3, s11
	v_and_b32_e32 v2, 1, v16
	s_lshr_b32 s11, s11, s25
	v_lshlrev_b32_e32 v20, 3, v2
	v_and_b32_e32 v2, v1, v16
	v_xor_b32_e32 v1, v1, v16
	s_mul_i32 s17, s11, s12
	s_mul_hi_u32 s11, s15, s4
	v_lshrrev_b16_e32 v1, 1, v1
	s_add_i32 s11, s4, s11
	v_add_u16_e32 v1, v2, v1
	s_lshr_b32 s11, s11, s24
	v_mad_u64_u32 v[22:23], s[12:13], v1, 36, s[22:23]
	s_mul_i32 s16, s11, s16
	v_lshlrev_b32_e32 v0, 1, v16
	s_add_i32 s13, s2, 1
	v_and_b32_e32 v0, 2, v0
	v_mov_b32_e32 v19, 0
	s_mul_i32 s27, s2, s8
	s_add_i32 s12, s16, s17
	s_mul_i32 s8, s8, s13
	v_lshlrev_b32_e32 v18, 2, v0
	v_mov_b32_e32 v21, v19
	s_lshl_b32 s11, s9, 1
	s_mul_i32 s15, s9, 3
	s_lshl_b32 s19, s9, 2
	s_mul_i32 s24, s9, 5
	s_mul_i32 s25, s9, 6
	;; [unrolled: 1-line block ×3, first 2 shown]
	s_add_i32 s8, s12, s8
	s_add_i32 s27, s12, s27
	s_mov_b64 s[12:13], 0
	s_mov_b32 s28, 0xc080604
	v_mov_b32_e32 v29, 0x3020100
	s_mov_b32 s29, 0xf4f8fafc
	v_mov_b32_e32 v30, 0xfdfeff00
	v_mov_b32_e32 v31, 0x200000
	v_lshlrev_b32_e32 v24, 2, v0
	v_mov_b32_e32 v25, v19
	s_mov_b64 s[16:17], 0x480
	v_mov_b32_e32 v12, v19
	v_mov_b32_e32 v13, v19
	;; [unrolled: 1-line block ×16, first 2 shown]
.LBB83_2:                               ; =>This Inner Loop Header: Depth=1
	v_add_u32_e32 v32, s27, v28
	v_lshl_add_u64 v[26:27], v[22:23], 0, v[20:21]
	global_load_dwordx2 v[40:41], v[26:27], off offset:4
	global_load_dwordx2 v[42:43], v[26:27], off offset:20
	global_load_dword v33, v[22:23], off
	v_mad_i64_i32 v[26:27], s[30:31], v32, 17, s[20:21]
	v_lshl_add_u64 v[34:35], v[26:27], 0, v[18:19]
	global_load_dword v32, v[34:35], off offset:1
	global_load_ubyte v48, v[26:27], off
	v_add_u32_e32 v26, s8, v28
	global_load_dword v34, v[34:35], off offset:5
	v_mad_i64_i32 v[26:27], s[30:31], v26, 17, s[20:21]
	v_lshl_add_u64 v[46:47], v[26:27], 0, v[18:19]
	v_mov_b32_e32 v45, 0
	v_lshl_add_u64 v[22:23], v[22:23], 0, s[16:17]
	s_waitcnt vmcnt(3)
	v_cvt_f32_f16_e32 v44, v33
	s_waitcnt vmcnt(2)
	v_ashrrev_i32_e32 v33, 4, v32
	v_and_b32_e32 v36, 0x7070707, v32
	v_lshrrev_b32_e32 v32, 1, v32
	v_and_b32_e32 v32, 0x4040404, v32
	v_perm_b32 v37, s28, v29, v36
	v_perm_b32 v36, s29, v30, v36
	v_or_b32_e32 v32, 0x3020100, v32
	v_perm_b32 v32, v36, v37, v32
	s_waitcnt vmcnt(0)
	v_ashrrev_i32_e32 v35, 4, v34
	v_and_b32_e32 v36, 0x7070707, v34
	v_lshrrev_b32_e32 v34, 1, v34
	v_and_b32_e32 v34, 0x4040404, v34
	v_perm_b32 v37, s28, v29, v36
	v_perm_b32 v36, s29, v30, v36
	v_or_b32_e32 v34, 0x3020100, v34
	v_perm_b32 v34, v36, v37, v34
	global_load_dword v36, v[46:47], off offset:1
	v_and_b32_e32 v38, 0x7070707, v33
	v_lshrrev_b32_e32 v33, 1, v33
	v_and_b32_e32 v33, 0x4040404, v33
	v_perm_b32 v39, s28, v29, v38
	v_perm_b32 v38, s29, v30, v38
	v_or_b32_e32 v33, 0x3020100, v33
	v_perm_b32 v33, v38, v39, v33
	v_and_b32_e32 v38, 0x7070707, v35
	v_lshrrev_b32_e32 v35, 1, v35
	v_and_b32_e32 v35, 0x4040404, v35
	v_perm_b32 v39, s28, v29, v38
	v_perm_b32 v38, s29, v30, v38
	v_or_b32_e32 v35, 0x3020100, v35
	v_perm_b32 v35, v38, v39, v35
	v_dot4c_i32_i8_e32 v45, v32, v40
	v_dot4c_i32_i8_e32 v45, v33, v42
	;; [unrolled: 1-line block ×4, first 2 shown]
	s_waitcnt vmcnt(0)
	v_ashrrev_i32_e32 v38, 4, v36
	v_and_b32_e32 v37, 0x7070707, v36
	v_lshrrev_b32_e32 v36, 1, v36
	v_and_b32_e32 v36, 0x4040404, v36
	v_perm_b32 v39, s28, v29, v37
	v_perm_b32 v37, s29, v30, v37
	v_or_b32_e32 v36, 0x3020100, v36
	v_perm_b32 v37, v37, v39, v36
	v_lshrrev_b32_e32 v36, 1, v38
	v_and_b32_e32 v49, 0x7070707, v38
	v_and_b32_e32 v36, 0x4040404, v36
	v_perm_b32 v50, s28, v29, v49
	v_perm_b32 v49, s29, v30, v49
	v_or_b32_e32 v36, 0x3020100, v36
	v_perm_b32 v38, v49, v50, v36
	global_load_dword v36, v[46:47], off offset:5
	v_mov_b32_e32 v49, 0
	v_dot4c_i32_i8_e32 v49, v37, v40
	v_dot4c_i32_i8_e32 v49, v38, v42
	s_waitcnt vmcnt(0)
	v_ashrrev_i32_e32 v40, 4, v36
	v_and_b32_e32 v39, 0x7070707, v36
	v_lshrrev_b32_e32 v36, 1, v36
	v_and_b32_e32 v36, 0x4040404, v36
	v_perm_b32 v42, s28, v29, v39
	v_perm_b32 v39, s29, v30, v39
	v_or_b32_e32 v36, 0x3020100, v36
	v_and_b32_e32 v46, 0x7070707, v40
	v_perm_b32 v39, v39, v42, v36
	v_lshrrev_b32_e32 v36, 1, v40
	global_load_ubyte v40, v[26:27], off
	v_and_b32_e32 v36, 0x4040404, v36
	v_perm_b32 v47, s28, v29, v46
	v_perm_b32 v46, s29, v30, v46
	v_or_b32_e32 v36, 0x3020100, v36
	v_perm_b32 v36, v46, v47, v36
	v_dot4c_i32_i8_e32 v49, v39, v41
	v_dot4c_i32_i8_e32 v49, v36, v43
	v_lshlrev_b32_e32 v26, 23, v48
	v_cvt_f32_i32_e32 v42, v45
	s_waitcnt vmcnt(0)
	v_lshlrev_b32_e32 v27, 23, v40
	v_pk_mul_f32 v[26:27], v[26:27], 0.5 op_sel_hi:[1,0]
	v_cmp_ne_u16_e32 vcc, 0, v40
	v_cvt_f32_i32_e32 v43, v49
	s_nop 0
	v_cndmask_b32_e32 v27, v31, v27, vcc
	v_cmp_ne_u16_e32 vcc, 0, v48
	s_nop 1
	v_cndmask_b32_e32 v26, v31, v26, vcc
	v_pk_mul_f32 v[40:41], v[26:27], v[44:45] op_sel_hi:[1,0]
	s_nop 0
	v_pk_fma_f32 v[12:13], v[40:41], v[42:43], v[12:13]
	v_add_u32_e32 v40, s9, v28
	v_mad_u64_u32 v[40:41], s[30:31], v40, 36, s[22:23]
	v_lshl_add_u64 v[42:43], v[40:41], 0, v[24:25]
	global_load_dwordx2 v[44:45], v[42:43], off offset:4
	global_load_dwordx2 v[46:47], v[42:43], off offset:20
	global_load_dword v48, v[40:41], off
	v_mov_b32_e32 v42, 0
	v_mov_b32_e32 v43, 0
	s_waitcnt vmcnt(2)
	v_dot4c_i32_i8_e32 v42, v32, v44
	v_dot4c_i32_i8_e32 v43, v37, v44
	s_waitcnt vmcnt(1)
	v_dot4c_i32_i8_e32 v42, v33, v46
	v_dot4c_i32_i8_e32 v43, v38, v46
	v_dot4c_i32_i8_e32 v42, v34, v45
	v_dot4c_i32_i8_e32 v43, v39, v45
	s_waitcnt vmcnt(0)
	v_cvt_f32_f16_e32 v40, v48
	v_dot4c_i32_i8_e32 v42, v35, v47
	v_dot4c_i32_i8_e32 v43, v36, v47
	v_pk_mul_f32 v[40:41], v[26:27], v[40:41] op_sel_hi:[1,0]
	s_nop 0
	v_cvt_f32_i32_e32 v42, v42
	v_cvt_f32_i32_e32 v43, v43
	v_pk_fma_f32 v[14:15], v[40:41], v[42:43], v[14:15]
	v_add_u32_e32 v40, s11, v28
	v_mad_u64_u32 v[40:41], s[30:31], v40, 36, s[22:23]
	v_lshl_add_u64 v[42:43], v[40:41], 0, v[24:25]
	global_load_dwordx2 v[44:45], v[42:43], off offset:4
	global_load_dwordx2 v[46:47], v[42:43], off offset:20
	global_load_dword v48, v[40:41], off
	v_mov_b32_e32 v42, 0
	v_mov_b32_e32 v43, 0
	s_waitcnt vmcnt(2)
	v_dot4c_i32_i8_e32 v42, v32, v44
	v_dot4c_i32_i8_e32 v43, v37, v44
	s_waitcnt vmcnt(1)
	v_dot4c_i32_i8_e32 v42, v33, v46
	v_dot4c_i32_i8_e32 v43, v38, v46
	v_dot4c_i32_i8_e32 v42, v34, v45
	v_dot4c_i32_i8_e32 v43, v39, v45
	s_waitcnt vmcnt(0)
	v_cvt_f32_f16_e32 v40, v48
	v_dot4c_i32_i8_e32 v42, v35, v47
	v_dot4c_i32_i8_e32 v43, v36, v47
	v_pk_mul_f32 v[40:41], v[26:27], v[40:41] op_sel_hi:[1,0]
	s_nop 0
	v_cvt_f32_i32_e32 v42, v42
	v_cvt_f32_i32_e32 v43, v43
	;; [unrolled: 25-line block ×6, first 2 shown]
	v_pk_fma_f32 v[0:1], v[40:41], v[42:43], v[0:1]
	v_add_u32_e32 v40, s26, v28
	v_mad_u64_u32 v[40:41], s[30:31], v40, 36, s[22:23]
	v_lshl_add_u64 v[42:43], v[40:41], 0, v[24:25]
	global_load_dwordx2 v[44:45], v[42:43], off offset:4
	global_load_dwordx2 v[46:47], v[42:43], off offset:20
	global_load_dword v48, v[40:41], off
	v_mov_b32_e32 v41, 0
	v_add_u32_e32 v28, 32, v28
	v_cmp_le_u32_e32 vcc, s5, v28
	s_or_b64 s[12:13], vcc, s[12:13]
	s_waitcnt vmcnt(2)
	v_dot4c_i32_i8_e32 v41, v32, v44
	v_mov_b32_e32 v32, 0
	v_dot4c_i32_i8_e32 v32, v37, v44
	s_waitcnt vmcnt(1)
	v_dot4c_i32_i8_e32 v41, v33, v46
	v_dot4c_i32_i8_e32 v32, v38, v46
	v_dot4c_i32_i8_e32 v41, v34, v45
	v_dot4c_i32_i8_e32 v32, v39, v45
	s_waitcnt vmcnt(0)
	v_cvt_f32_f16_e32 v40, v48
	v_dot4c_i32_i8_e32 v41, v35, v47
	v_dot4c_i32_i8_e32 v32, v36, v47
	s_nop 1
	v_pk_mul_f32 v[26:27], v[26:27], v[40:41] op_sel_hi:[1,0]
	v_cvt_f32_i32_e32 v33, v32
	v_cvt_f32_i32_e32 v32, v41
	v_pk_fma_f32 v[2:3], v[26:27], v[32:33], v[2:3]
	s_andn2_b64 exec, exec, s[12:13]
	s_cbranch_execnz .LBB83_2
; %bb.3:
	s_or_b64 exec, exec, s[12:13]
	scratch_store_dwordx4 off, v[12:15], off
	scratch_store_dwordx4 off, v[8:11], off offset:16
	scratch_store_dwordx4 off, v[4:7], off offset:32
	;; [unrolled: 1-line block ×3, first 2 shown]
.LBB83_4:
	s_or_b64 exec, exec, s[6:7]
	s_mov_b32 s5, 0
	v_cmp_eq_u32_e32 vcc, 0, v17
	s_waitcnt lgkmcnt(0)
	; wave barrier
	s_and_saveexec_b64 s[6:7], vcc
	s_cbranch_execz .LBB83_21
; %bb.5:
	scratch_load_dwordx2 v[2:3], off, off
	v_mbcnt_lo_u32_b32 v0, -1, 0
	v_mbcnt_hi_u32_b32 v12, -1, v0
	s_load_dwordx2 s[6:7], s[0:1], 0x38
	s_mul_i32 s0, s3, s14
	v_or_b32_e32 v1, s2, v16
	v_and_b32_e32 v0, 64, v12
	s_mul_i32 s4, s4, s18
	s_add_i32 s2, s0, s2
	v_cmp_gt_u32_e64 s[0:1], s10, v1
	v_xor_b32_e32 v1, 32, v12
	v_add_u32_e32 v13, 64, v0
	s_add_i32 s4, s2, s4
	v_cmp_lt_i32_e64 s[2:3], v1, v13
	v_cmp_gt_u32_e32 vcc, 2, v16
	s_nop 0
	v_cndmask_b32_e64 v0, v12, v1, s[2:3]
	v_lshlrev_b32_e32 v0, 2, v0
	v_xor_b32_e32 v1, 16, v12
	v_cmp_lt_i32_e64 s[2:3], v1, v13
	s_waitcnt vmcnt(0)
	ds_bpermute_b32 v4, v0, v2
	ds_bpermute_b32 v5, v0, v3
	v_cndmask_b32_e64 v1, v12, v1, s[2:3]
	v_lshlrev_b32_e32 v1, 2, v1
	s_waitcnt lgkmcnt(0)
	v_pk_add_f32 v[4:5], v[2:3], v[4:5]
	ds_bpermute_b32 v6, v1, v4
	ds_bpermute_b32 v7, v1, v5
	v_xor_b32_e32 v2, 8, v12
	v_cmp_lt_i32_e64 s[2:3], v2, v13
	v_xor_b32_e32 v3, 4, v12
	s_waitcnt lgkmcnt(0)
	v_pk_add_f32 v[4:5], v[4:5], v[6:7]
	v_cndmask_b32_e64 v2, v12, v2, s[2:3]
	v_lshlrev_b32_e32 v2, 2, v2
	ds_bpermute_b32 v6, v2, v4
	ds_bpermute_b32 v7, v2, v5
	v_cmp_lt_i32_e64 s[2:3], v3, v13
	s_waitcnt lgkmcnt(0)
	v_pk_add_f32 v[6:7], v[4:5], v[6:7]
	v_cndmask_b32_e64 v3, v12, v3, s[2:3]
	v_lshlrev_b32_e32 v3, 2, v3
	ds_bpermute_b32 v8, v3, v6
	ds_bpermute_b32 v9, v3, v7
	v_xor_b32_e32 v4, 2, v12
	v_cmp_lt_i32_e64 s[2:3], v4, v13
	v_xor_b32_e32 v5, 1, v12
	s_waitcnt lgkmcnt(0)
	v_pk_add_f32 v[8:9], v[6:7], v[8:9]
	v_cndmask_b32_e64 v4, v12, v4, s[2:3]
	v_lshlrev_b32_e32 v4, 2, v4
	ds_bpermute_b32 v10, v4, v8
	ds_bpermute_b32 v11, v4, v9
	v_cmp_lt_i32_e64 s[2:3], v5, v13
	s_waitcnt lgkmcnt(0)
	v_pk_add_f32 v[8:9], v[8:9], v[10:11]
	v_cndmask_b32_e64 v5, v12, v5, s[2:3]
	v_lshlrev_b32_e32 v6, 2, v5
	ds_bpermute_b32 v10, v6, v8
	ds_bpermute_b32 v11, v6, v9
	s_lshl_b64 s[2:3], s[4:5], 2
	s_add_u32 s2, s6, s2
	s_addc_u32 s3, s7, s3
	s_and_b64 s[0:1], vcc, s[0:1]
	s_waitcnt lgkmcnt(0)
	v_pk_add_f32 v[8:9], v[8:9], v[10:11]
	v_lshlrev_b32_e32 v5, 2, v16
	scratch_store_dwordx2 off, v[8:9], off
	s_and_saveexec_b64 s[4:5], s[0:1]
	s_cbranch_execz .LBB83_7
; %bb.6:
	scratch_load_dword v7, v5, off
	s_waitcnt vmcnt(0)
	global_store_dword v5, v7, s[2:3]
.LBB83_7:
	s_or_b64 exec, exec, s[4:5]
	scratch_load_dwordx2 v[8:9], off, off offset:8
	s_waitcnt vmcnt(0)
	ds_bpermute_b32 v10, v0, v8
	ds_bpermute_b32 v11, v0, v9
	s_waitcnt lgkmcnt(0)
	v_pk_add_f32 v[8:9], v[8:9], v[10:11]
	ds_bpermute_b32 v10, v1, v8
	ds_bpermute_b32 v11, v1, v9
	s_waitcnt lgkmcnt(0)
	v_pk_add_f32 v[8:9], v[8:9], v[10:11]
	;; [unrolled: 4-line block ×6, first 2 shown]
	scratch_store_dwordx2 off, v[8:9], off offset:8
	s_and_saveexec_b64 s[4:5], s[0:1]
	s_cbranch_execz .LBB83_9
; %bb.8:
	scratch_load_dword v7, v5, off offset:8
	v_add_u32_e32 v8, s10, v16
	v_mov_b32_e32 v9, 0
	v_lshl_add_u64 v[8:9], v[8:9], 2, s[2:3]
	s_waitcnt vmcnt(0)
	global_store_dword v[8:9], v7, off
.LBB83_9:
	s_or_b64 exec, exec, s[4:5]
	scratch_load_dwordx2 v[8:9], off, off offset:16
	s_waitcnt vmcnt(0)
	ds_bpermute_b32 v10, v0, v8
	ds_bpermute_b32 v11, v0, v9
	s_waitcnt lgkmcnt(0)
	v_pk_add_f32 v[8:9], v[8:9], v[10:11]
	ds_bpermute_b32 v10, v1, v8
	ds_bpermute_b32 v11, v1, v9
	s_waitcnt lgkmcnt(0)
	v_pk_add_f32 v[8:9], v[8:9], v[10:11]
	ds_bpermute_b32 v10, v2, v8
	ds_bpermute_b32 v11, v2, v9
	s_waitcnt lgkmcnt(0)
	v_pk_add_f32 v[8:9], v[8:9], v[10:11]
	ds_bpermute_b32 v10, v3, v8
	ds_bpermute_b32 v11, v3, v9
	s_waitcnt lgkmcnt(0)
	v_pk_add_f32 v[8:9], v[8:9], v[10:11]
	ds_bpermute_b32 v10, v4, v8
	ds_bpermute_b32 v11, v4, v9
	s_waitcnt lgkmcnt(0)
	v_pk_add_f32 v[8:9], v[8:9], v[10:11]
	ds_bpermute_b32 v10, v6, v8
	ds_bpermute_b32 v11, v6, v9
	s_waitcnt lgkmcnt(0)
	v_pk_add_f32 v[8:9], v[8:9], v[10:11]
	scratch_store_dwordx2 off, v[8:9], off offset:16
	s_and_saveexec_b64 s[4:5], s[0:1]
	s_cbranch_execz .LBB83_11
; %bb.10:
	scratch_load_dword v7, v5, off offset:16
	v_lshl_or_b32 v8, s10, 1, v16
	v_mov_b32_e32 v9, 0
	v_lshl_add_u64 v[8:9], v[8:9], 2, s[2:3]
	s_waitcnt vmcnt(0)
	global_store_dword v[8:9], v7, off
.LBB83_11:
	s_or_b64 exec, exec, s[4:5]
	scratch_load_dwordx2 v[8:9], off, off offset:24
	s_waitcnt vmcnt(0)
	ds_bpermute_b32 v10, v0, v8
	ds_bpermute_b32 v11, v0, v9
	s_waitcnt lgkmcnt(0)
	v_pk_add_f32 v[8:9], v[8:9], v[10:11]
	ds_bpermute_b32 v10, v1, v8
	ds_bpermute_b32 v11, v1, v9
	s_waitcnt lgkmcnt(0)
	v_pk_add_f32 v[8:9], v[8:9], v[10:11]
	;; [unrolled: 4-line block ×6, first 2 shown]
	scratch_store_dwordx2 off, v[8:9], off offset:24
	s_and_saveexec_b64 s[4:5], s[0:1]
	s_cbranch_execz .LBB83_13
; %bb.12:
	scratch_load_dword v7, v5, off offset:24
	v_mad_u64_u32 v[8:9], s[6:7], s10, 3, v[16:17]
	v_mov_b32_e32 v9, 0
	v_lshl_add_u64 v[8:9], v[8:9], 2, s[2:3]
	s_waitcnt vmcnt(0)
	global_store_dword v[8:9], v7, off
.LBB83_13:
	s_or_b64 exec, exec, s[4:5]
	scratch_load_dwordx2 v[8:9], off, off offset:32
	s_waitcnt vmcnt(0)
	ds_bpermute_b32 v10, v0, v8
	ds_bpermute_b32 v11, v0, v9
	s_waitcnt lgkmcnt(0)
	v_pk_add_f32 v[8:9], v[8:9], v[10:11]
	ds_bpermute_b32 v10, v1, v8
	ds_bpermute_b32 v11, v1, v9
	s_waitcnt lgkmcnt(0)
	v_pk_add_f32 v[8:9], v[8:9], v[10:11]
	;; [unrolled: 4-line block ×6, first 2 shown]
	scratch_store_dwordx2 off, v[8:9], off offset:32
	s_and_saveexec_b64 s[4:5], s[0:1]
	s_cbranch_execz .LBB83_15
; %bb.14:
	scratch_load_dword v7, v5, off offset:32
	v_lshl_or_b32 v8, s10, 2, v16
	v_mov_b32_e32 v9, 0
	v_lshl_add_u64 v[8:9], v[8:9], 2, s[2:3]
	s_waitcnt vmcnt(0)
	global_store_dword v[8:9], v7, off
.LBB83_15:
	s_or_b64 exec, exec, s[4:5]
	scratch_load_dwordx2 v[8:9], off, off offset:40
	s_waitcnt vmcnt(0)
	ds_bpermute_b32 v10, v0, v8
	ds_bpermute_b32 v11, v0, v9
	s_waitcnt lgkmcnt(0)
	v_pk_add_f32 v[8:9], v[8:9], v[10:11]
	ds_bpermute_b32 v10, v1, v8
	ds_bpermute_b32 v11, v1, v9
	s_waitcnt lgkmcnt(0)
	v_pk_add_f32 v[8:9], v[8:9], v[10:11]
	;; [unrolled: 4-line block ×6, first 2 shown]
	scratch_store_dwordx2 off, v[8:9], off offset:40
	s_and_saveexec_b64 s[4:5], s[0:1]
	s_cbranch_execz .LBB83_17
; %bb.16:
	scratch_load_dword v7, v5, off offset:40
	v_mad_u64_u32 v[8:9], s[6:7], s10, 5, v[16:17]
	v_mov_b32_e32 v9, 0
	v_lshl_add_u64 v[8:9], v[8:9], 2, s[2:3]
	s_waitcnt vmcnt(0)
	global_store_dword v[8:9], v7, off
.LBB83_17:
	s_or_b64 exec, exec, s[4:5]
	scratch_load_dwordx2 v[8:9], off, off offset:48
	s_waitcnt vmcnt(0)
	ds_bpermute_b32 v10, v0, v8
	ds_bpermute_b32 v11, v0, v9
	s_waitcnt lgkmcnt(0)
	v_pk_add_f32 v[8:9], v[8:9], v[10:11]
	ds_bpermute_b32 v10, v1, v8
	ds_bpermute_b32 v11, v1, v9
	s_waitcnt lgkmcnt(0)
	v_pk_add_f32 v[8:9], v[8:9], v[10:11]
	;; [unrolled: 4-line block ×6, first 2 shown]
	scratch_store_dwordx2 off, v[8:9], off offset:48
	s_and_saveexec_b64 s[4:5], s[0:1]
	s_cbranch_execz .LBB83_19
; %bb.18:
	scratch_load_dword v7, v5, off offset:48
	s_mul_i32 s6, s10, 6
	v_or_b32_e32 v8, s6, v16
	v_mov_b32_e32 v9, 0
	v_lshl_add_u64 v[8:9], v[8:9], 2, s[2:3]
	s_waitcnt vmcnt(0)
	global_store_dword v[8:9], v7, off
.LBB83_19:
	s_or_b64 exec, exec, s[4:5]
	scratch_load_dwordx2 v[8:9], off, off offset:56
	s_waitcnt vmcnt(0)
	ds_bpermute_b32 v10, v0, v8
	ds_bpermute_b32 v11, v0, v9
	s_waitcnt lgkmcnt(0)
	v_pk_add_f32 v[8:9], v[8:9], v[10:11]
	ds_bpermute_b32 v0, v1, v8
	ds_bpermute_b32 v1, v1, v9
	s_waitcnt lgkmcnt(0)
	v_pk_add_f32 v[0:1], v[8:9], v[0:1]
	;; [unrolled: 4-line block ×6, first 2 shown]
	scratch_store_dwordx2 off, v[0:1], off offset:56
	s_and_b64 exec, exec, s[0:1]
	s_cbranch_execz .LBB83_21
; %bb.20:
	scratch_load_dword v2, v5, off offset:56
	v_mad_u64_u32 v[0:1], s[0:1], s10, 7, v[16:17]
	v_mov_b32_e32 v1, 0
	v_lshl_add_u64 v[0:1], v[0:1], 2, s[2:3]
	s_waitcnt vmcnt(0)
	global_store_dword v[0:1], v2, off
.LBB83_21:
	s_endpgm
	.section	.rodata,"a",@progbits
	.p2align	6, 0x0
	.amdhsa_kernel _ZL13mul_mat_vec_qIL9ggml_type39ELi8ELb0ELb0EEvPKvS2_PKi31ggml_cuda_mm_fusion_args_devicePfj15HIP_vector_typeIjLj3EEjjjS8_jjjS8_jjjj
		.amdhsa_group_segment_fixed_size 0
		.amdhsa_private_segment_fixed_size 80
		.amdhsa_kernarg_size 144
		.amdhsa_user_sgpr_count 2
		.amdhsa_user_sgpr_dispatch_ptr 0
		.amdhsa_user_sgpr_queue_ptr 0
		.amdhsa_user_sgpr_kernarg_segment_ptr 1
		.amdhsa_user_sgpr_dispatch_id 0
		.amdhsa_user_sgpr_kernarg_preload_length 0
		.amdhsa_user_sgpr_kernarg_preload_offset 0
		.amdhsa_user_sgpr_private_segment_size 0
		.amdhsa_uses_dynamic_stack 0
		.amdhsa_enable_private_segment 1
		.amdhsa_system_sgpr_workgroup_id_x 1
		.amdhsa_system_sgpr_workgroup_id_y 1
		.amdhsa_system_sgpr_workgroup_id_z 1
		.amdhsa_system_sgpr_workgroup_info 0
		.amdhsa_system_vgpr_workitem_id 1
		.amdhsa_next_free_vgpr 51
		.amdhsa_next_free_sgpr 32
		.amdhsa_accum_offset 52
		.amdhsa_reserve_vcc 1
		.amdhsa_float_round_mode_32 0
		.amdhsa_float_round_mode_16_64 0
		.amdhsa_float_denorm_mode_32 3
		.amdhsa_float_denorm_mode_16_64 3
		.amdhsa_dx10_clamp 1
		.amdhsa_ieee_mode 1
		.amdhsa_fp16_overflow 0
		.amdhsa_tg_split 0
		.amdhsa_exception_fp_ieee_invalid_op 0
		.amdhsa_exception_fp_denorm_src 0
		.amdhsa_exception_fp_ieee_div_zero 0
		.amdhsa_exception_fp_ieee_overflow 0
		.amdhsa_exception_fp_ieee_underflow 0
		.amdhsa_exception_fp_ieee_inexact 0
		.amdhsa_exception_int_div_zero 0
	.end_amdhsa_kernel
	.section	.text._ZL13mul_mat_vec_qIL9ggml_type39ELi8ELb0ELb0EEvPKvS2_PKi31ggml_cuda_mm_fusion_args_devicePfj15HIP_vector_typeIjLj3EEjjjS8_jjjS8_jjjj,"axG",@progbits,_ZL13mul_mat_vec_qIL9ggml_type39ELi8ELb0ELb0EEvPKvS2_PKi31ggml_cuda_mm_fusion_args_devicePfj15HIP_vector_typeIjLj3EEjjjS8_jjjS8_jjjj,comdat
.Lfunc_end83:
	.size	_ZL13mul_mat_vec_qIL9ggml_type39ELi8ELb0ELb0EEvPKvS2_PKi31ggml_cuda_mm_fusion_args_devicePfj15HIP_vector_typeIjLj3EEjjjS8_jjjS8_jjjj, .Lfunc_end83-_ZL13mul_mat_vec_qIL9ggml_type39ELi8ELb0ELb0EEvPKvS2_PKi31ggml_cuda_mm_fusion_args_devicePfj15HIP_vector_typeIjLj3EEjjjS8_jjjS8_jjjj
                                        ; -- End function
	.section	.AMDGPU.csdata,"",@progbits
; Kernel info:
; codeLenInByte = 4264
; NumSgprs: 38
; NumVgprs: 51
; NumAgprs: 0
; TotalNumVgprs: 51
; ScratchSize: 80
; MemoryBound: 0
; FloatMode: 240
; IeeeMode: 1
; LDSByteSize: 0 bytes/workgroup (compile time only)
; SGPRBlocks: 4
; VGPRBlocks: 6
; NumSGPRsForWavesPerEU: 38
; NumVGPRsForWavesPerEU: 51
; AccumOffset: 52
; Occupancy: 8
; WaveLimiterHint : 0
; COMPUTE_PGM_RSRC2:SCRATCH_EN: 1
; COMPUTE_PGM_RSRC2:USER_SGPR: 2
; COMPUTE_PGM_RSRC2:TRAP_HANDLER: 0
; COMPUTE_PGM_RSRC2:TGID_X_EN: 1
; COMPUTE_PGM_RSRC2:TGID_Y_EN: 1
; COMPUTE_PGM_RSRC2:TGID_Z_EN: 1
; COMPUTE_PGM_RSRC2:TIDIG_COMP_CNT: 1
; COMPUTE_PGM_RSRC3_GFX90A:ACCUM_OFFSET: 12
; COMPUTE_PGM_RSRC3_GFX90A:TG_SPLIT: 0
	.section	.text._ZL17mul_mat_vec_q_moeIL9ggml_type40ELi2EEvPKvS2_PKiPfj15HIP_vector_typeIjLj3EEjjjjjjjjj,"axG",@progbits,_ZL17mul_mat_vec_q_moeIL9ggml_type40ELi2EEvPKvS2_PKiPfj15HIP_vector_typeIjLj3EEjjjjjjjjj,comdat
	.globl	_ZL17mul_mat_vec_q_moeIL9ggml_type40ELi2EEvPKvS2_PKiPfj15HIP_vector_typeIjLj3EEjjjjjjjjj ; -- Begin function _ZL17mul_mat_vec_q_moeIL9ggml_type40ELi2EEvPKvS2_PKiPfj15HIP_vector_typeIjLj3EEjjjjjjjjj
	.p2align	8
	.type	_ZL17mul_mat_vec_q_moeIL9ggml_type40ELi2EEvPKvS2_PKiPfj15HIP_vector_typeIjLj3EEjjjjjjjjj,@function
_ZL17mul_mat_vec_q_moeIL9ggml_type40ELi2EEvPKvS2_PKiPfj15HIP_vector_typeIjLj3EEjjjjjjjjj: ; @_ZL17mul_mat_vec_q_moeIL9ggml_type40ELi2EEvPKvS2_PKiPfj15HIP_vector_typeIjLj3EEjjjjjjjjj
; %bb.0:
	s_load_dwordx8 s[4:11], s[0:1], 0x30
	v_bfe_u32 v16, v0, 10, 10
	s_waitcnt lgkmcnt(0)
	v_cmp_gt_u32_e32 vcc, s11, v16
	s_and_saveexec_b64 s[12:13], vcc
	s_cbranch_execz .LBB84_7
; %bb.1:
	s_load_dword s11, s[0:1], 0x20
	s_load_dword s20, s[0:1], 0x50
	s_load_dwordx8 s[12:19], s[0:1], 0x0
	v_and_b32_e32 v17, 0x3ff, v0
	v_lshrrev_b32_e32 v18, 1, v17
	s_waitcnt lgkmcnt(0)
	s_lshr_b32 s11, s11, 6
	v_mov_b32_e32 v11, 0
	s_lshl_b32 s2, s2, 1
	v_cmp_gt_u32_e32 vcc, s11, v18
	v_mov_b32_e32 v10, v11
	s_and_saveexec_b64 s[24:25], vcc
	s_cbranch_execz .LBB84_5
; %bb.2:
	v_mul_lo_u32 v2, v16, s20
	v_mov_b32_e32 v0, s16
	v_mov_b32_e32 v1, s17
	v_add_u32_e32 v8, s3, v2
	v_mov_b32_e32 v9, 0
	v_lshl_add_u64 v[0:1], v[8:9], 2, v[0:1]
	global_load_dword v4, v[0:1], off
	s_load_dwordx4 s[20:23], s[0:1], 0x24
	v_mul_lo_u32 v1, v16, s6
	s_add_i32 s28, s2, 1
	v_lshlrev_b32_e32 v0, 2, v17
	s_mul_i32 s27, s2, s5
	s_waitcnt lgkmcnt(0)
	s_mul_hi_u32 s20, s20, s3
	s_add_i32 s20, s3, s20
	s_lshr_b32 s20, s20, s21
	s_mul_i32 s20, s20, s22
	v_lshrrev_b32_e32 v6, 1, v17
	s_movk_i32 s30, 0x48
	s_mul_i32 s5, s5, s28
	v_mad_u64_u32 v[2:3], s[28:29], v1, 36, 0
	s_sub_i32 s20, s3, s20
	v_and_b32_e32 v0, 4, v0
	v_mad_u64_u32 v[2:3], s[28:29], v6, s30, v[2:3]
	s_mul_i32 s20, s20, s9
	v_and_b32_e32 v5, 1, v17
	v_lshrrev_b32_e32 v8, 1, v0
	v_lshlrev_b32_e32 v12, 2, v0
	v_mad_u64_u32 v[0:1], s[20:21], s20, 36, v[2:3]
	v_mad_u64_u32 v[0:1], s[20:21], v5, 36, v[0:1]
	v_lshl_add_u64 v[14:15], s[14:15], 0, v[0:1]
	s_mov_b64 s[0:1], 0
	s_mov_b32 s6, 0xc080604
	v_mov_b32_e32 v19, 0x3020100
	s_mov_b32 s23, 0xf4f8fafc
	v_mov_b32_e32 v20, 0xfdfeff00
	s_movk_i32 s26, 0x7f
	s_mov_b64 s[16:17], 0x900
	v_mov_b32_e32 v13, v9
	v_mov_b32_e32 v10, v9
	;; [unrolled: 1-line block ×3, first 2 shown]
	s_waitcnt vmcnt(0)
	v_mul_lo_u32 v0, v4, s8
	v_add_u32_e32 v21, s27, v0
	v_add_u32_e32 v22, s5, v0
.LBB84_3:                               ; =>This Inner Loop Header: Depth=1
	v_add_u32_e32 v24, v21, v18
	v_add_u32_e32 v26, v22, v18
	v_mad_i64_i32 v[24:25], s[8:9], v24, 36, s[12:13]
	v_mad_i64_i32 v[26:27], s[8:9], v26, 36, s[12:13]
	v_lshl_add_u64 v[32:33], v[24:25], 0, v[12:13]
	global_load_dword v23, v[14:15], off offset:32
	global_load_dwordx4 v[0:3], v[14:15], off offset:16
	global_load_dwordx4 v[4:7], v[14:15], off
	v_lshl_add_u64 v[34:35], v[24:25], 0, v[8:9]
	v_lshl_add_u64 v[36:37], v[26:27], 0, v[12:13]
	;; [unrolled: 1-line block ×3, first 2 shown]
	global_load_dwordx4 v[24:27], v[32:33], off offset:4
	global_load_ushort v44, v[34:35], off
	global_load_dwordx4 v[28:31], v[36:37], off offset:4
	global_load_ushort v45, v[38:39], off
	v_add_u32_e32 v18, 32, v18
	v_cmp_le_u32_e32 vcc, s11, v18
	s_or_b64 s[0:1], vcc, s[0:1]
	v_mov_b32_e32 v40, 0
	v_mov_b32_e32 v41, 0
	;; [unrolled: 1-line block ×4, first 2 shown]
	v_lshl_add_u64 v[14:15], v[14:15], 0, s[16:17]
	s_waitcnt vmcnt(4)
	v_cvt_f32_f16_e32 v4, v4
	s_waitcnt vmcnt(3)
	v_ashrrev_i32_e32 v32, 4, v24
	v_and_b32_e32 v33, 0x7070707, v24
	v_lshrrev_b32_e32 v24, 1, v24
	v_ashrrev_i32_e32 v34, 4, v25
	v_and_b32_e32 v35, 0x7070707, v25
	v_lshrrev_b32_e32 v25, 1, v25
	v_and_b32_e32 v24, 0x4040404, v24
	s_waitcnt vmcnt(2)
	v_and_b32_e32 v37, 0x7f, v44
	v_ashrrev_i32_e32 v38, 4, v26
	v_and_b32_e32 v39, 0x7070707, v26
	v_lshrrev_b32_e32 v26, 1, v26
	v_perm_b32 v58, s6, v19, v33
	v_perm_b32 v33, s23, v20, v33
	v_or_b32_e32 v24, 0x3020100, v24
	v_and_b32_e32 v25, 0x4040404, v25
	v_ashrrev_i32_e32 v46, 4, v27
	v_and_b32_e32 v47, 0x7070707, v27
	v_lshrrev_b32_e32 v27, 1, v27
	v_perm_b32 v24, v33, v58, v24
	v_perm_b32 v33, s6, v19, v35
	;; [unrolled: 1-line block ×3, first 2 shown]
	v_cmp_ne_u16_e32 vcc, s26, v37
	v_or_b32_e32 v25, 0x3020100, v25
	v_and_b32_e32 v26, 0x4040404, v26
	v_lshrrev_b16_e32 v36, 8, v44
	s_waitcnt vmcnt(1)
	v_ashrrev_i32_e32 v48, 4, v28
	v_and_b32_e32 v49, 0x7070707, v28
	v_lshrrev_b32_e32 v28, 1, v28
	v_cndmask_b32_e32 v37, 0, v44, vcc
	v_perm_b32 v44, s6, v19, v39
	v_perm_b32 v33, v35, v33, v25
	;; [unrolled: 1-line block ×3, first 2 shown]
	v_or_b32_e32 v26, 0x3020100, v26
	v_and_b32_e32 v27, 0x4040404, v27
	v_ashrrev_i32_e32 v50, 4, v29
	v_and_b32_e32 v51, 0x7070707, v29
	v_lshrrev_b32_e32 v29, 1, v29
	v_perm_b32 v39, s6, v19, v47
	v_perm_b32 v26, v35, v44, v26
	;; [unrolled: 1-line block ×3, first 2 shown]
	v_or_b32_e32 v27, 0x3020100, v27
	v_and_b32_e32 v28, 0x4040404, v28
	v_ashrrev_i32_e32 v53, 4, v30
	v_and_b32_e32 v54, 0x7070707, v30
	v_lshrrev_b32_e32 v30, 1, v30
	v_ashrrev_i32_e32 v55, 4, v31
	v_and_b32_e32 v56, 0x7070707, v31
	v_lshrrev_b32_e32 v31, 1, v31
	s_waitcnt vmcnt(0)
	v_and_b32_e32 v57, 0x7f, v45
	v_perm_b32 v27, v44, v39, v27
	v_perm_b32 v39, s6, v19, v49
	;; [unrolled: 1-line block ×3, first 2 shown]
	v_or_b32_e32 v28, 0x3020100, v28
	v_and_b32_e32 v29, 0x4040404, v29
	v_and_b32_e32 v58, 0x7070707, v34
	v_lshrrev_b32_e32 v34, 1, v34
	v_and_b32_e32 v47, 0x7f, v36
	v_perm_b32 v28, v49, v39, v28
	v_perm_b32 v39, s6, v19, v51
	;; [unrolled: 1-line block ×3, first 2 shown]
	v_cmp_ne_u16_e32 vcc, s26, v57
	v_or_b32_e32 v29, 0x3020100, v29
	v_and_b32_e32 v30, 0x4040404, v30
	v_and_b32_e32 v31, 0x4040404, v31
	v_lshrrev_b16_e32 v52, 8, v45
	v_and_b32_e32 v59, 0x7070707, v32
	v_and_b32_e32 v44, 0x7070707, v48
	v_lshrrev_b32_e32 v48, 1, v48
	v_cndmask_b32_e32 v45, 0, v45, vcc
	v_perm_b32 v57, s6, v19, v54
	v_perm_b32 v29, v51, v39, v29
	v_and_b32_e32 v39, 0x7070707, v53
	v_perm_b32 v51, s23, v20, v54
	v_lshrrev_b32_e32 v53, 1, v53
	v_perm_b32 v54, s6, v19, v56
	v_or_b32_e32 v30, 0x3020100, v30
	v_perm_b32 v56, s23, v20, v56
	v_or_b32_e32 v31, 0x3020100, v31
	v_and_b32_e32 v34, 0x4040404, v34
	v_cmp_ne_u16_e32 vcc, s26, v47
	v_lshrrev_b32_e32 v32, 1, v32
	v_perm_b32 v30, v51, v57, v30
	v_and_b32_e32 v57, 0x7f, v52
	v_perm_b32 v31, v56, v54, v31
	v_perm_b32 v54, s6, v19, v59
	;; [unrolled: 1-line block ×5, first 2 shown]
	v_cndmask_b32_e32 v36, 0, v36, vcc
	v_and_b32_e32 v48, 0x4040404, v48
	v_or_b32_e32 v34, 0x3020100, v34
	v_and_b32_e32 v45, 0xff, v45
	v_and_b32_e32 v53, 0x4040404, v53
	;; [unrolled: 1-line block ×3, first 2 shown]
	v_lshrrev_b32_e32 v38, 1, v38
	v_and_b32_e32 v49, 0x7070707, v50
	v_lshrrev_b32_e32 v50, 1, v50
	v_and_b32_e32 v51, 0x7070707, v55
	;; [unrolled: 2-line block ×3, first 2 shown]
	v_perm_b32 v47, s6, v19, v44
	v_perm_b32 v44, s23, v20, v44
	;; [unrolled: 1-line block ×5, first 2 shown]
	v_cmp_ne_u16_e32 vcc, s26, v57
	v_and_b32_e32 v36, 0xffff, v36
	v_or_b32_e32 v48, 0x3020100, v48
	v_dot4c_i32_i8_e32 v40, v24, v5
	v_cvt_f32_fp8_sdwa v24, v45 src0_sel:BYTE_0
	v_or_b32_e32 v45, 0x3020100, v53
	v_and_b32_e32 v37, 0xff, v37
	v_or_b32_e32 v32, 0x3020100, v32
	v_and_b32_e32 v38, 0x4040404, v38
	v_and_b32_e32 v50, 0x4040404, v50
	;; [unrolled: 1-line block ×3, first 2 shown]
	v_cndmask_b32_e32 v52, 0, v52, vcc
	v_dot4c_i32_i8_e32 v41, v26, v1
	v_cvt_f32_fp8_sdwa v26, v36 src0_sel:BYTE_0
	v_perm_b32 v36, v44, v47, v48
	v_dot4c_i32_i8_e32 v42, v28, v5
	v_perm_b32 v5, v39, v59, v45
	v_dot4c_i32_i8_e32 v43, v30, v1
	v_and_b32_e32 v35, 0x7070707, v46
	v_lshrrev_b32_e32 v46, 1, v46
	v_perm_b32 v32, v56, v54, v32
	v_perm_b32 v54, s6, v19, v25
	;; [unrolled: 1-line block ×7, first 2 shown]
	v_cvt_f32_fp8_sdwa v37, v37 src0_sel:BYTE_0
	v_or_b32_e32 v38, 0x3020100, v38
	v_or_b32_e32 v50, 0x3020100, v50
	;; [unrolled: 1-line block ×3, first 2 shown]
	v_and_b32_e32 v52, 0xffff, v52
	v_dot4c_i32_i8_e32 v42, v36, v7
	v_dot4c_i32_i8_e32 v43, v5, v3
	v_and_b32_e32 v46, 0x4040404, v46
	v_perm_b32 v38, v25, v54, v38
	v_perm_b32 v44, v49, v58, v50
	;; [unrolled: 1-line block ×3, first 2 shown]
	v_cvt_f32_fp8_sdwa v25, v52 src0_sel:BYTE_0
	v_dot4c_i32_i8_e32 v40, v32, v7
	v_dot4c_i32_i8_e32 v42, v29, v6
	;; [unrolled: 1-line block ×3, first 2 shown]
	v_perm_b32 v56, s6, v19, v35
	v_perm_b32 v35, s23, v20, v35
	v_or_b32_e32 v46, 0x3020100, v46
	v_dot4c_i32_i8_e32 v41, v38, v3
	v_dot4c_i32_i8_e32 v40, v33, v6
	;; [unrolled: 1-line block ×4, first 2 shown]
	v_perm_b32 v35, v35, v56, v46
	v_dot4c_i32_i8_e32 v41, v27, v2
	v_dot4c_i32_i8_e32 v40, v34, v0
	v_cvt_f32_i32_e32 v3, v43
	v_cvt_f32_i32_e32 v2, v42
	v_mul_f32_e32 v1, 0.5, v37
	v_dot4c_i32_i8_e32 v41, v35, v23
	v_cvt_f32_i32_e32 v6, v40
	v_mul_f32_e32 v5, v1, v4
	v_pk_mul_f32 v[0:1], v[24:25], 0.5 op_sel_hi:[1,0]
	v_cvt_f32_i32_e32 v23, v41
	v_pk_mul_f32 v[0:1], v[0:1], v[4:5] op_sel_hi:[1,0]
	v_mul_f32_e32 v7, 0.5, v26
	v_pk_mul_f32 v[0:1], v[0:1], v[2:3]
	v_mul_f32_e32 v7, v7, v4
	v_mul_f32_e32 v4, v5, v6
	v_mov_b32_e32 v5, v0
	v_mul_f32_e32 v6, v7, v23
	v_mov_b32_e32 v7, v1
	v_pk_add_f32 v[0:1], v[4:5], 0 op_sel_hi:[1,0]
	s_nop 0
	v_pk_add_f32 v[0:1], v[0:1], v[6:7]
	s_nop 0
	v_pk_add_f32 v[10:11], v[10:11], v[0:1]
	s_andn2_b64 exec, exec, s[0:1]
	s_cbranch_execnz .LBB84_3
; %bb.4:
	s_or_b64 exec, exec, s[0:1]
.LBB84_5:
	s_or_b64 exec, exec, s[24:25]
	v_mbcnt_lo_u32_b32 v0, -1, 0
	v_mbcnt_hi_u32_b32 v4, -1, v0
	v_and_b32_e32 v0, 64, v4
	v_add_u32_e32 v5, 64, v0
	v_xor_b32_e32 v0, 32, v4
	v_cmp_lt_i32_e32 vcc, v0, v5
	v_xor_b32_e32 v2, 16, v4
	v_xor_b32_e32 v6, 8, v4
	v_cndmask_b32_e32 v0, v4, v0, vcc
	v_lshlrev_b32_e32 v1, 2, v0
	ds_bpermute_b32 v0, v1, v10
	ds_bpermute_b32 v1, v1, v11
	v_cmp_lt_i32_e32 vcc, v2, v5
	s_waitcnt lgkmcnt(0)
	v_pk_add_f32 v[0:1], v[10:11], v[0:1]
	v_cndmask_b32_e32 v2, v4, v2, vcc
	v_lshlrev_b32_e32 v3, 2, v2
	ds_bpermute_b32 v2, v3, v0
	ds_bpermute_b32 v3, v3, v1
	v_cmp_lt_i32_e32 vcc, v6, v5
	s_waitcnt lgkmcnt(0)
	v_pk_add_f32 v[0:1], v[0:1], v[2:3]
	v_cndmask_b32_e32 v6, v4, v6, vcc
	v_lshlrev_b32_e32 v6, 2, v6
	ds_bpermute_b32 v2, v6, v0
	ds_bpermute_b32 v3, v6, v1
	v_xor_b32_e32 v6, 4, v4
	v_cmp_lt_i32_e32 vcc, v6, v5
	s_waitcnt lgkmcnt(0)
	v_pk_add_f32 v[0:1], v[0:1], v[2:3]
	v_cndmask_b32_e32 v6, v4, v6, vcc
	v_lshlrev_b32_e32 v6, 2, v6
	ds_bpermute_b32 v2, v6, v0
	ds_bpermute_b32 v3, v6, v1
	v_xor_b32_e32 v6, 2, v4
	;; [unrolled: 8-line block ×3, first 2 shown]
	v_cmp_lt_i32_e32 vcc, v6, v5
	s_waitcnt lgkmcnt(0)
	v_pk_add_f32 v[0:1], v[0:1], v[2:3]
	v_cndmask_b32_e32 v4, v4, v6, vcc
	v_lshlrev_b32_e32 v4, 2, v4
	ds_bpermute_b32 v2, v4, v0
	ds_bpermute_b32 v3, v4, v1
	v_add_u32_e32 v4, s2, v17
	v_cmp_gt_u32_e32 vcc, 2, v17
	v_cmp_gt_u32_e64 s[0:1], s4, v4
	s_and_b64 s[0:1], vcc, s[0:1]
	s_and_b64 exec, exec, s[0:1]
	s_cbranch_execz .LBB84_7
; %bb.6:
	v_cmp_eq_u32_e32 vcc, 1, v17
	s_mul_i32 s3, s3, s10
	v_mov_b32_e32 v4, s18
	s_waitcnt lgkmcnt(0)
	v_cndmask_b32_e32 v2, v2, v3, vcc
	v_cndmask_b32_e32 v0, v0, v1, vcc
	v_add_f32_e32 v2, v0, v2
	v_mul_lo_u32 v0, v16, s7
	v_or_b32_e32 v1, s2, v17
	v_mov_b32_e32 v5, s19
	v_add3_u32 v0, v1, v0, s3
	v_mov_b32_e32 v1, 0
	v_lshl_add_u64 v[0:1], v[0:1], 2, v[4:5]
	global_store_dword v[0:1], v2, off
.LBB84_7:
	s_endpgm
	.section	.rodata,"a",@progbits
	.p2align	6, 0x0
	.amdhsa_kernel _ZL17mul_mat_vec_q_moeIL9ggml_type40ELi2EEvPKvS2_PKiPfj15HIP_vector_typeIjLj3EEjjjjjjjjj
		.amdhsa_group_segment_fixed_size 0
		.amdhsa_private_segment_fixed_size 0
		.amdhsa_kernarg_size 84
		.amdhsa_user_sgpr_count 2
		.amdhsa_user_sgpr_dispatch_ptr 0
		.amdhsa_user_sgpr_queue_ptr 0
		.amdhsa_user_sgpr_kernarg_segment_ptr 1
		.amdhsa_user_sgpr_dispatch_id 0
		.amdhsa_user_sgpr_kernarg_preload_length 0
		.amdhsa_user_sgpr_kernarg_preload_offset 0
		.amdhsa_user_sgpr_private_segment_size 0
		.amdhsa_uses_dynamic_stack 0
		.amdhsa_enable_private_segment 0
		.amdhsa_system_sgpr_workgroup_id_x 1
		.amdhsa_system_sgpr_workgroup_id_y 1
		.amdhsa_system_sgpr_workgroup_id_z 0
		.amdhsa_system_sgpr_workgroup_info 0
		.amdhsa_system_vgpr_workitem_id 1
		.amdhsa_next_free_vgpr 60
		.amdhsa_next_free_sgpr 31
		.amdhsa_accum_offset 60
		.amdhsa_reserve_vcc 1
		.amdhsa_float_round_mode_32 0
		.amdhsa_float_round_mode_16_64 0
		.amdhsa_float_denorm_mode_32 3
		.amdhsa_float_denorm_mode_16_64 3
		.amdhsa_dx10_clamp 1
		.amdhsa_ieee_mode 1
		.amdhsa_fp16_overflow 0
		.amdhsa_tg_split 0
		.amdhsa_exception_fp_ieee_invalid_op 0
		.amdhsa_exception_fp_denorm_src 0
		.amdhsa_exception_fp_ieee_div_zero 0
		.amdhsa_exception_fp_ieee_overflow 0
		.amdhsa_exception_fp_ieee_underflow 0
		.amdhsa_exception_fp_ieee_inexact 0
		.amdhsa_exception_int_div_zero 0
	.end_amdhsa_kernel
	.section	.text._ZL17mul_mat_vec_q_moeIL9ggml_type40ELi2EEvPKvS2_PKiPfj15HIP_vector_typeIjLj3EEjjjjjjjjj,"axG",@progbits,_ZL17mul_mat_vec_q_moeIL9ggml_type40ELi2EEvPKvS2_PKiPfj15HIP_vector_typeIjLj3EEjjjjjjjjj,comdat
.Lfunc_end84:
	.size	_ZL17mul_mat_vec_q_moeIL9ggml_type40ELi2EEvPKvS2_PKiPfj15HIP_vector_typeIjLj3EEjjjjjjjjj, .Lfunc_end84-_ZL17mul_mat_vec_q_moeIL9ggml_type40ELi2EEvPKvS2_PKiPfj15HIP_vector_typeIjLj3EEjjjjjjjjj
                                        ; -- End function
	.section	.AMDGPU.csdata,"",@progbits
; Kernel info:
; codeLenInByte = 2080
; NumSgprs: 37
; NumVgprs: 60
; NumAgprs: 0
; TotalNumVgprs: 60
; ScratchSize: 0
; MemoryBound: 0
; FloatMode: 240
; IeeeMode: 1
; LDSByteSize: 0 bytes/workgroup (compile time only)
; SGPRBlocks: 4
; VGPRBlocks: 7
; NumSGPRsForWavesPerEU: 37
; NumVGPRsForWavesPerEU: 60
; AccumOffset: 60
; Occupancy: 8
; WaveLimiterHint : 1
; COMPUTE_PGM_RSRC2:SCRATCH_EN: 0
; COMPUTE_PGM_RSRC2:USER_SGPR: 2
; COMPUTE_PGM_RSRC2:TRAP_HANDLER: 0
; COMPUTE_PGM_RSRC2:TGID_X_EN: 1
; COMPUTE_PGM_RSRC2:TGID_Y_EN: 1
; COMPUTE_PGM_RSRC2:TGID_Z_EN: 0
; COMPUTE_PGM_RSRC2:TIDIG_COMP_CNT: 1
; COMPUTE_PGM_RSRC3_GFX90A:ACCUM_OFFSET: 14
; COMPUTE_PGM_RSRC3_GFX90A:TG_SPLIT: 0
	.section	.text._ZL13mul_mat_vec_qIL9ggml_type40ELi1ELb1ELb1EEvPKvS2_PKi31ggml_cuda_mm_fusion_args_devicePfj15HIP_vector_typeIjLj3EEjjjS8_jjjS8_jjjj,"axG",@progbits,_ZL13mul_mat_vec_qIL9ggml_type40ELi1ELb1ELb1EEvPKvS2_PKi31ggml_cuda_mm_fusion_args_devicePfj15HIP_vector_typeIjLj3EEjjjS8_jjjS8_jjjj,comdat
	.globl	_ZL13mul_mat_vec_qIL9ggml_type40ELi1ELb1ELb1EEvPKvS2_PKi31ggml_cuda_mm_fusion_args_devicePfj15HIP_vector_typeIjLj3EEjjjS8_jjjS8_jjjj ; -- Begin function _ZL13mul_mat_vec_qIL9ggml_type40ELi1ELb1ELb1EEvPKvS2_PKi31ggml_cuda_mm_fusion_args_devicePfj15HIP_vector_typeIjLj3EEjjjS8_jjjS8_jjjj
	.p2align	8
	.type	_ZL13mul_mat_vec_qIL9ggml_type40ELi1ELb1ELb1EEvPKvS2_PKi31ggml_cuda_mm_fusion_args_devicePfj15HIP_vector_typeIjLj3EEjjjS8_jjjS8_jjjj,@function
_ZL13mul_mat_vec_qIL9ggml_type40ELi1ELb1ELb1EEvPKvS2_PKi31ggml_cuda_mm_fusion_args_devicePfj15HIP_vector_typeIjLj3EEjjjS8_jjjS8_jjjj: ; @_ZL13mul_mat_vec_qIL9ggml_type40ELi1ELb1ELb1EEvPKvS2_PKi31ggml_cuda_mm_fusion_args_devicePfj15HIP_vector_typeIjLj3EEjjjS8_jjjS8_jjjj
; %bb.0:
	s_load_dwordx8 s[16:23], s[2:3], 0x0
	s_load_dwordx4 s[36:39], s[2:3], 0x20
	s_load_dwordx4 s[40:43], s[2:3], 0x40
	;; [unrolled: 1-line block ×3, first 2 shown]
	s_mov_b32 s14, s5
	s_waitcnt lgkmcnt(0)
	s_cmp_lg_u64 s[20:21], 0
	s_cselect_b64 s[8:9], -1, 0
	s_cmp_eq_u64 s[20:21], 0
	s_mov_b64 s[10:11], 0
	s_cbranch_scc1 .LBB85_5
; %bb.1:
	s_mov_b32 s15, 0
	s_lshl_b64 s[12:13], s[14:15], 2
	s_add_u32 s12, s20, s12
	s_addc_u32 s13, s21, s13
	s_load_dword s44, s[12:13], 0x0
	s_load_dword s33, s[2:3], 0x50
	s_load_dword s45, s[2:3], 0x78
	s_andn2_b64 vcc, exec, s[10:11]
	s_cbranch_vccnz .LBB85_3
.LBB85_2:
	s_load_dwordx2 s[10:11], s[2:3], 0x5c
	s_waitcnt lgkmcnt(0)
	s_mul_hi_u32 s5, s10, s14
	s_add_i32 s5, s14, s5
	s_lshr_b32 s44, s5, s11
.LBB85_3:
	s_andn2_b64 vcc, exec, s[8:9]
	s_cbranch_vccnz .LBB85_6
; %bb.4:
	s_mul_hi_u32 s5, s41, s14
	s_add_i32 s5, s14, s5
	s_lshr_b32 s5, s5, s42
	s_mul_i32 s5, s5, s43
	s_sub_i32 s41, s14, s5
	s_waitcnt lgkmcnt(0)
	s_mov_b32 s15, s44
	s_branch .LBB85_7
.LBB85_5:
                                        ; implicit-def: $sgpr44
	s_load_dword s33, s[2:3], 0x50
	s_load_dword s45, s[2:3], 0x78
	s_branch .LBB85_2
.LBB85_6:
	s_mov_b32 s15, s14
	s_mov_b32 s41, s14
.LBB85_7:
	s_load_dword s7, s[2:3], 0x58
	s_load_dwordx4 s[28:31], s[2:3], 0x80
	s_lshl_b32 s20, s4, 1
	s_cmp_eq_u64 s[22:23], 0
	v_and_b32_e32 v25, 0x3ff, v0
	v_bfe_u32 v30, v0, 10, 10
	s_cselect_b64 s[8:9], -1, 0
	s_and_b64 vcc, exec, s[8:9]
	v_mov_b32_e32 v26, 0
	v_cmp_gt_u32_e64 s[4:5], 2, v25
	v_cmp_eq_u32_e64 s[10:11], 0, v30
	v_or_b32_e32 v1, s20, v25
	v_mov_b32_e32 v27, 0
	s_cbranch_vccnz .LBB85_11
; %bb.8:
	s_waitcnt lgkmcnt(0)
	v_cmp_gt_u32_e32 vcc, s7, v1
	s_and_b64 s[4:5], s[4:5], vcc
	s_mov_b32 s13, 0
	s_and_b64 s[10:11], s[4:5], s[10:11]
	v_mov_b32_e32 v27, 0
	s_and_saveexec_b64 s[4:5], s[10:11]
	s_cbranch_execz .LBB85_10
; %bb.9:
	s_mul_i32 s12, s6, s30
	s_lshl_b64 s[10:11], s[12:13], 2
	s_add_u32 s21, s22, s10
	s_mul_i32 s12, s15, s26
	s_addc_u32 s22, s23, s11
	s_lshl_b64 s[10:11], s[12:13], 2
	s_add_u32 s12, s21, s10
	s_addc_u32 s13, s22, s11
	s_ashr_i32 s21, s20, 31
	s_lshl_b64 s[10:11], s[20:21], 2
	s_add_u32 s10, s12, s10
	s_addc_u32 s11, s13, s11
	v_lshlrev_b32_e32 v2, 2, v25
	global_load_dword v27, v2, s[10:11]
.LBB85_10:
	s_or_b64 exec, exec, s[4:5]
.LBB85_11:
	s_cmp_lg_u64 s[36:37], 0
	s_cselect_b64 s[34:35], -1, 0
	s_cmp_eq_u64 s[36:37], 0
	s_cselect_b64 s[22:23], -1, 0
	s_cmp_lg_u64 s[38:39], 0
	s_cselect_b64 s[4:5], -1, 0
	s_and_b64 s[10:11], s[4:5], s[34:35]
	s_andn2_b64 vcc, exec, s[10:11]
	s_cbranch_vccnz .LBB85_15
; %bb.12:
	v_cmp_gt_u32_e32 vcc, 2, v25
	s_waitcnt lgkmcnt(0)
	v_cmp_gt_u32_e64 s[12:13], s7, v1
	v_cmp_eq_u32_e64 s[10:11], 0, v30
	s_and_b64 s[12:13], vcc, s[12:13]
	s_mov_b32 s43, 0
	s_and_b64 s[12:13], s[12:13], s[10:11]
	v_mov_b32_e32 v26, 0
	s_and_saveexec_b64 s[10:11], s[12:13]
	s_cbranch_execz .LBB85_14
; %bb.13:
	s_mul_i32 s42, s6, s30
	s_lshl_b64 s[12:13], s[42:43], 2
	s_add_u32 s21, s38, s12
	s_mul_i32 s42, s15, s26
	s_addc_u32 s31, s39, s13
	s_lshl_b64 s[12:13], s[42:43], 2
	s_add_u32 s15, s21, s12
	s_addc_u32 s31, s31, s13
	s_ashr_i32 s21, s20, 31
	s_lshl_b64 s[12:13], s[20:21], 2
	s_add_u32 s12, s15, s12
	s_addc_u32 s13, s31, s13
	v_lshlrev_b32_e32 v1, 2, v25
	global_load_dword v26, v1, s[12:13]
.LBB85_14:
	s_or_b64 exec, exec, s[10:11]
.LBB85_15:
	s_load_dwordx2 s[0:1], s[0:1], 0x4
	v_bfe_u32 v1, v0, 20, 10
	v_lshlrev_b32_e32 v0, 6, v30
	s_lshr_b32 s15, s40, 6
	v_mov_b32_e32 v35, 0
	s_waitcnt lgkmcnt(0)
	s_lshr_b32 s0, s0, 16
	v_mul_u32_u24_e32 v2, s1, v30
	s_mul_i32 s0, s0, s1
	v_mad_u32_u24 v2, s0, v25, v2
	v_add_lshl_u32 v1, v2, v1, 3
	v_add_u32_e32 v29, 0x800, v1
	v_add_u32_e32 v28, 0x400, v1
	v_add_u16_e32 v1, v0, v25
	v_lshrrev_b16_e32 v31, 1, v1
	v_cndmask_b32_e64 v1, 0, 1, s[34:35]
	v_cmp_gt_u32_e32 vcc, s15, v31
	v_lshlrev_b32_e32 v24, 2, v25
	v_cmp_ne_u32_e64 s[10:11], 1, v1
	v_mov_b32_e32 v32, 0
	v_mov_b32_e32 v34, 0
	;; [unrolled: 1-line block ×3, first 2 shown]
	ds_write2_b32 v29, v35, v35 offset1:1
	ds_write2_b32 v28, v35, v35 offset1:1
	s_and_saveexec_b64 s[0:1], vcc
	s_cbranch_execz .LBB85_23
; %bb.16:
	s_mul_hi_u32 s12, s27, s6
	s_add_i32 s12, s6, s12
	s_lshr_b32 s12, s12, s45
	s_mul_i32 s21, s44, s24
	s_mul_i32 s12, s12, s28
	;; [unrolled: 1-line block ×3, first 2 shown]
	s_add_i32 s12, s12, s21
	s_add_i32 s21, s12, s24
	;; [unrolled: 1-line block ×3, first 2 shown]
	s_mul_i32 s13, s41, s25
	s_mul_i32 s33, s33, s24
	v_add_u32_e32 v1, v0, v25
	s_add_i32 s24, s12, s33
	s_mul_hi_u32 s12, s13, 36
	s_mul_i32 s13, s13, 36
	v_lshrrev_b32_e32 v1, 1, v1
	v_mov_b32_e32 v2, s13
	v_mov_b32_e32 v3, s12
	s_movk_i32 s12, 0x48
	s_mul_i32 s27, s6, s29
	v_mad_u64_u32 v[2:3], s[12:13], v1, s12, v[2:3]
	v_and_b32_e32 v4, 1, v25
	v_mad_u64_u32 v[2:3], s[12:13], s27, 36, v[2:3]
	v_and_b32_e32 v0, 4, v24
	v_mov_b32_e32 v19, 0
	v_mad_u64_u32 v[2:3], s[12:13], v4, 36, v[2:3]
	v_lshrrev_b32_e32 v16, 1, v0
	v_mov_b32_e32 v17, v19
	v_lshl_add_u64 v[20:21], s[18:19], 0, v[2:3]
	s_mov_b64 s[12:13], 0
	v_lshlrev_b32_e32 v18, 2, v0
	s_mov_b32 s25, 0xc080604
	s_mov_b32 s27, 0xf4f8fafc
	s_movk_i32 s28, 0x7f
	s_mov_b64 s[18:19], 0x1200
	v_mov_b32_e32 v36, 0x3020100
	v_mov_b32_e32 v37, 0xfdfeff00
	;; [unrolled: 1-line block ×6, first 2 shown]
	s_branch .LBB85_18
.LBB85_17:                              ;   in Loop: Header=BB85_18 Depth=1
	s_waitcnt vmcnt(1)
	v_ashrrev_i32_e32 v40, 4, v12
	v_and_b32_e32 v41, 0x7070707, v12
	v_lshrrev_b32_e32 v12, 1, v12
	v_and_b32_e32 v12, 0x4040404, v12
	v_perm_b32 v42, s25, v36, v41
	v_and_b32_e32 v43, 0x7070707, v40
	v_perm_b32 v41, s27, v37, v41
	v_or_b32_e32 v12, 0x3020100, v12
	v_lshrrev_b32_e32 v40, 1, v40
	v_perm_b32 v12, v41, v42, v12
	v_and_b32_e32 v40, 0x4040404, v40
	v_ashrrev_i32_e32 v41, 4, v13
	v_and_b32_e32 v42, 0x7070707, v13
	v_lshrrev_b32_e32 v13, 1, v13
	v_perm_b32 v44, s25, v36, v43
	v_perm_b32 v43, s27, v37, v43
	v_or_b32_e32 v40, 0x3020100, v40
	v_and_b32_e32 v13, 0x4040404, v13
	v_perm_b32 v40, v43, v44, v40
	v_perm_b32 v43, s25, v36, v42
	;; [unrolled: 1-line block ×3, first 2 shown]
	v_or_b32_e32 v13, 0x3020100, v13
	v_and_b32_e32 v44, 0x7070707, v41
	v_perm_b32 v13, v42, v43, v13
	v_lshrrev_b32_e32 v41, 1, v41
	v_mov_b32_e32 v42, v19
	v_and_b32_e32 v41, 0x4040404, v41
	v_dot4c_i32_i8_e32 v42, v12, v9
	v_perm_b32 v45, s25, v36, v44
	v_perm_b32 v44, s27, v37, v44
	v_or_b32_e32 v41, 0x3020100, v41
	v_dot4c_i32_i8_e32 v42, v40, v11
	v_perm_b32 v41, v44, v45, v41
	v_dot4c_i32_i8_e32 v42, v13, v10
	v_dot4c_i32_i8_e32 v42, v41, v0
	v_ashrrev_i32_e32 v40, 4, v14
	v_and_b32_e32 v41, 0x7070707, v14
	v_lshrrev_b32_e32 v14, 1, v14
	v_and_b32_e32 v14, 0x4040404, v14
	v_cvt_f32_i32_e32 v13, v42
	v_perm_b32 v42, s25, v36, v41
	v_and_b32_e32 v43, 0x7070707, v40
	v_perm_b32 v41, s27, v37, v41
	v_or_b32_e32 v14, 0x3020100, v14
	v_lshrrev_b32_e32 v40, 1, v40
	v_perm_b32 v14, v41, v42, v14
	v_and_b32_e32 v40, 0x4040404, v40
	v_ashrrev_i32_e32 v41, 4, v15
	v_and_b32_e32 v42, 0x7070707, v15
	v_lshrrev_b32_e32 v15, 1, v15
	s_waitcnt vmcnt(0)
	v_and_b32_e32 v12, 0x7f, v8
	v_perm_b32 v44, s25, v36, v43
	v_perm_b32 v43, s27, v37, v43
	v_or_b32_e32 v40, 0x3020100, v40
	v_and_b32_e32 v15, 0x4040404, v15
	v_cmp_ne_u16_e32 vcc, s28, v12
	v_perm_b32 v40, v43, v44, v40
	v_perm_b32 v43, s25, v36, v42
	v_perm_b32 v42, s27, v37, v42
	v_or_b32_e32 v15, 0x3020100, v15
	v_cndmask_b32_e32 v12, 0, v8, vcc
	v_lshrrev_b16_e32 v8, 8, v8
	v_perm_b32 v15, v42, v43, v15
	v_mov_b32_e32 v42, v19
	v_dot4c_i32_i8_e32 v42, v14, v1
	v_and_b32_e32 v14, 0x7f, v8
	v_and_b32_e32 v44, 0x7070707, v41
	v_lshrrev_b32_e32 v41, 1, v41
	v_cmp_ne_u16_e32 vcc, s28, v14
	v_and_b32_e32 v12, 0xff, v12
	v_and_b32_e32 v41, 0x4040404, v41
	v_cndmask_b32_e32 v8, 0, v8, vcc
	v_cvt_f32_fp8_sdwa v12, v12 src0_sel:BYTE_0
	v_perm_b32 v45, s25, v36, v44
	v_perm_b32 v44, s27, v37, v44
	v_or_b32_e32 v41, 0x3020100, v41
	v_dot4c_i32_i8_e32 v42, v40, v3
	v_and_b32_e32 v8, 0xffff, v8
	v_perm_b32 v41, v44, v45, v41
	v_dot4c_i32_i8_e32 v42, v15, v2
	v_cvt_f32_fp8_sdwa v8, v8 src0_sel:BYTE_0
	v_dot4c_i32_i8_e32 v42, v41, v38
	v_mul_f32_e32 v12, 0.5, v12
	v_mul_f32_e32 v12, v12, v22
	v_mul_f32_e32 v8, 0.5, v8
	v_cvt_f32_i32_e32 v14, v42
	v_fma_f32 v12, v12, v13, 0
	v_mul_f32_e32 v8, v8, v22
	v_and_b32_e32 v13, 0x7070707, v4
	v_fmac_f32_e32 v12, v8, v14
	v_ashrrev_i32_e32 v8, 4, v4
	v_lshrrev_b32_e32 v4, 1, v4
	v_and_b32_e32 v4, 0x4040404, v4
	v_perm_b32 v14, s25, v36, v13
	v_and_b32_e32 v15, 0x7070707, v8
	v_perm_b32 v13, s27, v37, v13
	v_or_b32_e32 v4, 0x3020100, v4
	v_lshrrev_b32_e32 v8, 1, v8
	v_perm_b32 v4, v13, v14, v4
	v_and_b32_e32 v8, 0x4040404, v8
	v_ashrrev_i32_e32 v13, 4, v5
	v_and_b32_e32 v14, 0x7070707, v5
	v_lshrrev_b32_e32 v5, 1, v5
	v_perm_b32 v40, s25, v36, v15
	v_perm_b32 v15, s27, v37, v15
	v_or_b32_e32 v8, 0x3020100, v8
	v_and_b32_e32 v5, 0x4040404, v5
	v_perm_b32 v8, v15, v40, v8
	v_perm_b32 v15, s25, v36, v14
	;; [unrolled: 1-line block ×3, first 2 shown]
	v_or_b32_e32 v5, 0x3020100, v5
	v_perm_b32 v5, v14, v15, v5
	v_mov_b32_e32 v14, v19
	v_dot4c_i32_i8_e32 v14, v4, v9
	v_dot4c_i32_i8_e32 v14, v8, v11
	;; [unrolled: 1-line block ×3, first 2 shown]
	v_ashrrev_i32_e32 v5, 4, v6
	v_and_b32_e32 v8, 0x7070707, v6
	v_lshrrev_b32_e32 v6, 1, v6
	v_and_b32_e32 v6, 0x4040404, v6
	v_and_b32_e32 v40, 0x7070707, v13
	v_lshrrev_b32_e32 v13, 1, v13
	v_perm_b32 v9, s25, v36, v8
	v_and_b32_e32 v10, 0x7070707, v5
	v_perm_b32 v8, s27, v37, v8
	v_or_b32_e32 v6, 0x3020100, v6
	v_lshrrev_b32_e32 v5, 1, v5
	v_and_b32_e32 v13, 0x4040404, v13
	v_perm_b32 v6, v8, v9, v6
	v_and_b32_e32 v5, 0x4040404, v5
	v_ashrrev_i32_e32 v8, 4, v7
	v_and_b32_e32 v9, 0x7070707, v7
	v_lshrrev_b32_e32 v7, 1, v7
	v_perm_b32 v41, s25, v36, v40
	v_perm_b32 v40, s27, v37, v40
	v_or_b32_e32 v13, 0x3020100, v13
	v_perm_b32 v11, s25, v36, v10
	v_perm_b32 v10, s27, v37, v10
	v_or_b32_e32 v5, 0x3020100, v5
	v_and_b32_e32 v7, 0x4040404, v7
	v_perm_b32 v13, v40, v41, v13
	v_perm_b32 v5, v10, v11, v5
	;; [unrolled: 1-line block ×4, first 2 shown]
	v_or_b32_e32 v7, 0x3020100, v7
	v_dot4c_i32_i8_e32 v14, v13, v0
	v_lshrrev_b16_e32 v4, 8, v39
	v_and_b32_e32 v0, 0x7f, v39
	v_perm_b32 v7, v9, v10, v7
	v_mov_b32_e32 v9, v19
	v_cmp_ne_u16_e32 vcc, s28, v0
	v_dot4c_i32_i8_e32 v9, v6, v1
	v_and_b32_e32 v1, 0x7f, v4
	v_cndmask_b32_e32 v0, 0, v39, vcc
	v_and_b32_e32 v11, 0x7070707, v8
	v_lshrrev_b32_e32 v8, 1, v8
	v_cmp_ne_u16_e32 vcc, s28, v1
	v_and_b32_e32 v8, 0x4040404, v8
	v_and_b32_e32 v0, 0xff, v0
	v_cndmask_b32_e32 v1, 0, v4, vcc
	v_perm_b32 v13, s25, v36, v11
	v_perm_b32 v11, s27, v37, v11
	v_or_b32_e32 v8, 0x3020100, v8
	v_dot4c_i32_i8_e32 v9, v5, v3
	v_and_b32_e32 v1, 0xffff, v1
	v_cvt_f32_fp8_sdwa v0, v0 src0_sel:BYTE_0
	v_perm_b32 v8, v11, v13, v8
	v_dot4c_i32_i8_e32 v9, v7, v2
	v_cvt_f32_fp8_sdwa v1, v1 src0_sel:BYTE_0
	v_dot4c_i32_i8_e32 v9, v8, v38
	v_cvt_f32_i32_e32 v2, v14
	v_add_u32_e32 v31, 64, v31
	v_pk_mul_f32 v[0:1], v[0:1], 0.5 op_sel_hi:[1,0]
	v_cvt_f32_i32_e32 v3, v9
	v_pk_mul_f32 v[0:1], v[0:1], v[22:23]
	v_cmp_le_u32_e32 vcc, s15, v31
	v_add_f32_e32 v32, v32, v12
	v_pk_mul_f32 v[0:1], v[0:1], v[2:3]
	s_or_b64 s[12:13], vcc, s[12:13]
	v_add_f32_e32 v0, 0, v0
	v_add_f32_e32 v0, v0, v1
	;; [unrolled: 1-line block ×3, first 2 shown]
	v_lshl_add_u64 v[20:21], v[20:21], 0, s[18:19]
	s_andn2_b64 exec, exec, s[12:13]
	s_cbranch_execz .LBB85_22
.LBB85_18:                              ; =>This Inner Loop Header: Depth=1
	global_load_dwordx4 v[8:11], v[20:21], off
	global_load_dwordx4 v[0:3], v[20:21], off offset:16
	global_load_dword v38, v[20:21], off offset:32
	v_add_u32_e32 v12, s21, v31
	v_mad_i64_i32 v[4:5], s[34:35], v12, 36, s[16:17]
	v_lshl_add_u64 v[14:15], v[4:5], 0, v[18:19]
	v_lshl_add_u64 v[22:23], v[4:5], 0, v[16:17]
	global_load_dwordx4 v[4:7], v[14:15], off offset:4
	global_load_ushort v39, v[22:23], off
	s_and_b64 vcc, exec, s[10:11]
	s_waitcnt vmcnt(4)
	v_cvt_f32_f16_e32 v22, v8
	v_mov_b32_e32 v23, v22
	s_cbranch_vccnz .LBB85_20
; %bb.19:                               ;   in Loop: Header=BB85_18 Depth=1
	v_mad_i64_i32 v[40:41], s[34:35], v12, 36, s[36:37]
	v_lshl_add_u64 v[12:13], v[40:41], 0, v[18:19]
	global_load_dwordx4 v[12:15], v[12:13], off offset:4
	s_waitcnt vmcnt(0)
	v_ashrrev_i32_e32 v8, 4, v12
	v_and_b32_e32 v42, 0x7070707, v12
	v_lshrrev_b32_e32 v12, 1, v12
	v_and_b32_e32 v12, 0x4040404, v12
	v_perm_b32 v43, s25, v36, v42
	v_and_b32_e32 v44, 0x7070707, v8
	v_perm_b32 v42, s27, v37, v42
	v_or_b32_e32 v12, 0x3020100, v12
	v_lshrrev_b32_e32 v8, 1, v8
	v_perm_b32 v12, v42, v43, v12
	v_and_b32_e32 v8, 0x4040404, v8
	v_ashrrev_i32_e32 v42, 4, v13
	v_and_b32_e32 v43, 0x7070707, v13
	v_lshrrev_b32_e32 v13, 1, v13
	v_perm_b32 v45, s25, v36, v44
	v_perm_b32 v44, s27, v37, v44
	v_or_b32_e32 v8, 0x3020100, v8
	v_and_b32_e32 v13, 0x4040404, v13
	v_perm_b32 v8, v44, v45, v8
	v_perm_b32 v44, s25, v36, v43
	;; [unrolled: 1-line block ×3, first 2 shown]
	v_or_b32_e32 v13, 0x3020100, v13
	v_perm_b32 v13, v43, v44, v13
	v_mov_b32_e32 v43, v19
	v_dot4c_i32_i8_e32 v43, v12, v9
	v_dot4c_i32_i8_e32 v43, v8, v11
	;; [unrolled: 1-line block ×3, first 2 shown]
	v_lshl_add_u64 v[12:13], v[40:41], 0, v[16:17]
	global_load_ushort v8, v[12:13], off
	v_and_b32_e32 v45, 0x7070707, v42
	v_lshrrev_b32_e32 v42, 1, v42
	v_and_b32_e32 v42, 0x4040404, v42
	v_perm_b32 v46, s25, v36, v45
	v_perm_b32 v45, s27, v37, v45
	v_or_b32_e32 v42, 0x3020100, v42
	v_and_b32_e32 v40, 0x7070707, v14
	v_perm_b32 v42, v45, v46, v42
	v_dot4c_i32_i8_e32 v43, v42, v0
	v_perm_b32 v41, s25, v36, v40
	v_perm_b32 v40, s27, v37, v40
	s_waitcnt vmcnt(0)
	v_and_b32_e32 v12, 0x7f, v8
	v_cmp_ne_u16_e32 vcc, s28, v12
	v_lshrrev_b16_e32 v13, 8, v8
	s_nop 0
	v_cndmask_b32_e32 v8, 0, v8, vcc
	v_and_b32_e32 v8, 0xff, v8
	v_cvt_f32_fp8_sdwa v12, v8 src0_sel:BYTE_0
	v_ashrrev_i32_e32 v8, 4, v14
	v_lshrrev_b32_e32 v14, 1, v14
	v_and_b32_e32 v14, 0x4040404, v14
	v_and_b32_e32 v42, 0x7070707, v8
	v_or_b32_e32 v14, 0x3020100, v14
	v_lshrrev_b32_e32 v8, 1, v8
	v_perm_b32 v14, v40, v41, v14
	v_and_b32_e32 v8, 0x4040404, v8
	v_ashrrev_i32_e32 v40, 4, v15
	v_and_b32_e32 v41, 0x7070707, v15
	v_lshrrev_b32_e32 v15, 1, v15
	v_perm_b32 v44, s25, v36, v42
	v_perm_b32 v42, s27, v37, v42
	v_or_b32_e32 v8, 0x3020100, v8
	v_and_b32_e32 v15, 0x4040404, v15
	v_perm_b32 v8, v42, v44, v8
	v_perm_b32 v42, s25, v36, v41
	;; [unrolled: 1-line block ×3, first 2 shown]
	v_or_b32_e32 v15, 0x3020100, v15
	v_perm_b32 v15, v41, v42, v15
	v_mov_b32_e32 v41, v19
	v_dot4c_i32_i8_e32 v41, v14, v1
	v_dot4c_i32_i8_e32 v41, v8, v3
	v_and_b32_e32 v8, 0x7f, v13
	v_and_b32_e32 v44, 0x7070707, v40
	v_lshrrev_b32_e32 v40, 1, v40
	v_cmp_ne_u16_e32 vcc, s28, v8
	v_and_b32_e32 v40, 0x4040404, v40
	v_perm_b32 v45, s25, v36, v44
	v_cndmask_b32_e32 v8, 0, v13, vcc
	v_perm_b32 v44, s27, v37, v44
	v_or_b32_e32 v40, 0x3020100, v40
	v_and_b32_e32 v8, 0xffff, v8
	v_perm_b32 v40, v44, v45, v40
	v_dot4c_i32_i8_e32 v41, v15, v2
	v_cvt_f32_fp8_sdwa v13, v8 src0_sel:BYTE_0
	v_dot4c_i32_i8_e32 v41, v40, v38
	v_cvt_f32_i32_e32 v14, v43
	v_pk_mul_f32 v[12:13], v[12:13], 0.5 op_sel_hi:[1,0]
	s_nop 0
	v_cvt_f32_i32_e32 v15, v41
	v_pk_mul_f32 v[12:13], v[12:13], v[22:23]
	s_nop 0
	v_pk_mul_f32 v[12:13], v[12:13], v[14:15]
	s_nop 0
	v_add_f32_e32 v8, 0, v12
	v_add_f32_e32 v8, v8, v13
	;; [unrolled: 1-line block ×3, first 2 shown]
.LBB85_20:                              ;   in Loop: Header=BB85_18 Depth=1
	v_add_u32_e32 v40, s24, v31
	v_mad_i64_i32 v[12:13], s[34:35], v40, 36, s[16:17]
	v_lshl_add_u64 v[42:43], v[12:13], 0, v[18:19]
	v_lshl_add_u64 v[44:45], v[12:13], 0, v[16:17]
	global_load_dwordx4 v[12:15], v[42:43], off offset:4
	global_load_ushort v8, v[44:45], off
	s_and_b64 vcc, exec, s[10:11]
	s_cbranch_vccnz .LBB85_17
; %bb.21:                               ;   in Loop: Header=BB85_18 Depth=1
	v_mad_i64_i32 v[44:45], s[34:35], v40, 36, s[36:37]
	v_lshl_add_u64 v[40:41], v[44:45], 0, v[18:19]
	global_load_dwordx4 v[40:43], v[40:41], off offset:4
	s_waitcnt vmcnt(0)
	v_ashrrev_i32_e32 v46, 4, v40
	v_and_b32_e32 v47, 0x7070707, v40
	v_lshrrev_b32_e32 v40, 1, v40
	v_and_b32_e32 v40, 0x4040404, v40
	v_perm_b32 v48, s25, v36, v47
	v_and_b32_e32 v49, 0x7070707, v46
	v_perm_b32 v47, s27, v37, v47
	v_or_b32_e32 v40, 0x3020100, v40
	v_lshrrev_b32_e32 v46, 1, v46
	v_perm_b32 v40, v47, v48, v40
	v_and_b32_e32 v46, 0x4040404, v46
	v_ashrrev_i32_e32 v47, 4, v41
	v_and_b32_e32 v48, 0x7070707, v41
	v_lshrrev_b32_e32 v41, 1, v41
	v_perm_b32 v50, s25, v36, v49
	v_perm_b32 v49, s27, v37, v49
	v_or_b32_e32 v46, 0x3020100, v46
	v_and_b32_e32 v41, 0x4040404, v41
	v_perm_b32 v46, v49, v50, v46
	v_perm_b32 v49, s25, v36, v48
	;; [unrolled: 1-line block ×3, first 2 shown]
	v_or_b32_e32 v41, 0x3020100, v41
	v_perm_b32 v41, v48, v49, v41
	v_mov_b32_e32 v48, v19
	v_dot4c_i32_i8_e32 v48, v40, v9
	v_dot4c_i32_i8_e32 v48, v46, v11
	;; [unrolled: 1-line block ×3, first 2 shown]
	v_lshl_add_u64 v[40:41], v[44:45], 0, v[16:17]
	global_load_ushort v40, v[40:41], off
	v_and_b32_e32 v50, 0x7070707, v47
	v_lshrrev_b32_e32 v47, 1, v47
	v_and_b32_e32 v47, 0x4040404, v47
	v_perm_b32 v51, s25, v36, v50
	v_perm_b32 v50, s27, v37, v50
	v_or_b32_e32 v47, 0x3020100, v47
	v_and_b32_e32 v45, 0x7070707, v42
	v_perm_b32 v47, v50, v51, v47
	v_dot4c_i32_i8_e32 v48, v47, v0
	v_perm_b32 v46, s25, v36, v45
	v_perm_b32 v45, s27, v37, v45
	s_waitcnt vmcnt(0)
	v_and_b32_e32 v44, 0x7f, v40
	v_cmp_ne_u16_e32 vcc, s28, v44
	v_ashrrev_i32_e32 v44, 4, v42
	v_lshrrev_b32_e32 v42, 1, v42
	v_and_b32_e32 v42, 0x4040404, v42
	v_and_b32_e32 v47, 0x7070707, v44
	v_or_b32_e32 v42, 0x3020100, v42
	v_lshrrev_b32_e32 v44, 1, v44
	v_perm_b32 v42, v45, v46, v42
	v_and_b32_e32 v44, 0x4040404, v44
	v_ashrrev_i32_e32 v45, 4, v43
	v_and_b32_e32 v46, 0x7070707, v43
	v_lshrrev_b32_e32 v43, 1, v43
	v_perm_b32 v49, s25, v36, v47
	v_perm_b32 v47, s27, v37, v47
	v_or_b32_e32 v44, 0x3020100, v44
	v_and_b32_e32 v43, 0x4040404, v43
	v_perm_b32 v44, v47, v49, v44
	v_perm_b32 v47, s25, v36, v46
	;; [unrolled: 1-line block ×3, first 2 shown]
	v_or_b32_e32 v43, 0x3020100, v43
	v_lshrrev_b16_e32 v41, 8, v40
	v_perm_b32 v43, v46, v47, v43
	v_mov_b32_e32 v46, v19
	v_dot4c_i32_i8_e32 v46, v42, v1
	v_and_b32_e32 v42, 0x7f, v41
	v_cndmask_b32_e32 v40, 0, v40, vcc
	v_and_b32_e32 v49, 0x7070707, v45
	v_lshrrev_b32_e32 v45, 1, v45
	v_cmp_ne_u16_e32 vcc, s28, v42
	v_and_b32_e32 v45, 0x4040404, v45
	v_and_b32_e32 v40, 0xff, v40
	v_cndmask_b32_e32 v41, 0, v41, vcc
	v_perm_b32 v50, s25, v36, v49
	v_perm_b32 v49, s27, v37, v49
	v_or_b32_e32 v45, 0x3020100, v45
	v_dot4c_i32_i8_e32 v46, v44, v3
	v_and_b32_e32 v41, 0xffff, v41
	v_cvt_f32_fp8_sdwa v40, v40 src0_sel:BYTE_0
	v_perm_b32 v45, v49, v50, v45
	v_dot4c_i32_i8_e32 v46, v43, v2
	v_cvt_f32_fp8_sdwa v41, v41 src0_sel:BYTE_0
	v_dot4c_i32_i8_e32 v46, v45, v38
	v_cvt_f32_i32_e32 v42, v48
	v_pk_mul_f32 v[40:41], v[40:41], 0.5 op_sel_hi:[1,0]
	s_nop 0
	v_cvt_f32_i32_e32 v43, v46
	v_pk_mul_f32 v[40:41], v[40:41], v[22:23]
	s_nop 0
	v_pk_mul_f32 v[40:41], v[40:41], v[42:43]
	s_nop 0
	v_add_f32_e32 v40, 0, v40
	v_add_f32_e32 v40, v40, v41
	;; [unrolled: 1-line block ×3, first 2 shown]
	s_branch .LBB85_17
.LBB85_22:
	s_or_b64 exec, exec, s[12:13]
	ds_write2_b32 v29, v35, v32 offset1:1
	ds_write2_b32 v28, v34, v33 offset1:1
.LBB85_23:
	s_or_b64 exec, exec, s[0:1]
	s_load_dword s15, s[2:3], 0x30
	v_cmp_eq_u32_e64 s[0:1], 0, v30
	v_cmp_ne_u32_e32 vcc, 0, v30
	s_and_saveexec_b64 s[12:13], vcc
	s_cbranch_execz .LBB85_28
; %bb.24:
	v_add_u32_e32 v0, -1, v30
	v_lshl_or_b32 v0, v0, 9, v24
	s_mov_b64 s[16:17], -1
	s_and_b64 vcc, exec, s[22:23]
	ds_write_b32 v0, v35
	s_cbranch_vccz .LBB85_26
; %bb.25:
	ds_write_b32 v0, v32 offset:256
	s_mov_b64 s[16:17], 0
.LBB85_26:
	s_andn2_b64 vcc, exec, s[16:17]
	s_cbranch_vccnz .LBB85_28
; %bb.27:
	ds_write_b32 v0, v32 offset:256
	ds_write2st64_b32 v0, v34, v33 offset0:2 offset1:3
.LBB85_28:
	s_or_b64 exec, exec, s[12:13]
	s_waitcnt lgkmcnt(0)
	s_barrier
	s_and_saveexec_b64 s[12:13], s[0:1]
	s_cbranch_execz .LBB85_61
; %bb.29:
	ds_read_b32 v1, v24
	ds_read_b32 v2, v29
	s_and_b64 vcc, exec, s[10:11]
	s_cbranch_vccnz .LBB85_31
; %bb.30:
	ds_read_b32 v0, v24 offset:512
	ds_read_b32 v3, v28
	s_waitcnt lgkmcnt(0)
	v_add_f32_e32 v0, v0, v3
	ds_write_b32 v28, v0
.LBB85_31:
	v_mbcnt_lo_u32_b32 v0, -1, 0
	v_mbcnt_hi_u32_b32 v5, -1, v0
	v_and_b32_e32 v0, 64, v5
	v_add_u32_e32 v6, 64, v0
	v_xor_b32_e32 v0, 32, v5
	v_cmp_lt_i32_e32 vcc, v0, v6
	s_waitcnt lgkmcnt(0)
	v_add_f32_e32 v2, v1, v2
	v_xor_b32_e32 v1, 16, v5
	v_cndmask_b32_e32 v0, v5, v0, vcc
	v_lshlrev_b32_e32 v0, 2, v0
	ds_bpermute_b32 v3, v0, v2
	v_cmp_lt_i32_e32 vcc, v1, v6
	v_xor_b32_e32 v9, 1, v5
	s_waitcnt lgkmcnt(0)
	v_add_f32_e32 v3, v2, v3
	v_cndmask_b32_e32 v1, v5, v1, vcc
	v_lshlrev_b32_e32 v1, 2, v1
	ds_bpermute_b32 v4, v1, v3
	v_xor_b32_e32 v2, 8, v5
	v_cmp_lt_i32_e32 vcc, v2, v6
	s_waitcnt lgkmcnt(0)
	v_add_f32_e32 v4, v3, v4
	v_cndmask_b32_e32 v2, v5, v2, vcc
	v_lshlrev_b32_e32 v2, 2, v2
	ds_bpermute_b32 v7, v2, v4
	v_xor_b32_e32 v3, 4, v5
	v_cmp_lt_i32_e32 vcc, v3, v6
	;; [unrolled: 7-line block ×3, first 2 shown]
	s_waitcnt lgkmcnt(0)
	v_add_f32_e32 v7, v7, v8
	v_cndmask_b32_e32 v4, v5, v4, vcc
	v_lshlrev_b32_e32 v4, 2, v4
	ds_bpermute_b32 v8, v4, v7
	v_cmp_lt_i32_e32 vcc, v9, v6
	s_waitcnt lgkmcnt(0)
	v_add_f32_e32 v6, v7, v8
	v_cndmask_b32_e32 v5, v5, v9, vcc
	v_lshlrev_b32_e32 v5, 2, v5
	ds_bpermute_b32 v7, v5, v6
	s_and_b64 vcc, exec, s[10:11]
	s_waitcnt lgkmcnt(0)
	v_add_f32_e32 v6, v6, v7
	ds_write_b32 v29, v6
	s_cbranch_vccnz .LBB85_33
; %bb.32:
	ds_read_b32 v6, v28
	s_waitcnt lgkmcnt(0)
	ds_bpermute_b32 v7, v0, v6
	s_waitcnt lgkmcnt(0)
	v_add_f32_e32 v6, v6, v7
	ds_bpermute_b32 v7, v1, v6
	s_waitcnt lgkmcnt(0)
	v_add_f32_e32 v6, v6, v7
	;; [unrolled: 3-line block ×6, first 2 shown]
	ds_write_b32 v28, v6
.LBB85_33:
	ds_read_b32 v6, v24 offset:256
	ds_read_b32 v7, v29 offset:4
	s_and_b64 vcc, exec, s[10:11]
	s_cbranch_vccnz .LBB85_35
; %bb.34:
	ds_read_b32 v8, v24 offset:768
	ds_read_b32 v9, v28 offset:4
	s_waitcnt lgkmcnt(0)
	v_add_f32_e32 v8, v8, v9
	ds_write_b32 v28, v8 offset:4
.LBB85_35:
	s_waitcnt lgkmcnt(0)
	v_add_f32_e32 v6, v6, v7
	ds_bpermute_b32 v7, v0, v6
	s_and_b64 vcc, exec, s[10:11]
	s_waitcnt lgkmcnt(0)
	v_add_f32_e32 v6, v6, v7
	ds_bpermute_b32 v7, v1, v6
	s_waitcnt lgkmcnt(0)
	v_add_f32_e32 v6, v6, v7
	ds_bpermute_b32 v7, v2, v6
	;; [unrolled: 3-line block ×5, first 2 shown]
	s_waitcnt lgkmcnt(0)
	v_add_f32_e32 v6, v6, v7
	ds_write_b32 v29, v6 offset:4
	s_cbranch_vccnz .LBB85_37
; %bb.36:
	ds_read_b32 v6, v28 offset:4
	s_waitcnt lgkmcnt(0)
	ds_bpermute_b32 v0, v0, v6
	s_waitcnt lgkmcnt(0)
	v_add_f32_e32 v0, v6, v0
	ds_bpermute_b32 v1, v1, v0
	s_waitcnt lgkmcnt(0)
	v_add_f32_e32 v0, v0, v1
	;; [unrolled: 3-line block ×6, first 2 shown]
	ds_write_b32 v28, v0 offset:4
.LBB85_37:
	v_add_u32_e32 v0, s20, v25
	v_cmp_gt_u32_e32 vcc, 2, v25
	v_cmp_gt_u32_e64 s[0:1], s7, v0
	s_and_b64 s[0:1], vcc, s[0:1]
	s_and_b64 exec, exec, s[0:1]
	s_cbranch_execz .LBB85_61
; %bb.38:
	v_lshl_add_u32 v0, v25, 2, v29
	ds_read_b32 v0, v0
	s_and_b64 vcc, exec, s[10:11]
	s_waitcnt vmcnt(0) lgkmcnt(0)
	v_add_f32_e32 v1, v27, v0
	v_cndmask_b32_e64 v0, v1, v0, s[8:9]
	s_cbranch_vccnz .LBB85_60
; %bb.39:
	v_lshl_add_u32 v1, v25, 2, v28
	ds_read_b32 v1, v1
	s_cmp_lt_i32 s15, 2
	s_mov_b64 s[0:1], 0
	s_waitcnt lgkmcnt(0)
	v_add_f32_e32 v2, v26, v1
	v_cndmask_b32_e64 v1, v1, v2, s[4:5]
	s_cbranch_scc1 .LBB85_43
; %bb.40:
	s_cmp_gt_i32 s15, 2
	s_cbranch_scc0 .LBB85_44
; %bb.41:
	s_cmp_eq_u32 s15, 3
	s_cbranch_scc0 .LBB85_45
; %bb.42:
	v_max_f32_e32 v2, v1, v1
	v_min_f32_e32 v4, 0x40e00000, v2
	v_mul_f32_e32 v3, 0xbfd9db23, v4
	s_mov_b32 s4, 0x3fb8aa3b
	v_mul_f32_e32 v2, 0x3fb8aa3b, v3
	v_fma_f32 v5, v3, s4, -v2
	v_rndne_f32_e32 v6, v2
	v_fmamk_f32 v5, v3, 0x32a5705f, v5
	v_sub_f32_e32 v2, v2, v6
	v_add_f32_e32 v2, v2, v5
	v_exp_f32_e32 v5, v2
	v_cvt_i32_f32_e32 v6, v6
	s_mov_b32 s4, 0xc2ce8ed0
	v_max_f32_e32 v2, v0, v0
	v_cmp_ngt_f32_e32 vcc, s4, v3
	v_ldexp_f32 v5, v5, v6
	s_mov_b32 s4, 0x42b17218
	v_min_f32_e32 v2, 0x40e00000, v2
	v_cndmask_b32_e32 v5, 0, v5, vcc
	v_mov_b32_e32 v6, 0x7f800000
	v_cmp_nlt_f32_e32 vcc, s4, v3
	v_max_f32_e32 v2, 0xc0e00000, v2
	s_nop 0
	v_cndmask_b32_e32 v3, v6, v5, vcc
	v_pk_add_f32 v[2:3], v[2:3], 1.0 op_sel_hi:[1,0]
	s_nop 0
	v_div_scale_f32 v5, s[4:5], v3, v3, v4
	v_rcp_f32_e32 v6, v5
	s_mov_b64 s[4:5], 0
	v_fma_f32 v7, -v5, v6, 1.0
	v_fmac_f32_e32 v6, v7, v6
	v_div_scale_f32 v7, vcc, v4, v3, v4
	v_mul_f32_e32 v8, v7, v6
	v_fma_f32 v9, -v5, v8, v7
	v_fmac_f32_e32 v8, v9, v6
	v_fma_f32 v5, -v5, v8, v7
	v_div_fmas_f32 v5, v5, v6, v8
	v_div_fixup_f32 v3, v5, v3, v4
	v_mul_f32_e32 v2, v2, v3
	s_branch .LBB85_46
.LBB85_43:
                                        ; implicit-def: $vgpr2
	s_mov_b64 s[4:5], 0
	s_cbranch_execnz .LBB85_50
	s_branch .LBB85_51
.LBB85_44:
	s_mov_b64 s[8:9], -1
	s_mov_b64 s[4:5], 0
                                        ; implicit-def: $vgpr2
	s_branch .LBB85_47
.LBB85_45:
	s_mov_b64 s[4:5], -1
                                        ; implicit-def: $vgpr2
.LBB85_46:
	s_mov_b64 s[8:9], 0
.LBB85_47:
	s_and_b64 vcc, exec, s[8:9]
	s_cbranch_vccz .LBB85_49
; %bb.48:
	v_mul_f32_e32 v2, 0xbfb8aa3b, v1
	s_mov_b32 s7, 0xbfb8aa3b
	v_rndne_f32_e32 v3, v2
	v_sub_f32_e32 v4, v2, v3
	v_fma_f32 v2, v1, s7, -v2
	v_fmamk_f32 v2, v1, 0xb2a5705f, v2
	v_add_f32_e32 v2, v4, v2
	v_exp_f32_e32 v2, v2
	v_cvt_i32_f32_e32 v3, v3
	s_mov_b32 s7, 0x42ce8ed0
	v_cmp_nlt_f32_e32 vcc, s7, v1
	s_mov_b32 s7, 0xc2b17218
	v_ldexp_f32 v2, v2, v3
	v_cndmask_b32_e32 v2, 0, v2, vcc
	v_mov_b32_e32 v3, 0x7f800000
	v_cmp_ngt_f32_e32 vcc, s7, v1
	s_nop 1
	v_cndmask_b32_e32 v2, v3, v2, vcc
	v_add_f32_e32 v2, 1.0, v2
	v_div_scale_f32 v3, s[8:9], v2, v2, v1
	v_rcp_f32_e32 v4, v3
	s_nop 0
	v_fma_f32 v5, -v3, v4, 1.0
	v_fmac_f32_e32 v4, v5, v4
	v_div_scale_f32 v5, vcc, v1, v2, v1
	v_mul_f32_e32 v6, v5, v4
	v_fma_f32 v7, -v3, v6, v5
	v_fmac_f32_e32 v6, v7, v4
	v_fma_f32 v3, -v3, v6, v5
	v_div_fmas_f32 v3, v3, v4, v6
	v_div_fixup_f32 v2, v3, v2, v1
	v_mul_f32_e32 v2, v0, v2
.LBB85_49:
	s_branch .LBB85_51
.LBB85_50:
	s_cmp_lg_u32 s15, 1
	s_mov_b64 s[0:1], -1
	s_cselect_b64 s[4:5], -1, 0
                                        ; implicit-def: $vgpr2
.LBB85_51:
	s_andn2_b64 vcc, exec, s[4:5]
	s_cbranch_vccz .LBB85_53
; %bb.52:
	s_andn2_b64 vcc, exec, s[0:1]
	s_cbranch_vccz .LBB85_54
	s_branch .LBB85_59
.LBB85_53:
	v_mul_f32_e32 v2, v0, v1
	s_cbranch_execnz .LBB85_59
.LBB85_54:
	v_mul_f32_e32 v3, 0x3d372713, v1
	v_mul_f32_e32 v2, 0x3f4c422a, v1
	v_fma_f32 v3, v1, v3, 1.0
	v_mul_f32_e32 v2, v2, v3
	s_mov_b32 s0, 0x3f200000
	v_cmp_nlt_f32_e64 s[0:1], |v2|, s0
                                        ; implicit-def: $vgpr3
	s_and_saveexec_b64 s[4:5], s[0:1]
	s_xor_b64 s[0:1], exec, s[4:5]
	s_cbranch_execz .LBB85_56
; %bb.55:
	v_add_f32_e64 v3, |v2|, |v2|
	v_mul_f32_e32 v4, 0x3fb8aa3b, v3
	s_mov_b32 s4, 0x3fb8aa3b
	v_rndne_f32_e32 v5, v4
	v_sub_f32_e32 v6, v4, v5
	v_fma_f32 v4, v3, s4, -v4
	v_fmamk_f32 v4, v3, 0x32a5705f, v4
	v_add_f32_e32 v4, v6, v4
	v_exp_f32_e32 v4, v4
	v_cvt_i32_f32_e32 v5, v5
	s_mov_b32 s4, 0xc2ce8ed0
	v_cmp_ngt_f32_e32 vcc, s4, v3
	s_mov_b32 s4, 0x42b17218
	v_ldexp_f32 v4, v4, v5
	v_cndmask_b32_e32 v4, 0, v4, vcc
	v_mov_b32_e32 v5, 0x7f800000
	v_cmp_nlt_f32_e32 vcc, s4, v3
	s_nop 1
	v_cndmask_b32_e32 v3, v5, v4, vcc
	v_add_f32_e32 v3, 1.0, v3
	v_rcp_f32_e32 v3, v3
	s_nop 0
	v_fma_f32 v3, v3, -2.0, 1.0
.LBB85_56:
	s_andn2_saveexec_b64 s[0:1], s[0:1]
; %bb.57:
	v_mul_f32_e32 v3, v2, v2
	v_mov_b32_e32 v4, 0x3ca908c9
	v_fmac_f32_e32 v4, 0xbbbac73d, v3
	v_fmaak_f32 v4, v3, v4, 0xbd5c1c4e
	v_fmaak_f32 v4, v3, v4, 0x3e088382
	;; [unrolled: 1-line block ×3, first 2 shown]
	v_mul_f32_e64 v4, |v2|, v4
	v_fma_f32 v3, v3, v4, |v2|
; %bb.58:
	s_or_b64 exec, exec, s[0:1]
	s_brev_b32 s0, -2
	v_bfi_b32 v2, s0, v3, v2
	v_mul_f32_e32 v1, 0.5, v1
	v_add_f32_e32 v2, 1.0, v2
	v_mul_f32_e32 v1, v1, v2
	v_mul_f32_e32 v2, v0, v1
.LBB85_59:
	v_mov_b32_e32 v0, v2
.LBB85_60:
	s_load_dwordx2 s[0:1], s[2:3], 0x38
	s_mul_i32 s4, s14, s26
	s_mul_i32 s6, s6, s30
	s_add_i32 s2, s4, s20
	s_add_i32 s2, s2, s6
	s_mov_b32 s3, 0
	s_lshl_b64 s[2:3], s[2:3], 2
	s_waitcnt lgkmcnt(0)
	s_add_u32 s0, s0, s2
	s_addc_u32 s1, s1, s3
	global_store_dword v24, v0, s[0:1]
.LBB85_61:
	s_endpgm
	.section	.rodata,"a",@progbits
	.p2align	6, 0x0
	.amdhsa_kernel _ZL13mul_mat_vec_qIL9ggml_type40ELi1ELb1ELb1EEvPKvS2_PKi31ggml_cuda_mm_fusion_args_devicePfj15HIP_vector_typeIjLj3EEjjjS8_jjjS8_jjjj
		.amdhsa_group_segment_fixed_size 3072
		.amdhsa_private_segment_fixed_size 0
		.amdhsa_kernarg_size 144
		.amdhsa_user_sgpr_count 4
		.amdhsa_user_sgpr_dispatch_ptr 1
		.amdhsa_user_sgpr_queue_ptr 0
		.amdhsa_user_sgpr_kernarg_segment_ptr 1
		.amdhsa_user_sgpr_dispatch_id 0
		.amdhsa_user_sgpr_kernarg_preload_length 0
		.amdhsa_user_sgpr_kernarg_preload_offset 0
		.amdhsa_user_sgpr_private_segment_size 0
		.amdhsa_uses_dynamic_stack 0
		.amdhsa_enable_private_segment 0
		.amdhsa_system_sgpr_workgroup_id_x 1
		.amdhsa_system_sgpr_workgroup_id_y 1
		.amdhsa_system_sgpr_workgroup_id_z 1
		.amdhsa_system_sgpr_workgroup_info 0
		.amdhsa_system_vgpr_workitem_id 2
		.amdhsa_next_free_vgpr 52
		.amdhsa_next_free_sgpr 46
		.amdhsa_accum_offset 52
		.amdhsa_reserve_vcc 1
		.amdhsa_float_round_mode_32 0
		.amdhsa_float_round_mode_16_64 0
		.amdhsa_float_denorm_mode_32 3
		.amdhsa_float_denorm_mode_16_64 3
		.amdhsa_dx10_clamp 1
		.amdhsa_ieee_mode 1
		.amdhsa_fp16_overflow 0
		.amdhsa_tg_split 0
		.amdhsa_exception_fp_ieee_invalid_op 0
		.amdhsa_exception_fp_denorm_src 0
		.amdhsa_exception_fp_ieee_div_zero 0
		.amdhsa_exception_fp_ieee_overflow 0
		.amdhsa_exception_fp_ieee_underflow 0
		.amdhsa_exception_fp_ieee_inexact 0
		.amdhsa_exception_int_div_zero 0
	.end_amdhsa_kernel
	.section	.text._ZL13mul_mat_vec_qIL9ggml_type40ELi1ELb1ELb1EEvPKvS2_PKi31ggml_cuda_mm_fusion_args_devicePfj15HIP_vector_typeIjLj3EEjjjS8_jjjS8_jjjj,"axG",@progbits,_ZL13mul_mat_vec_qIL9ggml_type40ELi1ELb1ELb1EEvPKvS2_PKi31ggml_cuda_mm_fusion_args_devicePfj15HIP_vector_typeIjLj3EEjjjS8_jjjS8_jjjj,comdat
.Lfunc_end85:
	.size	_ZL13mul_mat_vec_qIL9ggml_type40ELi1ELb1ELb1EEvPKvS2_PKi31ggml_cuda_mm_fusion_args_devicePfj15HIP_vector_typeIjLj3EEjjjS8_jjjS8_jjjj, .Lfunc_end85-_ZL13mul_mat_vec_qIL9ggml_type40ELi1ELb1ELb1EEvPKvS2_PKi31ggml_cuda_mm_fusion_args_devicePfj15HIP_vector_typeIjLj3EEjjjS8_jjjS8_jjjj
                                        ; -- End function
	.section	.AMDGPU.csdata,"",@progbits
; Kernel info:
; codeLenInByte = 5336
; NumSgprs: 52
; NumVgprs: 52
; NumAgprs: 0
; TotalNumVgprs: 52
; ScratchSize: 0
; MemoryBound: 0
; FloatMode: 240
; IeeeMode: 1
; LDSByteSize: 3072 bytes/workgroup (compile time only)
; SGPRBlocks: 6
; VGPRBlocks: 6
; NumSGPRsForWavesPerEU: 52
; NumVGPRsForWavesPerEU: 52
; AccumOffset: 52
; Occupancy: 8
; WaveLimiterHint : 0
; COMPUTE_PGM_RSRC2:SCRATCH_EN: 0
; COMPUTE_PGM_RSRC2:USER_SGPR: 4
; COMPUTE_PGM_RSRC2:TRAP_HANDLER: 0
; COMPUTE_PGM_RSRC2:TGID_X_EN: 1
; COMPUTE_PGM_RSRC2:TGID_Y_EN: 1
; COMPUTE_PGM_RSRC2:TGID_Z_EN: 1
; COMPUTE_PGM_RSRC2:TIDIG_COMP_CNT: 2
; COMPUTE_PGM_RSRC3_GFX90A:ACCUM_OFFSET: 12
; COMPUTE_PGM_RSRC3_GFX90A:TG_SPLIT: 0
	.section	.text._ZL13mul_mat_vec_qIL9ggml_type40ELi1ELb0ELb1EEvPKvS2_PKi31ggml_cuda_mm_fusion_args_devicePfj15HIP_vector_typeIjLj3EEjjjS8_jjjS8_jjjj,"axG",@progbits,_ZL13mul_mat_vec_qIL9ggml_type40ELi1ELb0ELb1EEvPKvS2_PKi31ggml_cuda_mm_fusion_args_devicePfj15HIP_vector_typeIjLj3EEjjjS8_jjjS8_jjjj,comdat
	.globl	_ZL13mul_mat_vec_qIL9ggml_type40ELi1ELb0ELb1EEvPKvS2_PKi31ggml_cuda_mm_fusion_args_devicePfj15HIP_vector_typeIjLj3EEjjjS8_jjjS8_jjjj ; -- Begin function _ZL13mul_mat_vec_qIL9ggml_type40ELi1ELb0ELb1EEvPKvS2_PKi31ggml_cuda_mm_fusion_args_devicePfj15HIP_vector_typeIjLj3EEjjjS8_jjjS8_jjjj
	.p2align	8
	.type	_ZL13mul_mat_vec_qIL9ggml_type40ELi1ELb0ELb1EEvPKvS2_PKi31ggml_cuda_mm_fusion_args_devicePfj15HIP_vector_typeIjLj3EEjjjS8_jjjS8_jjjj,@function
_ZL13mul_mat_vec_qIL9ggml_type40ELi1ELb0ELb1EEvPKvS2_PKi31ggml_cuda_mm_fusion_args_devicePfj15HIP_vector_typeIjLj3EEjjjS8_jjjS8_jjjj: ; @_ZL13mul_mat_vec_qIL9ggml_type40ELi1ELb0ELb1EEvPKvS2_PKi31ggml_cuda_mm_fusion_args_devicePfj15HIP_vector_typeIjLj3EEjjjS8_jjjS8_jjjj
; %bb.0:
	s_load_dwordx2 s[8:9], s[2:3], 0x10
	s_load_dwordx4 s[16:19], s[2:3], 0x40
	s_mov_b32 s20, s5
	s_mov_b64 s[14:15], 0
	s_waitcnt lgkmcnt(0)
	s_cmp_lg_u64 s[8:9], 0
	s_cselect_b64 s[12:13], -1, 0
	s_cmp_eq_u64 s[8:9], 0
	s_cbranch_scc1 .LBB86_5
; %bb.1:
	s_mov_b32 s21, 0
	s_lshl_b64 s[10:11], s[20:21], 2
	s_add_u32 s8, s8, s10
	s_addc_u32 s9, s9, s11
	s_load_dword s21, s[8:9], 0x0
	s_nop 0
	s_load_dwordx4 s[8:11], s[2:3], 0x68
	s_load_dword s5, s[2:3], 0x50
	s_andn2_b64 vcc, exec, s[14:15]
	s_cbranch_vccnz .LBB86_3
.LBB86_2:
	s_load_dwordx2 s[14:15], s[2:3], 0x5c
	s_waitcnt lgkmcnt(0)
	s_mul_hi_u32 s7, s14, s20
	s_add_i32 s7, s20, s7
	s_lshr_b32 s21, s7, s15
.LBB86_3:
	s_load_dword s22, s[2:3], 0x78
	s_andn2_b64 vcc, exec, s[12:13]
	s_cbranch_vccnz .LBB86_6
; %bb.4:
	s_mul_hi_u32 s7, s17, s20
	s_add_i32 s7, s20, s7
	s_lshr_b32 s7, s7, s18
	s_mul_i32 s7, s7, s19
	s_sub_i32 s23, s20, s7
	s_branch .LBB86_7
.LBB86_5:
                                        ; implicit-def: $sgpr21
	s_load_dwordx4 s[8:11], s[2:3], 0x68
	s_load_dword s5, s[2:3], 0x50
	s_branch .LBB86_2
.LBB86_6:
	s_mov_b32 s23, s20
.LBB86_7:
	s_load_dwordx2 s[18:19], s[0:1], 0x4
	s_load_dwordx4 s[12:15], s[2:3], 0x80
	v_bfe_u32 v19, v0, 10, 10
	v_and_b32_e32 v18, 0x3ff, v0
	v_bfe_u32 v0, v0, 20, 10
	s_waitcnt lgkmcnt(0)
	s_lshr_b32 s0, s18, 16
	v_mul_u32_u24_e32 v1, s19, v19
	s_mul_i32 s0, s0, s19
	v_mad_u32_u24 v1, s0, v18, v1
	v_add_lshl_u32 v1, v1, v0, 3
	v_lshlrev_b32_e32 v0, 6, v19
	v_mov_b32_e32 v11, 0
	v_add_u32_e32 v16, 0x200, v1
	ds_write2_b32 v1, v11, v11 offset0:128 offset1:129
	v_add_u16_e32 v1, v0, v18
	s_lshr_b32 s15, s16, 6
	v_lshrrev_b16_e32 v20, 1, v1
	s_lshl_b32 s7, s4, 1
	v_cmp_gt_u32_e32 vcc, s15, v20
	v_lshlrev_b32_e32 v17, 2, v18
	v_mov_b32_e32 v10, 0
	s_and_saveexec_b64 s[0:1], vcc
	s_cbranch_execz .LBB86_11
; %bb.8:
	s_mul_i32 s4, s23, s9
	s_mul_hi_u32 s9, s11, s6
	s_add_i32 s9, s6, s9
	s_lshr_b32 s9, s9, s22
	s_mul_i32 s8, s21, s8
	s_mul_i32 s9, s9, s12
	s_add_i32 s12, s9, s8
	s_add_i32 s8, s7, 1
	s_mul_i32 s11, s7, s5
	s_mul_i32 s5, s5, s8
	s_load_dwordx4 s[16:19], s[2:3], 0x0
	v_add_u32_e32 v1, v0, v18
	s_add_i32 s11, s12, s11
	s_add_i32 s12, s12, s5
	s_mul_hi_u32 s5, s4, 36
	s_mul_i32 s4, s4, 36
	v_lshrrev_b32_e32 v1, 1, v1
	v_mov_b32_e32 v2, s4
	v_mov_b32_e32 v3, s5
	s_movk_i32 s4, 0x48
	s_mul_i32 s13, s6, s13
	v_mad_u64_u32 v[2:3], s[4:5], v1, s4, v[2:3]
	v_and_b32_e32 v4, 1, v18
	v_mad_u64_u32 v[2:3], s[4:5], s13, 36, v[2:3]
	v_and_b32_e32 v0, 4, v17
	v_mov_b32_e32 v9, 0
	v_mad_u64_u32 v[2:3], s[4:5], v4, 36, v[2:3]
	v_lshrrev_b32_e32 v8, 1, v0
	s_waitcnt lgkmcnt(0)
	v_lshl_add_u64 v[12:13], s[18:19], 0, v[2:3]
	s_mov_b64 s[4:5], 0
	v_lshlrev_b32_e32 v14, 2, v0
	v_mov_b32_e32 v15, v9
	s_mov_b32 s13, 0xc080604
	v_mov_b32_e32 v21, 0x3020100
	s_mov_b32 s18, 0xf4f8fafc
	v_mov_b32_e32 v22, 0xfdfeff00
	s_movk_i32 s19, 0x7f
	s_mov_b64 s[8:9], 0x1200
	v_mov_b32_e32 v10, v9
	v_mov_b32_e32 v11, v9
.LBB86_9:                               ; =>This Inner Loop Header: Depth=1
	v_add_u32_e32 v24, s11, v20
	v_add_u32_e32 v26, s12, v20
	v_mad_i64_i32 v[24:25], s[22:23], v24, 36, s[16:17]
	v_mad_i64_i32 v[26:27], s[22:23], v26, 36, s[16:17]
	v_lshl_add_u64 v[32:33], v[24:25], 0, v[14:15]
	global_load_dword v23, v[12:13], off offset:32
	global_load_dwordx4 v[0:3], v[12:13], off offset:16
	global_load_dwordx4 v[4:7], v[12:13], off
	v_lshl_add_u64 v[34:35], v[24:25], 0, v[8:9]
	v_lshl_add_u64 v[36:37], v[26:27], 0, v[14:15]
	;; [unrolled: 1-line block ×3, first 2 shown]
	global_load_dwordx4 v[24:27], v[32:33], off offset:4
	global_load_ushort v44, v[34:35], off
	global_load_dwordx4 v[28:31], v[36:37], off offset:4
	global_load_ushort v45, v[38:39], off
	v_add_u32_e32 v20, 64, v20
	v_cmp_le_u32_e32 vcc, s15, v20
	s_or_b64 s[4:5], vcc, s[4:5]
	v_mov_b32_e32 v40, 0
	v_mov_b32_e32 v41, 0
	v_mov_b32_e32 v42, 0
	v_mov_b32_e32 v43, 0
	v_lshl_add_u64 v[12:13], v[12:13], 0, s[8:9]
	s_waitcnt vmcnt(4)
	v_cvt_f32_f16_e32 v4, v4
	s_waitcnt vmcnt(3)
	v_ashrrev_i32_e32 v32, 4, v24
	v_and_b32_e32 v33, 0x7070707, v24
	v_lshrrev_b32_e32 v24, 1, v24
	v_ashrrev_i32_e32 v34, 4, v25
	v_and_b32_e32 v35, 0x7070707, v25
	v_lshrrev_b32_e32 v25, 1, v25
	s_waitcnt vmcnt(2)
	v_and_b32_e32 v37, 0x7f, v44
	v_ashrrev_i32_e32 v38, 4, v26
	v_and_b32_e32 v39, 0x7070707, v26
	v_lshrrev_b32_e32 v26, 1, v26
	v_ashrrev_i32_e32 v46, 4, v27
	v_and_b32_e32 v47, 0x7070707, v27
	v_lshrrev_b32_e32 v27, 1, v27
	v_and_b32_e32 v24, 0x4040404, v24
	v_and_b32_e32 v25, 0x4040404, v25
	v_lshrrev_b16_e32 v36, 8, v44
	s_waitcnt vmcnt(1)
	v_ashrrev_i32_e32 v48, 4, v28
	v_and_b32_e32 v49, 0x7070707, v28
	v_lshrrev_b32_e32 v28, 1, v28
	v_ashrrev_i32_e32 v50, 4, v29
	v_and_b32_e32 v51, 0x7070707, v29
	v_lshrrev_b32_e32 v29, 1, v29
	s_waitcnt vmcnt(0)
	v_and_b32_e32 v53, 0x7f, v45
	v_perm_b32 v58, s13, v21, v33
	v_perm_b32 v33, s18, v22, v33
	;; [unrolled: 1-line block ×4, first 2 shown]
	v_cmp_ne_u16_e32 vcc, s19, v37
	v_or_b32_e32 v24, 0x3020100, v24
	v_and_b32_e32 v26, 0x4040404, v26
	v_or_b32_e32 v25, 0x3020100, v25
	v_and_b32_e32 v27, 0x4040404, v27
	v_ashrrev_i32_e32 v54, 4, v30
	v_and_b32_e32 v55, 0x7070707, v30
	v_lshrrev_b32_e32 v30, 1, v30
	v_ashrrev_i32_e32 v56, 4, v31
	v_and_b32_e32 v57, 0x7070707, v31
	v_lshrrev_b32_e32 v31, 1, v31
	v_cndmask_b32_e32 v37, 0, v44, vcc
	v_perm_b32 v44, s13, v21, v39
	v_perm_b32 v33, v33, v58, v24
	;; [unrolled: 1-line block ×6, first 2 shown]
	v_and_b32_e32 v60, 0x7f, v36
	v_or_b32_e32 v26, 0x3020100, v26
	v_and_b32_e32 v28, 0x4040404, v28
	v_or_b32_e32 v27, 0x3020100, v27
	v_and_b32_e32 v29, 0x4040404, v29
	v_cmp_ne_u16_e32 vcc, s19, v53
	v_lshrrev_b16_e32 v52, 8, v45
	v_and_b32_e32 v59, 0x7070707, v32
	v_lshrrev_b32_e32 v32, 1, v32
	v_perm_b32 v26, v39, v44, v26
	v_perm_b32 v39, s13, v21, v49
	v_and_b32_e32 v44, 0x7070707, v48
	v_perm_b32 v49, s18, v22, v49
	v_lshrrev_b32_e32 v48, 1, v48
	v_perm_b32 v47, v47, v58, v27
	v_perm_b32 v27, s13, v21, v51
	v_perm_b32 v51, s18, v22, v51
	v_cndmask_b32_e32 v45, 0, v45, vcc
	v_or_b32_e32 v28, 0x3020100, v28
	v_and_b32_e32 v30, 0x4040404, v30
	v_or_b32_e32 v29, 0x3020100, v29
	v_and_b32_e32 v31, 0x4040404, v31
	v_cmp_ne_u16_e32 vcc, s19, v60
	v_and_b32_e32 v24, 0x7070707, v38
	v_lshrrev_b32_e32 v38, 1, v38
	v_perm_b32 v53, s13, v21, v55
	v_perm_b32 v28, v49, v39, v28
	v_and_b32_e32 v39, 0x7070707, v54
	v_perm_b32 v49, s18, v22, v55
	v_lshrrev_b32_e32 v54, 1, v54
	v_perm_b32 v55, s13, v21, v57
	v_perm_b32 v29, v51, v27, v29
	;; [unrolled: 1-line block ×3, first 2 shown]
	v_or_b32_e32 v30, 0x3020100, v30
	v_and_b32_e32 v32, 0x4040404, v32
	v_or_b32_e32 v31, 0x3020100, v31
	v_cndmask_b32_e32 v36, 0, v36, vcc
	v_and_b32_e32 v48, 0x4040404, v48
	v_and_b32_e32 v61, 0x7070707, v34
	v_lshrrev_b32_e32 v34, 1, v34
	v_and_b32_e32 v25, 0x7070707, v46
	v_and_b32_e32 v58, 0x7070707, v50
	v_lshrrev_b32_e32 v50, 1, v50
	v_and_b32_e32 v57, 0x7f, v52
	v_perm_b32 v30, v49, v53, v30
	v_perm_b32 v49, s13, v21, v59
	;; [unrolled: 1-line block ×6, first 2 shown]
	v_and_b32_e32 v38, 0x4040404, v38
	v_perm_b32 v60, s13, v21, v44
	v_perm_b32 v44, s18, v22, v44
	v_or_b32_e32 v24, 0x3020100, v32
	v_and_b32_e32 v54, 0x4040404, v54
	v_and_b32_e32 v36, 0xffff, v36
	v_or_b32_e32 v48, 0x3020100, v48
	v_lshrrev_b32_e32 v46, 1, v46
	v_and_b32_e32 v27, 0x7070707, v56
	v_lshrrev_b32_e32 v56, 1, v56
	v_and_b32_e32 v34, 0x4040404, v34
	v_perm_b32 v62, s13, v21, v25
	v_perm_b32 v63, s18, v22, v25
	;; [unrolled: 1-line block ×3, first 2 shown]
	v_and_b32_e32 v50, 0x4040404, v50
	v_and_b32_e32 v25, 0xff, v45
	v_perm_b32 v45, s13, v21, v39
	v_perm_b32 v39, s18, v22, v39
	v_cmp_ne_u16_e32 vcc, s19, v57
	v_or_b32_e32 v38, 0x3020100, v38
	v_or_b32_e32 v54, 0x3020100, v54
	v_dot4c_i32_i8_e32 v40, v33, v5
	v_dot4c_i32_i8_e32 v41, v26, v1
	v_cvt_f32_fp8_sdwa v26, v36 src0_sel:BYTE_0
	v_perm_b32 v36, v44, v60, v48
	v_dot4c_i32_i8_e32 v42, v28, v5
	v_perm_b32 v59, s13, v21, v61
	v_perm_b32 v61, s18, v22, v61
	v_and_b32_e32 v37, 0xff, v37
	v_and_b32_e32 v46, 0x4040404, v46
	v_perm_b32 v49, s13, v21, v58
	v_perm_b32 v53, s18, v22, v58
	v_and_b32_e32 v56, 0x4040404, v56
	v_cndmask_b32_e32 v52, 0, v52, vcc
	v_or_b32_e32 v34, 0x3020100, v34
	v_or_b32_e32 v50, 0x3020100, v50
	v_perm_b32 v33, v55, v51, v38
	v_perm_b32 v5, v39, v45, v54
	v_dot4c_i32_i8_e32 v43, v30, v1
	v_dot4c_i32_i8_e32 v40, v32, v7
	;; [unrolled: 1-line block ×3, first 2 shown]
	v_cvt_f32_fp8_sdwa v24, v37 src0_sel:BYTE_0
	v_cvt_f32_fp8_sdwa v25, v25 src0_sel:BYTE_0
	v_perm_b32 v37, s13, v21, v27
	v_perm_b32 v27, s18, v22, v27
	v_or_b32_e32 v46, 0x3020100, v46
	v_or_b32_e32 v56, 0x3020100, v56
	v_and_b32_e32 v52, 0xffff, v52
	v_perm_b32 v34, v61, v59, v34
	v_perm_b32 v44, v53, v49, v50
	v_dot4c_i32_i8_e32 v41, v33, v3
	v_dot4c_i32_i8_e32 v43, v5, v3
	;; [unrolled: 1-line block ×4, first 2 shown]
	v_perm_b32 v38, v63, v62, v46
	v_perm_b32 v28, v27, v37, v56
	v_cvt_f32_fp8_sdwa v27, v52 src0_sel:BYTE_0
	v_dot4c_i32_i8_e32 v41, v47, v2
	v_dot4c_i32_i8_e32 v43, v31, v2
	v_dot4c_i32_i8_e32 v40, v34, v0
	v_dot4c_i32_i8_e32 v42, v44, v0
	v_dot4c_i32_i8_e32 v41, v38, v23
	v_dot4c_i32_i8_e32 v43, v28, v23
	v_cvt_f32_i32_e32 v2, v40
	v_cvt_f32_i32_e32 v3, v42
	;; [unrolled: 1-line block ×4, first 2 shown]
	v_pk_mul_f32 v[0:1], v[24:25], 0.5 op_sel_hi:[1,0]
	v_pk_mul_f32 v[24:25], v[26:27], 0.5 op_sel_hi:[1,0]
	v_pk_mul_f32 v[0:1], v[0:1], v[4:5] op_sel_hi:[1,0]
	v_pk_mul_f32 v[4:5], v[24:25], v[4:5] op_sel_hi:[1,0]
	v_pk_fma_f32 v[0:1], v[0:1], v[2:3], 0 op_sel_hi:[1,1,0]
	s_nop 0
	v_pk_fma_f32 v[0:1], v[4:5], v[6:7], v[0:1]
	s_nop 0
	v_pk_add_f32 v[10:11], v[10:11], v[0:1]
	s_andn2_b64 exec, exec, s[4:5]
	s_cbranch_execnz .LBB86_9
; %bb.10:
	s_or_b64 exec, exec, s[4:5]
	ds_write2_b32 v16, v10, v11 offset1:1
.LBB86_11:
	s_or_b64 exec, exec, s[0:1]
	v_cmp_eq_u32_e32 vcc, 0, v19
	v_cmp_ne_u32_e64 s[0:1], 0, v19
	s_and_saveexec_b64 s[4:5], s[0:1]
	s_cbranch_execz .LBB86_13
; %bb.12:
	v_lshl_or_b32 v0, v19, 9, v17
	v_add_u32_e32 v0, 0xfffffe00, v0
	ds_write2st64_b32 v0, v10, v11 offset1:1
.LBB86_13:
	s_or_b64 exec, exec, s[4:5]
	s_waitcnt lgkmcnt(0)
	s_barrier
	s_and_saveexec_b64 s[0:1], vcc
	s_cbranch_execz .LBB86_16
; %bb.14:
	v_mbcnt_lo_u32_b32 v0, -1, 0
	v_mbcnt_hi_u32_b32 v4, -1, v0
	v_and_b32_e32 v0, 64, v4
	v_add_u32_e32 v5, 64, v0
	ds_read2st64_b32 v[0:1], v17 offset1:1
	ds_read2_b32 v[2:3], v16 offset1:1
	v_xor_b32_e32 v6, 32, v4
	v_cmp_lt_i32_e32 vcc, v6, v5
	s_load_dword s0, s[2:3], 0x58
	s_mov_b32 s5, 0
	v_cndmask_b32_e32 v6, v4, v6, vcc
	v_lshlrev_b32_e32 v6, 2, v6
	s_waitcnt lgkmcnt(0)
	v_pk_add_f32 v[0:1], v[0:1], v[2:3]
	ds_bpermute_b32 v2, v6, v0
	ds_bpermute_b32 v3, v6, v1
	v_xor_b32_e32 v6, 16, v4
	v_cmp_lt_i32_e32 vcc, v6, v5
	s_waitcnt lgkmcnt(0)
	v_pk_add_f32 v[0:1], v[0:1], v[2:3]
	v_cndmask_b32_e32 v6, v4, v6, vcc
	v_lshlrev_b32_e32 v6, 2, v6
	ds_bpermute_b32 v2, v6, v0
	ds_bpermute_b32 v3, v6, v1
	v_xor_b32_e32 v6, 8, v4
	v_cmp_lt_i32_e32 vcc, v6, v5
	s_waitcnt lgkmcnt(0)
	v_pk_add_f32 v[0:1], v[0:1], v[2:3]
	v_cndmask_b32_e32 v6, v4, v6, vcc
	v_lshlrev_b32_e32 v6, 2, v6
	;; [unrolled: 8-line block ×5, first 2 shown]
	ds_bpermute_b32 v2, v4, v0
	ds_bpermute_b32 v3, v4, v1
	v_cmp_gt_u32_e32 vcc, 2, v18
	s_waitcnt lgkmcnt(0)
	v_pk_add_f32 v[0:1], v[0:1], v[2:3]
	ds_write2_b32 v16, v0, v1 offset1:1
	v_or_b32_e32 v0, s7, v18
	v_cmp_gt_u32_e64 s[0:1], s0, v0
	s_and_b64 s[0:1], vcc, s[0:1]
	s_and_b64 exec, exec, s[0:1]
	s_cbranch_execz .LBB86_16
; %bb.15:
	s_load_dwordx2 s[0:1], s[2:3], 0x38
	s_mul_i32 s2, s20, s10
	v_add_u32_e32 v0, v16, v17
	s_add_i32 s2, s2, s7
	s_mul_i32 s6, s6, s14
	ds_read_b32 v0, v0
	s_add_i32 s4, s2, s6
	s_lshl_b64 s[2:3], s[4:5], 2
	s_waitcnt lgkmcnt(0)
	s_add_u32 s0, s0, s2
	s_addc_u32 s1, s1, s3
	global_store_dword v17, v0, s[0:1]
.LBB86_16:
	s_endpgm
	.section	.rodata,"a",@progbits
	.p2align	6, 0x0
	.amdhsa_kernel _ZL13mul_mat_vec_qIL9ggml_type40ELi1ELb0ELb1EEvPKvS2_PKi31ggml_cuda_mm_fusion_args_devicePfj15HIP_vector_typeIjLj3EEjjjS8_jjjS8_jjjj
		.amdhsa_group_segment_fixed_size 1536
		.amdhsa_private_segment_fixed_size 0
		.amdhsa_kernarg_size 144
		.amdhsa_user_sgpr_count 4
		.amdhsa_user_sgpr_dispatch_ptr 1
		.amdhsa_user_sgpr_queue_ptr 0
		.amdhsa_user_sgpr_kernarg_segment_ptr 1
		.amdhsa_user_sgpr_dispatch_id 0
		.amdhsa_user_sgpr_kernarg_preload_length 0
		.amdhsa_user_sgpr_kernarg_preload_offset 0
		.amdhsa_user_sgpr_private_segment_size 0
		.amdhsa_uses_dynamic_stack 0
		.amdhsa_enable_private_segment 0
		.amdhsa_system_sgpr_workgroup_id_x 1
		.amdhsa_system_sgpr_workgroup_id_y 1
		.amdhsa_system_sgpr_workgroup_id_z 1
		.amdhsa_system_sgpr_workgroup_info 0
		.amdhsa_system_vgpr_workitem_id 2
		.amdhsa_next_free_vgpr 64
		.amdhsa_next_free_sgpr 24
		.amdhsa_accum_offset 64
		.amdhsa_reserve_vcc 1
		.amdhsa_float_round_mode_32 0
		.amdhsa_float_round_mode_16_64 0
		.amdhsa_float_denorm_mode_32 3
		.amdhsa_float_denorm_mode_16_64 3
		.amdhsa_dx10_clamp 1
		.amdhsa_ieee_mode 1
		.amdhsa_fp16_overflow 0
		.amdhsa_tg_split 0
		.amdhsa_exception_fp_ieee_invalid_op 0
		.amdhsa_exception_fp_denorm_src 0
		.amdhsa_exception_fp_ieee_div_zero 0
		.amdhsa_exception_fp_ieee_overflow 0
		.amdhsa_exception_fp_ieee_underflow 0
		.amdhsa_exception_fp_ieee_inexact 0
		.amdhsa_exception_int_div_zero 0
	.end_amdhsa_kernel
	.section	.text._ZL13mul_mat_vec_qIL9ggml_type40ELi1ELb0ELb1EEvPKvS2_PKi31ggml_cuda_mm_fusion_args_devicePfj15HIP_vector_typeIjLj3EEjjjS8_jjjS8_jjjj,"axG",@progbits,_ZL13mul_mat_vec_qIL9ggml_type40ELi1ELb0ELb1EEvPKvS2_PKi31ggml_cuda_mm_fusion_args_devicePfj15HIP_vector_typeIjLj3EEjjjS8_jjjS8_jjjj,comdat
.Lfunc_end86:
	.size	_ZL13mul_mat_vec_qIL9ggml_type40ELi1ELb0ELb1EEvPKvS2_PKi31ggml_cuda_mm_fusion_args_devicePfj15HIP_vector_typeIjLj3EEjjjS8_jjjS8_jjjj, .Lfunc_end86-_ZL13mul_mat_vec_qIL9ggml_type40ELi1ELb0ELb1EEvPKvS2_PKi31ggml_cuda_mm_fusion_args_devicePfj15HIP_vector_typeIjLj3EEjjjS8_jjjS8_jjjj
                                        ; -- End function
	.section	.AMDGPU.csdata,"",@progbits
; Kernel info:
; codeLenInByte = 2352
; NumSgprs: 30
; NumVgprs: 64
; NumAgprs: 0
; TotalNumVgprs: 64
; ScratchSize: 0
; MemoryBound: 0
; FloatMode: 240
; IeeeMode: 1
; LDSByteSize: 1536 bytes/workgroup (compile time only)
; SGPRBlocks: 3
; VGPRBlocks: 7
; NumSGPRsForWavesPerEU: 30
; NumVGPRsForWavesPerEU: 64
; AccumOffset: 64
; Occupancy: 8
; WaveLimiterHint : 0
; COMPUTE_PGM_RSRC2:SCRATCH_EN: 0
; COMPUTE_PGM_RSRC2:USER_SGPR: 4
; COMPUTE_PGM_RSRC2:TRAP_HANDLER: 0
; COMPUTE_PGM_RSRC2:TGID_X_EN: 1
; COMPUTE_PGM_RSRC2:TGID_Y_EN: 1
; COMPUTE_PGM_RSRC2:TGID_Z_EN: 1
; COMPUTE_PGM_RSRC2:TIDIG_COMP_CNT: 2
; COMPUTE_PGM_RSRC3_GFX90A:ACCUM_OFFSET: 15
; COMPUTE_PGM_RSRC3_GFX90A:TG_SPLIT: 0
	.section	.text._ZL13mul_mat_vec_qIL9ggml_type40ELi1ELb1ELb0EEvPKvS2_PKi31ggml_cuda_mm_fusion_args_devicePfj15HIP_vector_typeIjLj3EEjjjS8_jjjS8_jjjj,"axG",@progbits,_ZL13mul_mat_vec_qIL9ggml_type40ELi1ELb1ELb0EEvPKvS2_PKi31ggml_cuda_mm_fusion_args_devicePfj15HIP_vector_typeIjLj3EEjjjS8_jjjS8_jjjj,comdat
	.globl	_ZL13mul_mat_vec_qIL9ggml_type40ELi1ELb1ELb0EEvPKvS2_PKi31ggml_cuda_mm_fusion_args_devicePfj15HIP_vector_typeIjLj3EEjjjS8_jjjS8_jjjj ; -- Begin function _ZL13mul_mat_vec_qIL9ggml_type40ELi1ELb1ELb0EEvPKvS2_PKi31ggml_cuda_mm_fusion_args_devicePfj15HIP_vector_typeIjLj3EEjjjS8_jjjS8_jjjj
	.p2align	8
	.type	_ZL13mul_mat_vec_qIL9ggml_type40ELi1ELb1ELb0EEvPKvS2_PKi31ggml_cuda_mm_fusion_args_devicePfj15HIP_vector_typeIjLj3EEjjjS8_jjjS8_jjjj,@function
_ZL13mul_mat_vec_qIL9ggml_type40ELi1ELb1ELb0EEvPKvS2_PKi31ggml_cuda_mm_fusion_args_devicePfj15HIP_vector_typeIjLj3EEjjjS8_jjjS8_jjjj: ; @_ZL13mul_mat_vec_qIL9ggml_type40ELi1ELb1ELb0EEvPKvS2_PKi31ggml_cuda_mm_fusion_args_devicePfj15HIP_vector_typeIjLj3EEjjjS8_jjjS8_jjjj
; %bb.0:
	s_load_dwordx8 s[16:23], s[0:1], 0x0
	s_load_dwordx4 s[36:39], s[0:1], 0x20
	s_load_dwordx4 s[8:11], s[0:1], 0x40
	;; [unrolled: 1-line block ×3, first 2 shown]
	s_mov_b32 s14, s3
	s_waitcnt lgkmcnt(0)
	s_cmp_lg_u64 s[20:21], 0
	s_cselect_b64 s[6:7], -1, 0
	s_cmp_eq_u64 s[20:21], 0
	s_mov_b64 s[12:13], 0
	s_cbranch_scc1 .LBB87_5
; %bb.1:
	s_mov_b32 s15, 0
	s_lshl_b64 s[28:29], s[14:15], 2
	s_add_u32 s20, s20, s28
	s_addc_u32 s21, s21, s29
	s_load_dword s5, s[20:21], 0x0
	s_load_dword s15, s[0:1], 0x50
	;; [unrolled: 1-line block ×3, first 2 shown]
	s_andn2_b64 vcc, exec, s[12:13]
	s_cbranch_vccnz .LBB87_3
.LBB87_2:
	s_load_dwordx2 s[12:13], s[0:1], 0x5c
	s_waitcnt lgkmcnt(0)
	s_mul_hi_u32 s3, s12, s14
	s_add_i32 s3, s14, s3
	s_lshr_b32 s5, s3, s13
.LBB87_3:
	s_andn2_b64 vcc, exec, s[6:7]
	s_cbranch_vccnz .LBB87_6
; %bb.4:
	s_mul_hi_u32 s3, s9, s14
	s_add_i32 s3, s14, s3
	s_lshr_b32 s3, s3, s10
	s_mul_i32 s3, s3, s11
	s_sub_i32 s34, s14, s3
	s_waitcnt lgkmcnt(0)
	s_mov_b32 s3, s5
	s_branch .LBB87_7
.LBB87_5:
                                        ; implicit-def: $sgpr5
	s_load_dword s15, s[0:1], 0x50
	s_load_dword s33, s[0:1], 0x78
	s_branch .LBB87_2
.LBB87_6:
	s_mov_b32 s3, s14
	s_mov_b32 s34, s14
.LBB87_7:
	s_load_dwordx4 s[28:31], s[0:1], 0x80
	v_bfe_u32 v24, v0, 10, 10
	v_and_b32_e32 v21, 0x3ff, v0
	s_cmp_lg_u64 s[22:23], 0
	v_or_b32_e32 v0, v24, v21
	s_cselect_b64 s[12:13], -1, 0
	v_cmp_eq_u32_e32 vcc, 0, v0
	s_mov_b32 s21, 0
	s_and_b64 s[40:41], vcc, s[12:13]
	v_mov_b32_e32 v22, 0
	s_mul_i32 s10, s3, s26
	v_lshlrev_b32_e32 v20, 2, v21
	v_mov_b32_e32 v23, 0
	s_and_saveexec_b64 s[6:7], s[40:41]
	s_cbranch_execz .LBB87_9
; %bb.8:
	s_waitcnt lgkmcnt(0)
	s_mul_i32 s20, s4, s30
	s_lshl_b64 s[40:41], s[20:21], 2
	s_add_u32 s3, s22, s40
	s_mov_b32 s11, s21
	s_addc_u32 s9, s23, s41
	s_lshl_b64 s[20:21], s[10:11], 2
	s_add_u32 s11, s3, s20
	s_addc_u32 s9, s9, s21
	s_ashr_i32 s3, s2, 31
	s_lshl_b64 s[20:21], s[2:3], 2
	s_add_u32 s20, s11, s20
	s_addc_u32 s21, s9, s21
	global_load_dword v23, v20, s[20:21]
.LBB87_9:
	s_or_b64 exec, exec, s[6:7]
	s_cmp_lg_u64 s[36:37], 0
	s_cselect_b64 s[20:21], -1, 0
	s_cmp_lg_u64 s[38:39], 0
	s_cselect_b64 s[6:7], -1, 0
	s_and_b64 s[22:23], s[6:7], s[20:21]
	s_and_b64 s[40:41], vcc, s[22:23]
	s_and_saveexec_b64 s[22:23], s[40:41]
	s_cbranch_execz .LBB87_11
; %bb.10:
	s_waitcnt lgkmcnt(0)
	s_mul_i32 s40, s4, s30
	s_mov_b32 s41, 0
	s_lshl_b64 s[42:43], s[40:41], 2
	s_add_u32 s3, s38, s42
	s_mov_b32 s11, s41
	s_addc_u32 s9, s39, s43
	s_lshl_b64 s[10:11], s[10:11], 2
	s_add_u32 s31, s3, s10
	s_addc_u32 s9, s9, s11
	s_ashr_i32 s3, s2, 31
	s_lshl_b64 s[10:11], s[2:3], 2
	s_add_u32 s10, s31, s10
	s_addc_u32 s11, s9, s11
	global_load_dword v22, v20, s[10:11]
.LBB87_11:
	s_or_b64 exec, exec, s[22:23]
	v_lshlrev_b32_e32 v0, 6, v24
	v_xor_b32_e32 v2, v0, v21
	v_and_b32_e32 v1, v0, v21
	v_lshrrev_b16_e32 v2, 1, v2
	s_lshr_b32 s3, s8, 6
	v_add_u16_e32 v26, v1, v2
	v_cndmask_b32_e64 v1, 0, 1, s[20:21]
	v_cmp_gt_u32_e32 vcc, s3, v26
	v_mov_b32_e32 v27, 0
	v_cmp_ne_u32_e64 s[8:9], 1, v1
	v_mov_b32_e32 v25, 0
	s_and_saveexec_b64 s[10:11], vcc
	s_cbranch_execz .LBB87_17
; %bb.12:
	s_mul_hi_u32 s20, s27, s4
	s_add_i32 s20, s4, s20
	s_waitcnt lgkmcnt(0)
	s_lshr_b32 s20, s20, s33
	s_mul_i32 s5, s5, s24
	s_mul_i32 s20, s20, s28
	s_mul_i32 s21, s34, s25
	s_mul_i32 s15, s2, s15
	s_add_i32 s5, s20, s5
	v_add_u32_e32 v1, v0, v21
	s_add_i32 s5, s5, s15
	s_mul_hi_u32 s15, s21, 36
	s_mul_i32 s21, s21, 36
	v_lshrrev_b32_e32 v1, 1, v1
	v_mov_b32_e32 v2, s21
	v_mov_b32_e32 v3, s15
	s_movk_i32 s15, 0x48
	s_mul_i32 s22, s4, s29
	v_mad_u64_u32 v[2:3], s[20:21], v1, s15, v[2:3]
	v_and_b32_e32 v4, 1, v21
	v_mad_u64_u32 v[2:3], s[20:21], s22, 36, v[2:3]
	v_mad_u64_u32 v[2:3], s[20:21], v4, 36, v[2:3]
	v_and_b32_e32 v0, 4, v20
	v_mov_b32_e32 v13, 0
	v_lshl_add_u64 v[2:3], v[2:3], 0, s[18:19]
	v_lshrrev_b32_e32 v12, 1, v0
	v_lshl_add_u64 v[14:15], v[2:3], 0, 16
	s_mov_b64 s[18:19], 0
	v_lshlrev_b32_e32 v16, 2, v0
	v_mov_b32_e32 v17, v13
	s_mov_b32 s15, 0xc080604
	s_mov_b32 s22, 0xf4f8fafc
	s_movk_i32 s23, 0x7f
	s_mov_b64 s[20:21], 0x1200
	v_mov_b32_e32 v28, 0x3020100
	v_mov_b32_e32 v29, 0xfdfeff00
	;; [unrolled: 1-line block ×4, first 2 shown]
	s_branch .LBB87_14
.LBB87_13:                              ;   in Loop: Header=BB87_14 Depth=1
	s_waitcnt vmcnt(1)
	v_ashrrev_i32_e32 v8, 4, v4
	v_and_b32_e32 v32, 0x7070707, v4
	v_lshrrev_b32_e32 v4, 1, v4
	v_and_b32_e32 v4, 0x4040404, v4
	v_perm_b32 v33, s15, v28, v32
	v_and_b32_e32 v34, 0x7070707, v8
	v_perm_b32 v32, s22, v29, v32
	v_or_b32_e32 v4, 0x3020100, v4
	v_lshrrev_b32_e32 v8, 1, v8
	v_perm_b32 v4, v32, v33, v4
	v_and_b32_e32 v8, 0x4040404, v8
	v_ashrrev_i32_e32 v32, 4, v5
	v_and_b32_e32 v33, 0x7070707, v5
	v_lshrrev_b32_e32 v5, 1, v5
	v_perm_b32 v35, s15, v28, v34
	v_perm_b32 v34, s22, v29, v34
	v_or_b32_e32 v8, 0x3020100, v8
	v_and_b32_e32 v5, 0x4040404, v5
	v_perm_b32 v8, v34, v35, v8
	v_perm_b32 v34, s15, v28, v33
	;; [unrolled: 1-line block ×3, first 2 shown]
	v_or_b32_e32 v5, 0x3020100, v5
	v_perm_b32 v5, v33, v34, v5
	v_mov_b32_e32 v33, 0
	v_dot4c_i32_i8_e32 v33, v4, v9
	v_dot4c_i32_i8_e32 v33, v8, v11
	;; [unrolled: 1-line block ×3, first 2 shown]
	v_ashrrev_i32_e32 v5, 4, v6
	v_and_b32_e32 v8, 0x7070707, v6
	v_lshrrev_b32_e32 v6, 1, v6
	v_and_b32_e32 v6, 0x4040404, v6
	v_and_b32_e32 v35, 0x7070707, v32
	v_lshrrev_b32_e32 v32, 1, v32
	v_perm_b32 v9, s15, v28, v8
	v_and_b32_e32 v10, 0x7070707, v5
	v_perm_b32 v8, s22, v29, v8
	v_or_b32_e32 v6, 0x3020100, v6
	v_lshrrev_b32_e32 v5, 1, v5
	v_and_b32_e32 v32, 0x4040404, v32
	v_perm_b32 v6, v8, v9, v6
	v_and_b32_e32 v5, 0x4040404, v5
	v_ashrrev_i32_e32 v8, 4, v7
	v_and_b32_e32 v9, 0x7070707, v7
	v_lshrrev_b32_e32 v7, 1, v7
	v_perm_b32 v36, s15, v28, v35
	v_perm_b32 v35, s22, v29, v35
	v_or_b32_e32 v32, 0x3020100, v32
	v_perm_b32 v11, s15, v28, v10
	v_perm_b32 v10, s22, v29, v10
	v_or_b32_e32 v5, 0x3020100, v5
	v_and_b32_e32 v7, 0x4040404, v7
	v_perm_b32 v32, v35, v36, v32
	v_perm_b32 v5, v10, v11, v5
	v_perm_b32 v10, s15, v28, v9
	v_perm_b32 v9, s22, v29, v9
	v_or_b32_e32 v7, 0x3020100, v7
	v_dot4c_i32_i8_e32 v33, v32, v0
	s_waitcnt vmcnt(0)
	v_lshrrev_b16_e32 v4, 8, v31
	v_and_b32_e32 v0, 0x7f, v31
	v_perm_b32 v7, v9, v10, v7
	v_mov_b32_e32 v9, 0
	v_cmp_ne_u16_e32 vcc, s23, v0
	v_dot4c_i32_i8_e32 v9, v6, v1
	v_and_b32_e32 v1, 0x7f, v4
	v_cndmask_b32_e32 v0, 0, v31, vcc
	v_and_b32_e32 v11, 0x7070707, v8
	v_lshrrev_b32_e32 v8, 1, v8
	v_cmp_ne_u16_e32 vcc, s23, v1
	v_and_b32_e32 v8, 0x4040404, v8
	v_and_b32_e32 v0, 0xff, v0
	v_cndmask_b32_e32 v1, 0, v4, vcc
	v_perm_b32 v31, s15, v28, v11
	v_perm_b32 v11, s22, v29, v11
	v_or_b32_e32 v8, 0x3020100, v8
	v_dot4c_i32_i8_e32 v9, v5, v3
	v_and_b32_e32 v1, 0xffff, v1
	v_cvt_f32_fp8_sdwa v0, v0 src0_sel:BYTE_0
	v_perm_b32 v8, v11, v31, v8
	v_dot4c_i32_i8_e32 v9, v7, v2
	v_cvt_f32_fp8_sdwa v1, v1 src0_sel:BYTE_0
	v_dot4c_i32_i8_e32 v9, v8, v30
	v_cvt_f32_i32_e32 v2, v33
	v_add_u32_e32 v26, 64, v26
	v_pk_mul_f32 v[0:1], v[0:1], 0.5 op_sel_hi:[1,0]
	v_cvt_f32_i32_e32 v3, v9
	v_pk_mul_f32 v[0:1], v[0:1], v[18:19]
	v_cmp_le_u32_e32 vcc, s3, v26
	s_or_b64 s[18:19], vcc, s[18:19]
	v_pk_mul_f32 v[0:1], v[0:1], v[2:3]
	v_lshl_add_u64 v[14:15], v[14:15], 0, s[20:21]
	v_add_f32_e32 v0, 0, v0
	v_add_f32_e32 v0, v0, v1
	;; [unrolled: 1-line block ×3, first 2 shown]
	s_andn2_b64 exec, exec, s[18:19]
	s_cbranch_execz .LBB87_16
.LBB87_14:                              ; =>This Inner Loop Header: Depth=1
	v_add_u32_e32 v32, s5, v26
	global_load_dwordx4 v[8:11], v[14:15], off offset:-16
	global_load_dwordx4 v[0:3], v[14:15], off
	global_load_dword v30, v[14:15], off offset:16
	v_mad_i64_i32 v[4:5], s[24:25], v32, 36, s[16:17]
	v_lshl_add_u64 v[18:19], v[4:5], 0, v[16:17]
	v_lshl_add_u64 v[34:35], v[4:5], 0, v[12:13]
	global_load_dwordx4 v[4:7], v[18:19], off offset:4
	global_load_ushort v31, v[34:35], off
	s_and_b64 vcc, exec, s[8:9]
	s_waitcnt vmcnt(4)
	v_cvt_f32_f16_e32 v18, v8
	v_mov_b32_e32 v19, v18
	s_cbranch_vccnz .LBB87_13
; %bb.15:                               ;   in Loop: Header=BB87_14 Depth=1
	v_mad_i64_i32 v[36:37], s[24:25], v32, 36, s[36:37]
	v_lshl_add_u64 v[32:33], v[36:37], 0, v[16:17]
	v_lshl_add_u64 v[36:37], v[36:37], 0, v[12:13]
	global_load_dwordx4 v[32:35], v[32:33], off offset:4
	s_nop 0
	global_load_ushort v8, v[36:37], off
	v_mov_b32_e32 v36, 0
	v_mov_b32_e32 v37, 0
	s_waitcnt vmcnt(1)
	v_ashrrev_i32_e32 v38, 4, v32
	v_and_b32_e32 v39, 0x7070707, v32
	s_waitcnt vmcnt(0)
	v_and_b32_e32 v43, 0x7f, v8
	v_lshrrev_b32_e32 v32, 1, v32
	v_ashrrev_i32_e32 v44, 4, v34
	v_and_b32_e32 v45, 0x7070707, v34
	v_lshrrev_b32_e32 v34, 1, v34
	v_cmp_ne_u16_e32 vcc, s23, v43
	v_lshrrev_b16_e32 v42, 8, v8
	v_and_b32_e32 v49, 0x7070707, v38
	v_and_b32_e32 v32, 0x4040404, v32
	v_lshrrev_b32_e32 v38, 1, v38
	v_cndmask_b32_e32 v8, 0, v8, vcc
	v_and_b32_e32 v52, 0x7070707, v44
	v_and_b32_e32 v34, 0x4040404, v34
	v_lshrrev_b32_e32 v44, 1, v44
	v_ashrrev_i32_e32 v40, 4, v33
	v_and_b32_e32 v41, 0x7070707, v33
	v_lshrrev_b32_e32 v33, 1, v33
	v_ashrrev_i32_e32 v46, 4, v35
	v_and_b32_e32 v47, 0x7070707, v35
	v_lshrrev_b32_e32 v35, 1, v35
	v_perm_b32 v48, s15, v28, v39
	v_perm_b32 v39, s22, v29, v39
	;; [unrolled: 1-line block ×4, first 2 shown]
	v_and_b32_e32 v55, 0x7f, v42
	v_or_b32_e32 v32, 0x3020100, v32
	v_and_b32_e32 v38, 0x4040404, v38
	v_and_b32_e32 v8, 0xff, v8
	v_or_b32_e32 v34, 0x3020100, v34
	v_and_b32_e32 v44, 0x4040404, v44
	v_and_b32_e32 v51, 0x7070707, v40
	v_and_b32_e32 v33, 0x4040404, v33
	v_lshrrev_b32_e32 v40, 1, v40
	v_and_b32_e32 v54, 0x7070707, v46
	v_and_b32_e32 v35, 0x4040404, v35
	v_lshrrev_b32_e32 v46, 1, v46
	v_perm_b32 v56, s15, v28, v49
	v_perm_b32 v49, s22, v29, v49
	;; [unrolled: 1-line block ×4, first 2 shown]
	v_cmp_ne_u16_e32 vcc, s23, v55
	v_perm_b32 v39, v39, v48, v32
	v_or_b32_e32 v38, 0x3020100, v38
	v_cvt_f32_fp8_sdwa v32, v8 src0_sel:BYTE_0
	v_perm_b32 v8, v45, v43, v34
	v_or_b32_e32 v34, 0x3020100, v44
	v_perm_b32 v50, s15, v28, v41
	v_perm_b32 v41, s22, v29, v41
	v_perm_b32 v53, s15, v28, v47
	v_perm_b32 v47, s22, v29, v47
	v_or_b32_e32 v33, 0x3020100, v33
	v_and_b32_e32 v40, 0x4040404, v40
	v_or_b32_e32 v35, 0x3020100, v35
	v_and_b32_e32 v46, 0x4040404, v46
	v_cndmask_b32_e32 v42, 0, v42, vcc
	v_perm_b32 v38, v49, v56, v38
	v_dot4c_i32_i8_e32 v36, v39, v9
	v_perm_b32 v34, v52, v58, v34
	v_dot4c_i32_i8_e32 v37, v8, v1
	v_perm_b32 v57, s15, v28, v51
	v_perm_b32 v51, s22, v29, v51
	;; [unrolled: 1-line block ×5, first 2 shown]
	v_or_b32_e32 v33, 0x3020100, v40
	v_perm_b32 v35, v47, v53, v35
	v_or_b32_e32 v40, 0x3020100, v46
	v_and_b32_e32 v42, 0xffff, v42
	v_dot4c_i32_i8_e32 v36, v38, v11
	v_dot4c_i32_i8_e32 v37, v34, v3
	v_perm_b32 v43, v51, v57, v33
	v_perm_b32 v39, v54, v59, v40
	v_cvt_f32_fp8_sdwa v33, v42 src0_sel:BYTE_0
	v_dot4c_i32_i8_e32 v36, v41, v10
	v_dot4c_i32_i8_e32 v37, v35, v2
	;; [unrolled: 1-line block ×4, first 2 shown]
	v_pk_mul_f32 v[32:33], v[32:33], 0.5 op_sel_hi:[1,0]
	s_nop 0
	v_cvt_f32_i32_e32 v34, v36
	v_cvt_f32_i32_e32 v35, v37
	v_pk_mul_f32 v[32:33], v[32:33], v[18:19]
	s_nop 0
	v_pk_mul_f32 v[32:33], v[32:33], v[34:35]
	s_nop 0
	v_add_f32_e32 v8, 0, v32
	v_add_f32_e32 v8, v8, v33
	;; [unrolled: 1-line block ×3, first 2 shown]
	s_branch .LBB87_13
.LBB87_16:
	s_or_b64 exec, exec, s[18:19]
.LBB87_17:
	s_or_b64 exec, exec, s[10:11]
	s_load_dword s3, s[0:1], 0x30
	v_cmp_eq_u32_e64 s[10:11], 0, v24
	v_cmp_ne_u32_e32 vcc, 0, v24
	s_and_saveexec_b64 s[16:17], vcc
	s_cbranch_execz .LBB87_20
; %bb.18:
	v_add_u32_e32 v0, -1, v24
	v_lshl_add_u32 v0, v0, 8, v20
	s_and_b64 vcc, exec, s[8:9]
	ds_write_b32 v0, v27
	s_cbranch_vccnz .LBB87_20
; %bb.19:
	ds_write_b32 v0, v25 offset:256
.LBB87_20:
	s_or_b64 exec, exec, s[16:17]
	s_waitcnt lgkmcnt(0)
	s_barrier
	s_and_saveexec_b64 s[16:17], s[10:11]
	s_cbranch_execz .LBB87_49
; %bb.21:
	ds_read_b32 v0, v20
	s_and_b64 vcc, exec, s[8:9]
	s_cbranch_vccnz .LBB87_23
; %bb.22:
	ds_read_b32 v1, v20 offset:256
	s_waitcnt lgkmcnt(0)
	v_add_f32_e32 v25, v25, v1
.LBB87_23:
	s_waitcnt lgkmcnt(0)
	v_add_f32_e32 v1, v27, v0
	v_mbcnt_lo_u32_b32 v0, -1, 0
	v_mbcnt_hi_u32_b32 v4, -1, v0
	v_and_b32_e32 v0, 64, v4
	v_add_u32_e32 v7, 64, v0
	v_xor_b32_e32 v0, 32, v4
	v_cmp_lt_i32_e32 vcc, v0, v7
	v_xor_b32_e32 v3, 16, v4
	v_xor_b32_e32 v5, 8, v4
	v_cndmask_b32_e32 v0, v4, v0, vcc
	v_lshlrev_b32_e32 v0, 2, v0
	ds_bpermute_b32 v2, v0, v1
	v_cmp_lt_i32_e32 vcc, v3, v7
	v_xor_b32_e32 v6, 4, v4
	v_xor_b32_e32 v8, 2, v4
	;; [unrolled: 1-line block ×3, first 2 shown]
	s_waitcnt lgkmcnt(0)
	v_add_f32_e32 v2, v1, v2
	v_cndmask_b32_e32 v1, v4, v3, vcc
	v_lshlrev_b32_e32 v1, 2, v1
	ds_bpermute_b32 v3, v1, v2
	v_cmp_lt_i32_e32 vcc, v5, v7
	s_waitcnt lgkmcnt(0)
	v_add_f32_e32 v2, v2, v3
	v_cndmask_b32_e32 v3, v4, v5, vcc
	v_lshlrev_b32_e32 v3, 2, v3
	ds_bpermute_b32 v5, v3, v2
	v_cmp_lt_i32_e32 vcc, v6, v7
	;; [unrolled: 6-line block ×4, first 2 shown]
	s_waitcnt lgkmcnt(0)
	v_add_f32_e32 v2, v2, v8
	v_cndmask_b32_e32 v4, v4, v9, vcc
	v_lshlrev_b32_e32 v7, 2, v4
	ds_bpermute_b32 v4, v7, v2
	s_and_b64 vcc, exec, s[8:9]
	s_cbranch_vccnz .LBB87_25
; %bb.24:
	ds_bpermute_b32 v0, v0, v25
	s_waitcnt lgkmcnt(0)
	v_add_f32_e32 v0, v25, v0
	ds_bpermute_b32 v1, v1, v0
	s_waitcnt lgkmcnt(0)
	v_add_f32_e32 v0, v0, v1
	;; [unrolled: 3-line block ×6, first 2 shown]
.LBB87_25:
	v_cmp_eq_u32_e32 vcc, 0, v21
	s_and_b64 exec, exec, vcc
	s_cbranch_execz .LBB87_49
; %bb.26:
	s_waitcnt lgkmcnt(0)
	v_add_f32_e32 v0, v2, v4
	s_waitcnt vmcnt(0)
	v_add_f32_e32 v1, v23, v0
	s_and_b64 vcc, exec, s[8:9]
	v_cndmask_b32_e64 v0, v0, v1, s[12:13]
	s_cbranch_vccnz .LBB87_48
; %bb.27:
	v_add_f32_e32 v1, v22, v25
	v_cndmask_b32_e64 v1, v25, v1, s[6:7]
	s_cmp_lt_i32 s3, 2
	s_mov_b64 s[6:7], 0
	s_cbranch_scc1 .LBB87_31
; %bb.28:
	s_cmp_gt_i32 s3, 2
	s_cbranch_scc0 .LBB87_32
; %bb.29:
	s_cmp_eq_u32 s3, 3
	s_cbranch_scc0 .LBB87_33
; %bb.30:
	v_max_f32_e32 v2, v1, v1
	v_min_f32_e32 v4, 0x40e00000, v2
	v_mul_f32_e32 v3, 0xbfd9db23, v4
	s_mov_b32 s5, 0x3fb8aa3b
	v_mul_f32_e32 v2, 0x3fb8aa3b, v3
	v_fma_f32 v5, v3, s5, -v2
	v_rndne_f32_e32 v6, v2
	v_fmamk_f32 v5, v3, 0x32a5705f, v5
	v_sub_f32_e32 v2, v2, v6
	v_add_f32_e32 v2, v2, v5
	v_exp_f32_e32 v5, v2
	v_cvt_i32_f32_e32 v6, v6
	s_mov_b32 s5, 0xc2ce8ed0
	v_max_f32_e32 v2, v0, v0
	v_cmp_ngt_f32_e32 vcc, s5, v3
	v_ldexp_f32 v5, v5, v6
	s_mov_b32 s5, 0x42b17218
	v_min_f32_e32 v2, 0x40e00000, v2
	v_cndmask_b32_e32 v5, 0, v5, vcc
	v_mov_b32_e32 v6, 0x7f800000
	v_cmp_nlt_f32_e32 vcc, s5, v3
	v_max_f32_e32 v2, 0xc0e00000, v2
	s_nop 0
	v_cndmask_b32_e32 v3, v6, v5, vcc
	v_pk_add_f32 v[2:3], v[2:3], 1.0 op_sel_hi:[1,0]
	s_nop 0
	v_div_scale_f32 v5, s[8:9], v3, v3, v4
	v_rcp_f32_e32 v6, v5
	s_mov_b64 s[8:9], 0
	v_fma_f32 v7, -v5, v6, 1.0
	v_fmac_f32_e32 v6, v7, v6
	v_div_scale_f32 v7, vcc, v4, v3, v4
	v_mul_f32_e32 v8, v7, v6
	v_fma_f32 v9, -v5, v8, v7
	v_fmac_f32_e32 v8, v9, v6
	v_fma_f32 v5, -v5, v8, v7
	v_div_fmas_f32 v5, v5, v6, v8
	v_div_fixup_f32 v3, v5, v3, v4
	v_mul_f32_e32 v2, v2, v3
	s_branch .LBB87_34
.LBB87_31:
                                        ; implicit-def: $vgpr2
	s_mov_b64 s[8:9], 0
	s_cbranch_execnz .LBB87_38
	s_branch .LBB87_39
.LBB87_32:
	s_mov_b64 s[10:11], -1
	s_mov_b64 s[8:9], 0
                                        ; implicit-def: $vgpr2
	s_branch .LBB87_35
.LBB87_33:
	s_mov_b64 s[8:9], -1
                                        ; implicit-def: $vgpr2
.LBB87_34:
	s_mov_b64 s[10:11], 0
.LBB87_35:
	s_and_b64 vcc, exec, s[10:11]
	s_cbranch_vccz .LBB87_37
; %bb.36:
	v_mul_f32_e32 v2, 0xbfb8aa3b, v1
	s_mov_b32 s5, 0xbfb8aa3b
	v_rndne_f32_e32 v3, v2
	v_sub_f32_e32 v4, v2, v3
	v_fma_f32 v2, v1, s5, -v2
	v_fmamk_f32 v2, v1, 0xb2a5705f, v2
	v_add_f32_e32 v2, v4, v2
	v_exp_f32_e32 v2, v2
	v_cvt_i32_f32_e32 v3, v3
	s_mov_b32 s5, 0x42ce8ed0
	v_cmp_nlt_f32_e32 vcc, s5, v1
	s_mov_b32 s5, 0xc2b17218
	v_ldexp_f32 v2, v2, v3
	v_cndmask_b32_e32 v2, 0, v2, vcc
	v_mov_b32_e32 v3, 0x7f800000
	v_cmp_ngt_f32_e32 vcc, s5, v1
	s_nop 1
	v_cndmask_b32_e32 v2, v3, v2, vcc
	v_add_f32_e32 v2, 1.0, v2
	v_div_scale_f32 v3, s[10:11], v2, v2, v1
	v_rcp_f32_e32 v4, v3
	s_nop 0
	v_fma_f32 v5, -v3, v4, 1.0
	v_fmac_f32_e32 v4, v5, v4
	v_div_scale_f32 v5, vcc, v1, v2, v1
	v_mul_f32_e32 v6, v5, v4
	v_fma_f32 v7, -v3, v6, v5
	v_fmac_f32_e32 v6, v7, v4
	v_fma_f32 v3, -v3, v6, v5
	v_div_fmas_f32 v3, v3, v4, v6
	v_div_fixup_f32 v2, v3, v2, v1
	v_mul_f32_e32 v2, v0, v2
.LBB87_37:
	s_branch .LBB87_39
.LBB87_38:
	s_cmp_lg_u32 s3, 1
	s_mov_b64 s[6:7], -1
	s_cselect_b64 s[8:9], -1, 0
                                        ; implicit-def: $vgpr2
.LBB87_39:
	s_andn2_b64 vcc, exec, s[8:9]
	s_cbranch_vccz .LBB87_41
; %bb.40:
	s_andn2_b64 vcc, exec, s[6:7]
	s_cbranch_vccz .LBB87_42
	s_branch .LBB87_47
.LBB87_41:
	v_mul_f32_e32 v2, v0, v1
	s_cbranch_execnz .LBB87_47
.LBB87_42:
	v_mul_f32_e32 v3, 0x3d372713, v1
	v_mul_f32_e32 v2, 0x3f4c422a, v1
	v_fma_f32 v3, v1, v3, 1.0
	v_mul_f32_e32 v2, v2, v3
	s_mov_b32 s3, 0x3f200000
	v_cmp_nlt_f32_e64 s[6:7], |v2|, s3
                                        ; implicit-def: $vgpr3
	s_and_saveexec_b64 s[8:9], s[6:7]
	s_xor_b64 s[6:7], exec, s[8:9]
	s_cbranch_execz .LBB87_44
; %bb.43:
	v_add_f32_e64 v3, |v2|, |v2|
	v_mul_f32_e32 v4, 0x3fb8aa3b, v3
	s_mov_b32 s3, 0x3fb8aa3b
	v_rndne_f32_e32 v5, v4
	v_sub_f32_e32 v6, v4, v5
	v_fma_f32 v4, v3, s3, -v4
	v_fmamk_f32 v4, v3, 0x32a5705f, v4
	v_add_f32_e32 v4, v6, v4
	v_exp_f32_e32 v4, v4
	v_cvt_i32_f32_e32 v5, v5
	s_mov_b32 s3, 0xc2ce8ed0
	v_cmp_ngt_f32_e32 vcc, s3, v3
	s_mov_b32 s3, 0x42b17218
	v_ldexp_f32 v4, v4, v5
	v_cndmask_b32_e32 v4, 0, v4, vcc
	v_mov_b32_e32 v5, 0x7f800000
	v_cmp_nlt_f32_e32 vcc, s3, v3
	s_nop 1
	v_cndmask_b32_e32 v3, v5, v4, vcc
	v_add_f32_e32 v3, 1.0, v3
	v_rcp_f32_e32 v3, v3
	s_nop 0
	v_fma_f32 v3, v3, -2.0, 1.0
.LBB87_44:
	s_andn2_saveexec_b64 s[6:7], s[6:7]
; %bb.45:
	v_mul_f32_e32 v3, v2, v2
	v_mov_b32_e32 v4, 0x3ca908c9
	v_fmac_f32_e32 v4, 0xbbbac73d, v3
	v_fmaak_f32 v4, v3, v4, 0xbd5c1c4e
	v_fmaak_f32 v4, v3, v4, 0x3e088382
	;; [unrolled: 1-line block ×3, first 2 shown]
	v_mul_f32_e64 v4, |v2|, v4
	v_fma_f32 v3, v3, v4, |v2|
; %bb.46:
	s_or_b64 exec, exec, s[6:7]
	s_brev_b32 s3, -2
	v_bfi_b32 v2, s3, v3, v2
	v_mul_f32_e32 v1, 0.5, v1
	v_add_f32_e32 v2, 1.0, v2
	v_mul_f32_e32 v1, v1, v2
	v_mul_f32_e32 v2, v0, v1
.LBB87_47:
	v_mov_b32_e32 v0, v2
.LBB87_48:
	s_load_dwordx2 s[0:1], s[0:1], 0x38
	s_mul_i32 s3, s14, s26
	s_mul_i32 s4, s4, s30
	s_add_i32 s2, s3, s2
	s_add_i32 s2, s2, s4
	s_mov_b32 s3, 0
	s_lshl_b64 s[2:3], s[2:3], 2
	s_waitcnt lgkmcnt(0)
	s_add_u32 s0, s0, s2
	s_addc_u32 s1, s1, s3
	global_store_dword v20, v0, s[0:1]
.LBB87_49:
	s_endpgm
	.section	.rodata,"a",@progbits
	.p2align	6, 0x0
	.amdhsa_kernel _ZL13mul_mat_vec_qIL9ggml_type40ELi1ELb1ELb0EEvPKvS2_PKi31ggml_cuda_mm_fusion_args_devicePfj15HIP_vector_typeIjLj3EEjjjS8_jjjS8_jjjj
		.amdhsa_group_segment_fixed_size 512
		.amdhsa_private_segment_fixed_size 0
		.amdhsa_kernarg_size 144
		.amdhsa_user_sgpr_count 2
		.amdhsa_user_sgpr_dispatch_ptr 0
		.amdhsa_user_sgpr_queue_ptr 0
		.amdhsa_user_sgpr_kernarg_segment_ptr 1
		.amdhsa_user_sgpr_dispatch_id 0
		.amdhsa_user_sgpr_kernarg_preload_length 0
		.amdhsa_user_sgpr_kernarg_preload_offset 0
		.amdhsa_user_sgpr_private_segment_size 0
		.amdhsa_uses_dynamic_stack 0
		.amdhsa_enable_private_segment 0
		.amdhsa_system_sgpr_workgroup_id_x 1
		.amdhsa_system_sgpr_workgroup_id_y 1
		.amdhsa_system_sgpr_workgroup_id_z 1
		.amdhsa_system_sgpr_workgroup_info 0
		.amdhsa_system_vgpr_workitem_id 1
		.amdhsa_next_free_vgpr 60
		.amdhsa_next_free_sgpr 44
		.amdhsa_accum_offset 60
		.amdhsa_reserve_vcc 1
		.amdhsa_float_round_mode_32 0
		.amdhsa_float_round_mode_16_64 0
		.amdhsa_float_denorm_mode_32 3
		.amdhsa_float_denorm_mode_16_64 3
		.amdhsa_dx10_clamp 1
		.amdhsa_ieee_mode 1
		.amdhsa_fp16_overflow 0
		.amdhsa_tg_split 0
		.amdhsa_exception_fp_ieee_invalid_op 0
		.amdhsa_exception_fp_denorm_src 0
		.amdhsa_exception_fp_ieee_div_zero 0
		.amdhsa_exception_fp_ieee_overflow 0
		.amdhsa_exception_fp_ieee_underflow 0
		.amdhsa_exception_fp_ieee_inexact 0
		.amdhsa_exception_int_div_zero 0
	.end_amdhsa_kernel
	.section	.text._ZL13mul_mat_vec_qIL9ggml_type40ELi1ELb1ELb0EEvPKvS2_PKi31ggml_cuda_mm_fusion_args_devicePfj15HIP_vector_typeIjLj3EEjjjS8_jjjS8_jjjj,"axG",@progbits,_ZL13mul_mat_vec_qIL9ggml_type40ELi1ELb1ELb0EEvPKvS2_PKi31ggml_cuda_mm_fusion_args_devicePfj15HIP_vector_typeIjLj3EEjjjS8_jjjS8_jjjj,comdat
.Lfunc_end87:
	.size	_ZL13mul_mat_vec_qIL9ggml_type40ELi1ELb1ELb0EEvPKvS2_PKi31ggml_cuda_mm_fusion_args_devicePfj15HIP_vector_typeIjLj3EEjjjS8_jjjS8_jjjj, .Lfunc_end87-_ZL13mul_mat_vec_qIL9ggml_type40ELi1ELb1ELb0EEvPKvS2_PKi31ggml_cuda_mm_fusion_args_devicePfj15HIP_vector_typeIjLj3EEjjjS8_jjjS8_jjjj
                                        ; -- End function
	.section	.AMDGPU.csdata,"",@progbits
; Kernel info:
; codeLenInByte = 3436
; NumSgprs: 50
; NumVgprs: 60
; NumAgprs: 0
; TotalNumVgprs: 60
; ScratchSize: 0
; MemoryBound: 0
; FloatMode: 240
; IeeeMode: 1
; LDSByteSize: 512 bytes/workgroup (compile time only)
; SGPRBlocks: 6
; VGPRBlocks: 7
; NumSGPRsForWavesPerEU: 50
; NumVGPRsForWavesPerEU: 60
; AccumOffset: 60
; Occupancy: 8
; WaveLimiterHint : 0
; COMPUTE_PGM_RSRC2:SCRATCH_EN: 0
; COMPUTE_PGM_RSRC2:USER_SGPR: 2
; COMPUTE_PGM_RSRC2:TRAP_HANDLER: 0
; COMPUTE_PGM_RSRC2:TGID_X_EN: 1
; COMPUTE_PGM_RSRC2:TGID_Y_EN: 1
; COMPUTE_PGM_RSRC2:TGID_Z_EN: 1
; COMPUTE_PGM_RSRC2:TIDIG_COMP_CNT: 1
; COMPUTE_PGM_RSRC3_GFX90A:ACCUM_OFFSET: 14
; COMPUTE_PGM_RSRC3_GFX90A:TG_SPLIT: 0
	.section	.text._ZL13mul_mat_vec_qIL9ggml_type40ELi1ELb0ELb0EEvPKvS2_PKi31ggml_cuda_mm_fusion_args_devicePfj15HIP_vector_typeIjLj3EEjjjS8_jjjS8_jjjj,"axG",@progbits,_ZL13mul_mat_vec_qIL9ggml_type40ELi1ELb0ELb0EEvPKvS2_PKi31ggml_cuda_mm_fusion_args_devicePfj15HIP_vector_typeIjLj3EEjjjS8_jjjS8_jjjj,comdat
	.globl	_ZL13mul_mat_vec_qIL9ggml_type40ELi1ELb0ELb0EEvPKvS2_PKi31ggml_cuda_mm_fusion_args_devicePfj15HIP_vector_typeIjLj3EEjjjS8_jjjS8_jjjj ; -- Begin function _ZL13mul_mat_vec_qIL9ggml_type40ELi1ELb0ELb0EEvPKvS2_PKi31ggml_cuda_mm_fusion_args_devicePfj15HIP_vector_typeIjLj3EEjjjS8_jjjS8_jjjj
	.p2align	8
	.type	_ZL13mul_mat_vec_qIL9ggml_type40ELi1ELb0ELb0EEvPKvS2_PKi31ggml_cuda_mm_fusion_args_devicePfj15HIP_vector_typeIjLj3EEjjjS8_jjjS8_jjjj,@function
_ZL13mul_mat_vec_qIL9ggml_type40ELi1ELb0ELb0EEvPKvS2_PKi31ggml_cuda_mm_fusion_args_devicePfj15HIP_vector_typeIjLj3EEjjjS8_jjjS8_jjjj: ; @_ZL13mul_mat_vec_qIL9ggml_type40ELi1ELb0ELb0EEvPKvS2_PKi31ggml_cuda_mm_fusion_args_devicePfj15HIP_vector_typeIjLj3EEjjjS8_jjjS8_jjjj
; %bb.0:
	s_load_dwordx2 s[8:9], s[0:1], 0x10
	s_load_dwordx4 s[16:19], s[0:1], 0x40
	s_mov_b32 s20, s3
	s_mov_b64 s[12:13], 0
	s_waitcnt lgkmcnt(0)
	s_cmp_lg_u64 s[8:9], 0
	s_cselect_b64 s[6:7], -1, 0
	s_cmp_eq_u64 s[8:9], 0
	s_cbranch_scc1 .LBB88_5
; %bb.1:
	s_mov_b32 s21, 0
	s_lshl_b64 s[10:11], s[20:21], 2
	s_add_u32 s8, s8, s10
	s_addc_u32 s9, s9, s11
	s_load_dword s5, s[8:9], 0x0
	s_nop 0
	s_load_dwordx4 s[8:11], s[0:1], 0x68
	s_load_dword s21, s[0:1], 0x50
	s_andn2_b64 vcc, exec, s[12:13]
	s_cbranch_vccnz .LBB88_3
.LBB88_2:
	s_load_dwordx2 s[12:13], s[0:1], 0x5c
	s_waitcnt lgkmcnt(0)
	s_mul_hi_u32 s3, s12, s20
	s_add_i32 s3, s20, s3
	s_lshr_b32 s5, s3, s13
.LBB88_3:
	s_load_dword s24, s[0:1], 0x78
	s_andn2_b64 vcc, exec, s[6:7]
	s_cbranch_vccnz .LBB88_6
; %bb.4:
	s_mul_hi_u32 s3, s17, s20
	s_add_i32 s3, s20, s3
	s_lshr_b32 s3, s3, s18
	s_mul_i32 s3, s3, s19
	s_sub_i32 s6, s20, s3
	s_branch .LBB88_7
.LBB88_5:
                                        ; implicit-def: $sgpr5
	s_load_dwordx4 s[8:11], s[0:1], 0x68
	s_load_dword s21, s[0:1], 0x50
	s_branch .LBB88_2
.LBB88_6:
	s_mov_b32 s6, s20
.LBB88_7:
	s_load_dwordx4 s[12:15], s[0:1], 0x80
	v_bfe_u32 v8, v0, 10, 10
	v_lshlrev_b32_e32 v1, 6, v8
	v_and_b32_e32 v6, 0x3ff, v0
	v_add_u16_e32 v0, v1, v6
	s_lshr_b32 s3, s16, 6
	v_lshrrev_b16_e32 v9, 1, v0
	v_cmp_gt_u32_e32 vcc, s3, v9
	v_mov_b32_e32 v10, 0
	v_lshlrev_b32_e32 v7, 2, v6
	s_and_saveexec_b64 s[22:23], vcc
	s_cbranch_execz .LBB88_11
; %bb.8:
	s_waitcnt lgkmcnt(0)
	s_mul_i32 s5, s5, s8
	s_mul_hi_u32 s8, s11, s4
	s_add_i32 s8, s4, s8
	s_lshr_b32 s8, s8, s24
	s_mul_i32 s8, s8, s12
	s_mul_i32 s6, s6, s9
	;; [unrolled: 1-line block ×3, first 2 shown]
	s_add_i32 s5, s8, s5
	s_load_dwordx4 s[16:19], s[0:1], 0x0
	v_add_u32_e32 v2, v1, v6
	s_add_i32 s5, s5, s7
	s_mul_hi_u32 s7, s6, 36
	s_mul_i32 s6, s6, 36
	v_lshrrev_b32_e32 v10, 1, v2
	v_mov_b32_e32 v2, s6
	v_mov_b32_e32 v3, s7
	s_movk_i32 s6, 0x48
	s_mul_i32 s13, s4, s13
	v_mad_u64_u32 v[2:3], s[6:7], v10, s6, v[2:3]
	v_and_b32_e32 v5, 1, v6
	v_mad_u64_u32 v[2:3], s[6:7], s13, 36, v[2:3]
	v_mad_u64_u32 v[2:3], s[6:7], v5, 36, v[2:3]
	v_and_b32_e32 v4, 4, v7
	v_mov_b32_e32 v1, 0
	s_waitcnt lgkmcnt(0)
	v_lshl_add_u64 v[2:3], v[2:3], 0, s[18:19]
	v_lshrrev_b32_e32 v0, 1, v4
	v_lshl_add_u64 v[2:3], v[2:3], 0, 16
	s_mov_b64 s[8:9], 0
	v_lshlrev_b32_e32 v4, 2, v4
	v_mov_b32_e32 v5, v1
	s_mov_b32 s11, 0xc080604
	v_mov_b32_e32 v11, 0x3020100
	s_mov_b32 s15, 0xf4f8fafc
	v_mov_b32_e32 v12, 0xfdfeff00
	s_movk_i32 s18, 0x7f
	s_mov_b64 s[12:13], 0x1200
	v_mov_b32_e32 v10, v1
.LBB88_9:                               ; =>This Inner Loop Header: Depth=1
	v_add_u32_e32 v13, s5, v9
	v_mad_i64_i32 v[22:23], s[6:7], v13, 36, s[16:17]
	v_lshl_add_u64 v[26:27], v[22:23], 0, v[4:5]
	global_load_dword v30, v[2:3], off offset:16
	global_load_dwordx4 v[14:17], v[2:3], off
	global_load_dwordx4 v[18:21], v[2:3], off offset:-16
	v_lshl_add_u64 v[28:29], v[22:23], 0, v[0:1]
	global_load_dwordx4 v[22:25], v[26:27], off offset:4
	global_load_ushort v13, v[28:29], off
	v_mov_b32_e32 v31, 0
	v_mov_b32_e32 v26, 0
	v_add_u32_e32 v9, 64, v9
	v_cmp_le_u32_e32 vcc, s3, v9
	v_lshl_add_u64 v[2:3], v[2:3], 0, s[12:13]
	s_or_b64 s[8:9], vcc, s[8:9]
	s_waitcnt vmcnt(2)
	v_cvt_f32_f16_e32 v18, v18
	s_waitcnt vmcnt(1)
	v_ashrrev_i32_e32 v27, 4, v22
	s_waitcnt vmcnt(0)
	v_and_b32_e32 v34, 0x7f, v13
	v_and_b32_e32 v28, 0x7070707, v22
	v_lshrrev_b32_e32 v22, 1, v22
	v_ashrrev_i32_e32 v35, 4, v24
	v_and_b32_e32 v36, 0x7070707, v24
	v_lshrrev_b32_e32 v24, 1, v24
	v_cmp_ne_u16_e64 s[6:7], s18, v34
	v_lshrrev_b16_e32 v33, 8, v13
	v_and_b32_e32 v40, 0x7070707, v27
	v_and_b32_e32 v22, 0x4040404, v22
	v_lshrrev_b32_e32 v27, 1, v27
	v_cndmask_b32_e64 v13, 0, v13, s[6:7]
	v_and_b32_e32 v43, 0x7070707, v35
	v_and_b32_e32 v24, 0x4040404, v24
	v_lshrrev_b32_e32 v35, 1, v35
	v_ashrrev_i32_e32 v29, 4, v23
	v_and_b32_e32 v32, 0x7070707, v23
	v_lshrrev_b32_e32 v23, 1, v23
	v_ashrrev_i32_e32 v37, 4, v25
	v_and_b32_e32 v38, 0x7070707, v25
	v_lshrrev_b32_e32 v25, 1, v25
	v_perm_b32 v39, s11, v11, v28
	v_perm_b32 v28, s15, v12, v28
	;; [unrolled: 1-line block ×4, first 2 shown]
	v_and_b32_e32 v46, 0x7f, v33
	v_or_b32_e32 v22, 0x3020100, v22
	v_and_b32_e32 v27, 0x4040404, v27
	v_and_b32_e32 v13, 0xff, v13
	v_or_b32_e32 v24, 0x3020100, v24
	v_and_b32_e32 v35, 0x4040404, v35
	v_and_b32_e32 v42, 0x7070707, v29
	;; [unrolled: 1-line block ×3, first 2 shown]
	v_lshrrev_b32_e32 v29, 1, v29
	v_and_b32_e32 v45, 0x7070707, v37
	v_and_b32_e32 v25, 0x4040404, v25
	v_lshrrev_b32_e32 v37, 1, v37
	v_perm_b32 v47, s11, v11, v40
	v_perm_b32 v40, s15, v12, v40
	;; [unrolled: 1-line block ×4, first 2 shown]
	v_cmp_ne_u16_e64 s[6:7], s18, v46
	v_perm_b32 v28, v28, v39, v22
	v_or_b32_e32 v27, 0x3020100, v27
	v_cvt_f32_fp8_sdwa v22, v13 src0_sel:BYTE_0
	v_perm_b32 v13, v36, v34, v24
	v_or_b32_e32 v24, 0x3020100, v35
	v_perm_b32 v41, s11, v11, v32
	v_perm_b32 v32, s15, v12, v32
	;; [unrolled: 1-line block ×4, first 2 shown]
	v_or_b32_e32 v23, 0x3020100, v23
	v_and_b32_e32 v29, 0x4040404, v29
	v_or_b32_e32 v25, 0x3020100, v25
	v_and_b32_e32 v37, 0x4040404, v37
	v_cndmask_b32_e64 v33, 0, v33, s[6:7]
	v_perm_b32 v27, v40, v47, v27
	v_dot4c_i32_i8_e32 v31, v28, v19
	v_perm_b32 v19, v43, v49, v24
	v_dot4c_i32_i8_e32 v26, v13, v15
	v_perm_b32 v48, s11, v11, v42
	v_perm_b32 v42, s15, v12, v42
	;; [unrolled: 1-line block ×5, first 2 shown]
	v_or_b32_e32 v23, 0x3020100, v29
	v_perm_b32 v25, v38, v44, v25
	v_or_b32_e32 v29, 0x3020100, v37
	v_and_b32_e32 v33, 0xffff, v33
	v_dot4c_i32_i8_e32 v31, v27, v21
	v_dot4c_i32_i8_e32 v26, v19, v17
	v_perm_b32 v34, v42, v48, v23
	v_perm_b32 v24, v45, v50, v29
	v_cvt_f32_fp8_sdwa v23, v33 src0_sel:BYTE_0
	v_dot4c_i32_i8_e32 v31, v32, v20
	v_dot4c_i32_i8_e32 v26, v25, v16
	;; [unrolled: 1-line block ×4, first 2 shown]
	v_pk_mul_f32 v[16:17], v[22:23], 0.5 op_sel_hi:[1,0]
	s_nop 0
	v_cvt_f32_i32_e32 v14, v31
	v_cvt_f32_i32_e32 v15, v26
	v_pk_mul_f32 v[16:17], v[16:17], v[18:19] op_sel_hi:[1,0]
	s_nop 0
	v_pk_mul_f32 v[14:15], v[16:17], v[14:15]
	s_nop 0
	v_add_f32_e32 v13, 0, v14
	v_add_f32_e32 v13, v13, v15
	;; [unrolled: 1-line block ×3, first 2 shown]
	s_andn2_b64 exec, exec, s[8:9]
	s_cbranch_execnz .LBB88_9
; %bb.10:
	s_or_b64 exec, exec, s[8:9]
.LBB88_11:
	s_or_b64 exec, exec, s[22:23]
	v_cmp_eq_u32_e32 vcc, 0, v8
	v_cmp_ne_u32_e64 s[6:7], 0, v8
	s_waitcnt lgkmcnt(0)
	s_and_saveexec_b64 s[8:9], s[6:7]
	s_cbranch_execz .LBB88_13
; %bb.12:
	v_lshlrev_b32_e32 v0, 8, v8
	s_movk_i32 s3, 0xff00
	v_add3_u32 v0, v0, v7, s3
	ds_write_b32 v0, v10
.LBB88_13:
	s_or_b64 exec, exec, s[8:9]
	s_waitcnt lgkmcnt(0)
	s_barrier
	s_and_saveexec_b64 s[6:7], vcc
	s_cbranch_execz .LBB88_16
; %bb.14:
	v_mbcnt_lo_u32_b32 v1, -1, 0
	ds_read_b32 v0, v7
	v_mbcnt_hi_u32_b32 v1, -1, v1
	v_and_b32_e32 v2, 64, v1
	v_add_u32_e32 v2, 64, v2
	v_xor_b32_e32 v3, 32, v1
	v_cmp_lt_i32_e32 vcc, v3, v2
	s_waitcnt lgkmcnt(0)
	v_add_f32_e32 v0, v10, v0
	s_mov_b32 s3, 0
	v_cndmask_b32_e32 v3, v1, v3, vcc
	v_lshlrev_b32_e32 v3, 2, v3
	ds_bpermute_b32 v3, v3, v0
	s_waitcnt lgkmcnt(0)
	v_add_f32_e32 v0, v0, v3
	v_xor_b32_e32 v3, 16, v1
	v_cmp_lt_i32_e32 vcc, v3, v2
	s_nop 1
	v_cndmask_b32_e32 v3, v1, v3, vcc
	v_lshlrev_b32_e32 v3, 2, v3
	ds_bpermute_b32 v3, v3, v0
	s_waitcnt lgkmcnt(0)
	v_add_f32_e32 v0, v0, v3
	v_xor_b32_e32 v3, 8, v1
	v_cmp_lt_i32_e32 vcc, v3, v2
	s_nop 1
	;; [unrolled: 8-line block ×5, first 2 shown]
	v_cndmask_b32_e32 v1, v1, v3, vcc
	v_lshlrev_b32_e32 v1, 2, v1
	ds_bpermute_b32 v1, v1, v0
	v_cmp_eq_u32_e32 vcc, 0, v6
	s_and_b64 exec, exec, vcc
	s_cbranch_execz .LBB88_16
; %bb.15:
	s_load_dwordx2 s[0:1], s[0:1], 0x38
	s_mul_i32 s5, s20, s10
	s_mul_i32 s4, s4, s14
	s_add_i32 s2, s5, s2
	s_add_i32 s2, s2, s4
	s_lshl_b64 s[2:3], s[2:3], 2
	s_waitcnt lgkmcnt(0)
	s_add_u32 s0, s0, s2
	s_addc_u32 s1, s1, s3
	v_mov_b32_e32 v2, 0
	v_add_f32_e32 v0, v0, v1
	global_store_dword v2, v0, s[0:1]
.LBB88_16:
	s_endpgm
	.section	.rodata,"a",@progbits
	.p2align	6, 0x0
	.amdhsa_kernel _ZL13mul_mat_vec_qIL9ggml_type40ELi1ELb0ELb0EEvPKvS2_PKi31ggml_cuda_mm_fusion_args_devicePfj15HIP_vector_typeIjLj3EEjjjS8_jjjS8_jjjj
		.amdhsa_group_segment_fixed_size 256
		.amdhsa_private_segment_fixed_size 0
		.amdhsa_kernarg_size 144
		.amdhsa_user_sgpr_count 2
		.amdhsa_user_sgpr_dispatch_ptr 0
		.amdhsa_user_sgpr_queue_ptr 0
		.amdhsa_user_sgpr_kernarg_segment_ptr 1
		.amdhsa_user_sgpr_dispatch_id 0
		.amdhsa_user_sgpr_kernarg_preload_length 0
		.amdhsa_user_sgpr_kernarg_preload_offset 0
		.amdhsa_user_sgpr_private_segment_size 0
		.amdhsa_uses_dynamic_stack 0
		.amdhsa_enable_private_segment 0
		.amdhsa_system_sgpr_workgroup_id_x 1
		.amdhsa_system_sgpr_workgroup_id_y 1
		.amdhsa_system_sgpr_workgroup_id_z 1
		.amdhsa_system_sgpr_workgroup_info 0
		.amdhsa_system_vgpr_workitem_id 1
		.amdhsa_next_free_vgpr 51
		.amdhsa_next_free_sgpr 25
		.amdhsa_accum_offset 52
		.amdhsa_reserve_vcc 1
		.amdhsa_float_round_mode_32 0
		.amdhsa_float_round_mode_16_64 0
		.amdhsa_float_denorm_mode_32 3
		.amdhsa_float_denorm_mode_16_64 3
		.amdhsa_dx10_clamp 1
		.amdhsa_ieee_mode 1
		.amdhsa_fp16_overflow 0
		.amdhsa_tg_split 0
		.amdhsa_exception_fp_ieee_invalid_op 0
		.amdhsa_exception_fp_denorm_src 0
		.amdhsa_exception_fp_ieee_div_zero 0
		.amdhsa_exception_fp_ieee_overflow 0
		.amdhsa_exception_fp_ieee_underflow 0
		.amdhsa_exception_fp_ieee_inexact 0
		.amdhsa_exception_int_div_zero 0
	.end_amdhsa_kernel
	.section	.text._ZL13mul_mat_vec_qIL9ggml_type40ELi1ELb0ELb0EEvPKvS2_PKi31ggml_cuda_mm_fusion_args_devicePfj15HIP_vector_typeIjLj3EEjjjS8_jjjS8_jjjj,"axG",@progbits,_ZL13mul_mat_vec_qIL9ggml_type40ELi1ELb0ELb0EEvPKvS2_PKi31ggml_cuda_mm_fusion_args_devicePfj15HIP_vector_typeIjLj3EEjjjS8_jjjS8_jjjj,comdat
.Lfunc_end88:
	.size	_ZL13mul_mat_vec_qIL9ggml_type40ELi1ELb0ELb0EEvPKvS2_PKi31ggml_cuda_mm_fusion_args_devicePfj15HIP_vector_typeIjLj3EEjjjS8_jjjS8_jjjj, .Lfunc_end88-_ZL13mul_mat_vec_qIL9ggml_type40ELi1ELb0ELb0EEvPKvS2_PKi31ggml_cuda_mm_fusion_args_devicePfj15HIP_vector_typeIjLj3EEjjjS8_jjjS8_jjjj
                                        ; -- End function
	.section	.AMDGPU.csdata,"",@progbits
; Kernel info:
; codeLenInByte = 1564
; NumSgprs: 31
; NumVgprs: 51
; NumAgprs: 0
; TotalNumVgprs: 51
; ScratchSize: 0
; MemoryBound: 0
; FloatMode: 240
; IeeeMode: 1
; LDSByteSize: 256 bytes/workgroup (compile time only)
; SGPRBlocks: 3
; VGPRBlocks: 6
; NumSGPRsForWavesPerEU: 31
; NumVGPRsForWavesPerEU: 51
; AccumOffset: 52
; Occupancy: 8
; WaveLimiterHint : 0
; COMPUTE_PGM_RSRC2:SCRATCH_EN: 0
; COMPUTE_PGM_RSRC2:USER_SGPR: 2
; COMPUTE_PGM_RSRC2:TRAP_HANDLER: 0
; COMPUTE_PGM_RSRC2:TGID_X_EN: 1
; COMPUTE_PGM_RSRC2:TGID_Y_EN: 1
; COMPUTE_PGM_RSRC2:TGID_Z_EN: 1
; COMPUTE_PGM_RSRC2:TIDIG_COMP_CNT: 1
; COMPUTE_PGM_RSRC3_GFX90A:ACCUM_OFFSET: 12
; COMPUTE_PGM_RSRC3_GFX90A:TG_SPLIT: 0
	.section	.text._ZL13mul_mat_vec_qIL9ggml_type40ELi2ELb0ELb0EEvPKvS2_PKi31ggml_cuda_mm_fusion_args_devicePfj15HIP_vector_typeIjLj3EEjjjS8_jjjS8_jjjj,"axG",@progbits,_ZL13mul_mat_vec_qIL9ggml_type40ELi2ELb0ELb0EEvPKvS2_PKi31ggml_cuda_mm_fusion_args_devicePfj15HIP_vector_typeIjLj3EEjjjS8_jjjS8_jjjj,comdat
	.globl	_ZL13mul_mat_vec_qIL9ggml_type40ELi2ELb0ELb0EEvPKvS2_PKi31ggml_cuda_mm_fusion_args_devicePfj15HIP_vector_typeIjLj3EEjjjS8_jjjS8_jjjj ; -- Begin function _ZL13mul_mat_vec_qIL9ggml_type40ELi2ELb0ELb0EEvPKvS2_PKi31ggml_cuda_mm_fusion_args_devicePfj15HIP_vector_typeIjLj3EEjjjS8_jjjS8_jjjj
	.p2align	8
	.type	_ZL13mul_mat_vec_qIL9ggml_type40ELi2ELb0ELb0EEvPKvS2_PKi31ggml_cuda_mm_fusion_args_devicePfj15HIP_vector_typeIjLj3EEjjjS8_jjjS8_jjjj,@function
_ZL13mul_mat_vec_qIL9ggml_type40ELi2ELb0ELb0EEvPKvS2_PKi31ggml_cuda_mm_fusion_args_devicePfj15HIP_vector_typeIjLj3EEjjjS8_jjjS8_jjjj: ; @_ZL13mul_mat_vec_qIL9ggml_type40ELi2ELb0ELb0EEvPKvS2_PKi31ggml_cuda_mm_fusion_args_devicePfj15HIP_vector_typeIjLj3EEjjjS8_jjjS8_jjjj
; %bb.0:
	s_load_dwordx2 s[20:21], s[0:1], 0x4
	s_load_dword s7, s[2:3], 0x40
	s_load_dwordx4 s[8:11], s[2:3], 0x50
	s_load_dword s25, s[2:3], 0x60
	s_load_dwordx4 s[12:15], s[2:3], 0x68
	;; [unrolled: 2-line block ×3, first 2 shown]
	s_waitcnt lgkmcnt(0)
	s_lshr_b32 s0, s20, 16
	v_bfe_u32 v22, v0, 10, 10
	v_and_b32_e32 v17, 0x3ff, v0
	s_mul_i32 s0, s0, s21
	v_mul_u32_u24_e32 v1, s21, v22
	v_mad_u32_u24 v1, s0, v17, v1
	v_bfe_u32 v0, v0, 20, 10
	v_add_lshl_u32 v4, v1, v0, 4
	v_mov_b32_e32 v0, 0
	v_lshlrev_b32_e32 v5, 6, v22
	v_mov_b32_e32 v1, v0
	v_mov_b32_e32 v2, v0
	;; [unrolled: 1-line block ×3, first 2 shown]
	ds_write_b128 v4, v[0:3] offset:1024
	v_add_u16_e32 v1, v5, v17
	s_lshr_b32 s7, s7, 6
	v_lshrrev_b16_e32 v23, 1, v1
	v_add_u32_e32 v20, 0x400, v4
	s_lshl_b32 s4, s4, 1
	v_cmp_gt_u32_e32 vcc, s7, v23
	v_lshlrev_b32_e32 v21, 2, v17
	v_mov_b32_e32 v1, v0
	s_and_saveexec_b64 s[0:1], vcc
	s_cbranch_execz .LBB89_4
; %bb.1:
	s_load_dwordx4 s[20:23], s[2:3], 0x0
	s_mul_i32 s17, s6, s17
	s_mul_i32 s26, s17, 36
	;; [unrolled: 1-line block ×3, first 2 shown]
	s_mul_hi_u32 s19, s17, 36
	s_waitcnt lgkmcnt(0)
	s_add_u32 s28, s22, s26
	s_addc_u32 s19, s23, s19
	s_mul_i32 s26, s13, 36
	s_mul_hi_u32 s27, s13, 36
	s_add_u32 s28, s28, s26
	s_mul_hi_u32 s11, s11, s5
	s_addc_u32 s29, s19, s27
	s_add_i32 s11, s5, s11
	s_lshr_b32 s11, s11, s25
	s_mul_i32 s11, s11, s12
	s_mul_hi_u32 s12, s15, s6
	s_add_i32 s12, s6, s12
	s_lshr_b32 s12, s12, s24
	v_and_b32_e32 v1, 1, v17
	s_mul_i32 s15, s12, s16
	v_mad_u64_u32 v[10:11], s[12:13], v1, 36, s[28:29]
	s_add_i32 s12, s4, 1
	s_mul_i32 s16, s4, s8
	s_add_i32 s15, s15, s11
	s_mul_i32 s8, s8, s12
	s_add_i32 s11, s15, s16
	s_add_i32 s15, s15, s8
	s_movk_i32 s8, 0x48
	v_mov_b64_e32 v[2:3], s[26:27]
	v_mad_u64_u32 v[2:3], s[12:13], v23, s8, v[2:3]
	v_mad_u64_u32 v[2:3], s[12:13], s17, 36, v[2:3]
	v_and_b32_e32 v0, 4, v21
	v_mov_b32_e32 v9, 0
	v_mad_u64_u32 v[2:3], s[12:13], v1, 36, v[2:3]
	v_lshrrev_b32_e32 v8, 1, v0
	v_lshl_add_u64 v[12:13], s[22:23], 0, v[2:3]
	v_lshl_add_u32 v24, v23, 1, s9
	s_mov_b64 s[8:9], 0
	v_lshlrev_b32_e32 v14, 2, v0
	v_mov_b32_e32 v15, v9
	s_mov_b32 s16, 0xc080604
	v_mov_b32_e32 v25, 0x3020100
	s_mov_b32 s17, 0xf4f8fafc
	v_mov_b32_e32 v26, 0xfdfeff00
	s_movk_i32 s19, 0x7f
	s_mov_b64 s[12:13], 0x1200
	v_mov_b32_e32 v0, v9
	v_mov_b32_e32 v1, v9
	;; [unrolled: 1-line block ×4, first 2 shown]
.LBB89_2:                               ; =>This Inner Loop Header: Depth=1
	v_add_u32_e32 v18, s11, v23
	v_mad_i64_i32 v[18:19], s[22:23], v18, 36, s[20:21]
	v_lshl_add_u64 v[32:33], v[18:19], 0, v[14:15]
	global_load_dword v27, v[12:13], off offset:32
	global_load_dwordx4 v[4:7], v[12:13], off offset:16
	global_load_dwordx4 v[28:31], v[12:13], off
	v_lshl_add_u64 v[18:19], v[18:19], 0, v[8:9]
	global_load_dwordx4 v[32:35], v[32:33], off offset:4
	v_mov_b32_e32 v42, 0
	global_load_ushort v18, v[18:19], off
	v_mov_b32_e32 v47, 0
	v_lshl_add_u64 v[12:13], v[12:13], 0, s[12:13]
	s_waitcnt vmcnt(2)
	v_cvt_f32_f16_e32 v16, v28
	s_waitcnt vmcnt(1)
	v_ashrrev_i32_e32 v28, 4, v32
	v_and_b32_e32 v38, 0x7070707, v28
	v_lshrrev_b32_e32 v28, 1, v28
	v_and_b32_e32 v36, 0x7070707, v32
	v_lshrrev_b32_e32 v32, 1, v32
	v_and_b32_e32 v28, 0x4040404, v28
	v_perm_b32 v39, s16, v25, v38
	v_perm_b32 v38, s17, v26, v38
	v_and_b32_e32 v32, 0x4040404, v32
	v_or_b32_e32 v28, 0x3020100, v28
	v_perm_b32 v37, s16, v25, v36
	v_perm_b32 v36, s17, v26, v36
	v_or_b32_e32 v32, 0x3020100, v32
	v_perm_b32 v38, v38, v39, v28
	v_ashrrev_i32_e32 v28, 4, v33
	v_perm_b32 v40, v36, v37, v32
	v_and_b32_e32 v37, 0x7070707, v28
	v_lshrrev_b32_e32 v28, 1, v28
	v_and_b32_e32 v28, 0x4040404, v28
	v_and_b32_e32 v32, 0x7070707, v33
	v_perm_b32 v39, s16, v25, v37
	v_perm_b32 v37, s17, v26, v37
	v_lshrrev_b32_e32 v33, 1, v33
	v_or_b32_e32 v28, 0x3020100, v28
	v_and_b32_e32 v33, 0x4040404, v33
	v_perm_b32 v39, v37, v39, v28
	s_waitcnt vmcnt(0)
	v_and_b32_e32 v28, 0x7f, v18
	v_perm_b32 v36, s16, v25, v32
	v_perm_b32 v32, s17, v26, v32
	v_or_b32_e32 v33, 0x3020100, v33
	v_cmp_ne_u16_e32 vcc, s19, v28
	v_ashrrev_i32_e32 v28, 4, v34
	v_perm_b32 v41, v32, v36, v33
	v_and_b32_e32 v36, 0x7070707, v28
	v_lshrrev_b32_e32 v28, 1, v28
	v_and_b32_e32 v32, 0x7070707, v34
	v_lshrrev_b32_e32 v34, 1, v34
	v_and_b32_e32 v28, 0x4040404, v28
	v_perm_b32 v37, s16, v25, v36
	v_perm_b32 v36, s17, v26, v36
	v_and_b32_e32 v34, 0x4040404, v34
	v_or_b32_e32 v28, 0x3020100, v28
	v_perm_b32 v33, s16, v25, v32
	v_perm_b32 v32, s17, v26, v32
	v_or_b32_e32 v34, 0x3020100, v34
	v_perm_b32 v44, v36, v37, v28
	v_ashrrev_i32_e32 v28, 4, v35
	v_perm_b32 v43, v32, v33, v34
	v_and_b32_e32 v34, 0x7070707, v28
	v_lshrrev_b32_e32 v28, 1, v28
	v_and_b32_e32 v28, 0x4040404, v28
	v_lshrrev_b16_e32 v19, 8, v18
	v_perm_b32 v36, s16, v25, v34
	v_perm_b32 v34, s17, v26, v34
	v_or_b32_e32 v28, 0x3020100, v28
	v_perm_b32 v46, v34, v36, v28
	v_and_b32_e32 v28, 0x7f, v19
	v_cndmask_b32_e32 v18, 0, v18, vcc
	v_cmp_ne_u16_e32 vcc, s19, v28
	v_and_b32_e32 v32, 0x7070707, v35
	v_lshrrev_b32_e32 v35, 1, v35
	v_cndmask_b32_e32 v19, 0, v19, vcc
	v_and_b32_e32 v19, 0xffff, v19
	v_and_b32_e32 v35, 0x4040404, v35
	v_cvt_f32_fp8_sdwa v28, v19 src0_sel:BYTE_0
	v_add_u32_e32 v19, s15, v23
	v_perm_b32 v33, s16, v25, v32
	v_perm_b32 v32, s17, v26, v32
	v_or_b32_e32 v35, 0x3020100, v35
	v_mad_i64_i32 v[36:37], s[22:23], v19, 36, s[20:21]
	v_perm_b32 v45, v32, v33, v35
	v_lshl_add_u64 v[32:33], v[36:37], 0, v[14:15]
	global_load_dwordx4 v[32:35], v[32:33], off offset:4
	v_dot4c_i32_i8_e32 v42, v40, v29
	v_dot4c_i32_i8_e32 v42, v38, v31
	;; [unrolled: 1-line block ×4, first 2 shown]
	v_and_b32_e32 v18, 0xff, v18
	v_dot4c_i32_i8_e32 v47, v43, v5
	v_cvt_f32_fp8_sdwa v18, v18 src0_sel:BYTE_0
	v_dot4c_i32_i8_e32 v47, v44, v7
	v_dot4c_i32_i8_e32 v47, v45, v6
	;; [unrolled: 1-line block ×3, first 2 shown]
	v_add_u32_e32 v23, 64, v23
	s_waitcnt vmcnt(0)
	v_ashrrev_i32_e32 v19, 4, v32
	v_and_b32_e32 v48, 0x7070707, v32
	v_and_b32_e32 v50, 0x7070707, v19
	v_lshrrev_b32_e32 v32, 1, v32
	v_lshrrev_b32_e32 v19, 1, v19
	v_and_b32_e32 v32, 0x4040404, v32
	v_and_b32_e32 v19, 0x4040404, v19
	v_perm_b32 v49, s16, v25, v48
	v_perm_b32 v51, s16, v25, v50
	;; [unrolled: 1-line block ×4, first 2 shown]
	v_or_b32_e32 v32, 0x3020100, v32
	v_or_b32_e32 v19, 0x3020100, v19
	v_perm_b32 v48, v48, v49, v32
	v_perm_b32 v49, v50, v51, v19
	v_ashrrev_i32_e32 v19, 4, v33
	v_and_b32_e32 v32, 0x7070707, v33
	v_lshrrev_b32_e32 v33, 1, v33
	v_and_b32_e32 v33, 0x4040404, v33
	v_perm_b32 v50, s16, v25, v32
	v_perm_b32 v32, s17, v26, v32
	v_or_b32_e32 v33, 0x3020100, v33
	v_and_b32_e32 v51, 0x7070707, v19
	v_perm_b32 v50, v32, v50, v33
	v_lshrrev_b32_e32 v19, 1, v19
	v_mov_b32_e32 v32, 0
	v_and_b32_e32 v19, 0x4040404, v19
	v_dot4c_i32_i8_e32 v32, v48, v29
	v_perm_b32 v52, s16, v25, v51
	v_perm_b32 v51, s17, v26, v51
	v_or_b32_e32 v19, 0x3020100, v19
	v_dot4c_i32_i8_e32 v32, v49, v31
	v_perm_b32 v51, v51, v52, v19
	v_dot4c_i32_i8_e32 v32, v50, v30
	v_lshl_add_u64 v[30:31], v[36:37], 0, v[8:9]
	v_dot4c_i32_i8_e32 v32, v51, v4
	global_load_ushort v4, v[30:31], off
	v_and_b32_e32 v30, 0x7070707, v34
	v_perm_b32 v31, s16, v25, v30
	v_perm_b32 v30, s17, v26, v30
	s_waitcnt vmcnt(0)
	v_and_b32_e32 v19, 0x7f, v4
	v_cmp_ne_u16_e32 vcc, s19, v19
	v_lshrrev_b16_e32 v29, 8, v4
	s_nop 0
	v_cndmask_b32_e32 v4, 0, v4, vcc
	v_and_b32_e32 v4, 0xff, v4
	v_cvt_f32_fp8_sdwa v19, v4 src0_sel:BYTE_0
	v_ashrrev_i32_e32 v4, 4, v34
	v_and_b32_e32 v33, 0x7070707, v4
	v_lshrrev_b32_e32 v4, 1, v4
	v_and_b32_e32 v4, 0x4040404, v4
	v_perm_b32 v36, s16, v25, v33
	v_perm_b32 v33, s17, v26, v33
	v_or_b32_e32 v4, 0x3020100, v4
	v_lshrrev_b32_e32 v34, 1, v34
	v_perm_b32 v36, v33, v36, v4
	v_ashrrev_i32_e32 v4, 4, v35
	v_and_b32_e32 v34, 0x4040404, v34
	v_and_b32_e32 v33, 0x7070707, v4
	v_lshrrev_b32_e32 v4, 1, v4
	v_or_b32_e32 v34, 0x3020100, v34
	v_and_b32_e32 v4, 0x4040404, v4
	v_perm_b32 v37, v30, v31, v34
	v_perm_b32 v34, s16, v25, v33
	;; [unrolled: 1-line block ×3, first 2 shown]
	v_or_b32_e32 v4, 0x3020100, v4
	v_and_b32_e32 v30, 0x7070707, v35
	v_lshrrev_b32_e32 v35, 1, v35
	v_perm_b32 v53, v33, v34, v4
	v_and_b32_e32 v4, 0x7f, v29
	v_and_b32_e32 v35, 0x4040404, v35
	v_cmp_ne_u16_e32 vcc, s19, v4
	v_perm_b32 v31, s16, v25, v30
	v_perm_b32 v30, s17, v26, v30
	v_or_b32_e32 v35, 0x3020100, v35
	v_cndmask_b32_e32 v4, 0, v29, vcc
	v_perm_b32 v52, v30, v31, v35
	v_mov_b32_e32 v30, 0
	v_and_b32_e32 v4, 0xffff, v4
	v_dot4c_i32_i8_e32 v30, v37, v5
	v_cvt_f32_fp8_sdwa v29, v4 src0_sel:BYTE_0
	v_dot4c_i32_i8_e32 v30, v36, v7
	v_dot4c_i32_i8_e32 v30, v52, v6
	;; [unrolled: 1-line block ×3, first 2 shown]
	v_cvt_f32_i32_e32 v7, v32
	v_cvt_f32_i32_e32 v6, v42
	v_pk_mul_f32 v[32:33], v[28:29], 0.5 op_sel_hi:[1,0]
	v_cvt_f32_i32_e32 v29, v30
	v_cvt_f32_i32_e32 v28, v47
	v_pk_mul_f32 v[18:19], v[18:19], 0.5 op_sel_hi:[1,0]
	v_mad_u64_u32 v[34:35], s[22:23], v24, 36, v[10:11]
	v_pk_mul_f32 v[4:5], v[18:19], v[16:17] op_sel_hi:[1,0]
	v_cmp_le_u32_e32 vcc, s7, v23
	v_pk_fma_f32 v[4:5], v[4:5], v[6:7], 0 op_sel_hi:[1,1,0]
	v_pk_mul_f32 v[6:7], v[32:33], v[16:17] op_sel_hi:[1,0]
	v_add_u32_e32 v24, 0x80, v24
	v_pk_fma_f32 v[4:5], v[6:7], v[28:29], v[4:5]
	s_or_b64 s[8:9], vcc, s[8:9]
	v_pk_add_f32 v[0:1], v[0:1], v[4:5]
	global_load_dword v27, v[34:35], off offset:32
	global_load_dwordx4 v[4:7], v[34:35], off offset:16
	global_load_dwordx4 v[28:31], v[34:35], off
	v_mov_b32_e32 v35, 0
	v_mov_b32_e32 v34, 0
	s_waitcnt vmcnt(1)
	v_dot4c_i32_i8_e32 v34, v43, v5
	s_waitcnt vmcnt(0)
	v_cvt_f32_f16_e32 v16, v28
	v_mov_b32_e32 v28, 0
	v_dot4c_i32_i8_e32 v28, v40, v29
	v_dot4c_i32_i8_e32 v35, v48, v29
	v_mov_b32_e32 v29, 0
	v_dot4c_i32_i8_e32 v28, v38, v31
	v_dot4c_i32_i8_e32 v35, v49, v31
	;; [unrolled: 1-line block ×13, first 2 shown]
	v_cvt_f32_i32_e32 v7, v35
	v_cvt_f32_i32_e32 v6, v28
	v_pk_mul_f32 v[4:5], v[18:19], v[16:17] op_sel_hi:[1,0]
	v_cvt_f32_i32_e32 v19, v29
	v_cvt_f32_i32_e32 v18, v34
	v_pk_fma_f32 v[4:5], v[4:5], v[6:7], 0 op_sel_hi:[1,1,0]
	v_pk_mul_f32 v[6:7], v[32:33], v[16:17] op_sel_hi:[1,0]
	s_nop 0
	v_pk_fma_f32 v[4:5], v[6:7], v[18:19], v[4:5]
	s_nop 0
	v_pk_add_f32 v[2:3], v[2:3], v[4:5]
	s_andn2_b64 exec, exec, s[8:9]
	s_cbranch_execnz .LBB89_2
; %bb.3:
	s_or_b64 exec, exec, s[8:9]
	ds_write_b128 v20, v[0:3]
.LBB89_4:
	s_or_b64 exec, exec, s[0:1]
	v_cmp_eq_u32_e32 vcc, 0, v22
	v_cmp_ne_u32_e64 s[0:1], 0, v22
	s_and_saveexec_b64 s[8:9], s[0:1]
	s_cbranch_execz .LBB89_6
; %bb.5:
	v_lshl_or_b32 v4, v22, 10, v21
	v_add_u32_e32 v4, 0xfffffc00, v4
	ds_write2st64_b32 v4, v0, v1 offset1:1
	ds_write2st64_b32 v4, v2, v3 offset0:2 offset1:3
.LBB89_6:
	s_or_b64 exec, exec, s[8:9]
	s_waitcnt lgkmcnt(0)
	s_barrier
	s_and_saveexec_b64 s[0:1], vcc
	s_cbranch_execz .LBB89_11
; %bb.7:
	v_mbcnt_lo_u32_b32 v0, -1, 0
	v_mbcnt_hi_u32_b32 v10, -1, v0
	ds_read2st64_b32 v[2:3], v21 offset1:1
	ds_read_b64 v[4:5], v20
	v_and_b32_e32 v0, 64, v10
	v_add_u32_e32 v11, 64, v0
	v_xor_b32_e32 v0, 32, v10
	v_cmp_lt_i32_e32 vcc, v0, v11
	s_waitcnt lgkmcnt(0)
	v_pk_add_f32 v[2:3], v[2:3], v[4:5]
	v_xor_b32_e32 v1, 16, v10
	v_cndmask_b32_e32 v0, v10, v0, vcc
	v_lshlrev_b32_e32 v0, 2, v0
	ds_bpermute_b32 v4, v0, v2
	ds_bpermute_b32 v5, v0, v3
	v_cmp_lt_i32_e32 vcc, v1, v11
	s_load_dwordx2 s[0:1], s[2:3], 0x38
	s_mul_i32 s2, s5, s14
	v_cndmask_b32_e32 v1, v10, v1, vcc
	v_lshlrev_b32_e32 v1, 2, v1
	s_waitcnt lgkmcnt(0)
	v_pk_add_f32 v[4:5], v[2:3], v[4:5]
	ds_bpermute_b32 v6, v1, v4
	ds_bpermute_b32 v7, v1, v5
	v_xor_b32_e32 v2, 8, v10
	v_cmp_lt_i32_e32 vcc, v2, v11
	v_xor_b32_e32 v3, 4, v10
	s_mul_i32 s6, s6, s18
	v_cndmask_b32_e32 v2, v10, v2, vcc
	v_lshlrev_b32_e32 v2, 2, v2
	s_waitcnt lgkmcnt(0)
	v_pk_add_f32 v[4:5], v[4:5], v[6:7]
	ds_bpermute_b32 v6, v2, v4
	ds_bpermute_b32 v7, v2, v5
	v_cmp_lt_i32_e32 vcc, v3, v11
	s_add_i32 s2, s2, s4
	s_add_i32 s2, s2, s6
	v_cndmask_b32_e32 v3, v10, v3, vcc
	v_lshlrev_b32_e32 v3, 2, v3
	s_waitcnt lgkmcnt(0)
	v_pk_add_f32 v[6:7], v[4:5], v[6:7]
	ds_bpermute_b32 v8, v3, v6
	ds_bpermute_b32 v9, v3, v7
	v_xor_b32_e32 v4, 2, v10
	v_cmp_lt_i32_e32 vcc, v4, v11
	v_xor_b32_e32 v5, 1, v10
	s_mov_b32 s3, 0
	v_cndmask_b32_e32 v4, v10, v4, vcc
	v_lshlrev_b32_e32 v4, 2, v4
	s_waitcnt lgkmcnt(0)
	v_pk_add_f32 v[6:7], v[6:7], v[8:9]
	ds_bpermute_b32 v8, v4, v6
	ds_bpermute_b32 v9, v4, v7
	v_cmp_lt_i32_e32 vcc, v5, v11
	s_lshl_b64 s[2:3], s[2:3], 2
	s_add_u32 s2, s0, s2
	v_cndmask_b32_e32 v5, v10, v5, vcc
	v_lshlrev_b32_e32 v5, 2, v5
	s_waitcnt lgkmcnt(0)
	v_pk_add_f32 v[6:7], v[6:7], v[8:9]
	ds_bpermute_b32 v8, v5, v6
	ds_bpermute_b32 v9, v5, v7
	v_or_b32_e32 v10, s4, v17
	s_addc_u32 s3, s1, s3
	v_cmp_gt_u32_e32 vcc, 2, v17
	v_cmp_gt_u32_e64 s[0:1], s10, v10
	s_and_b64 s[0:1], vcc, s[0:1]
	s_waitcnt lgkmcnt(0)
	v_pk_add_f32 v[6:7], v[6:7], v[8:9]
	ds_write_b64 v20, v[6:7]
	s_and_saveexec_b64 s[4:5], s[0:1]
	s_cbranch_execz .LBB89_9
; %bb.8:
	v_add_u32_e32 v6, v20, v21
	ds_read_b32 v6, v6
	s_waitcnt lgkmcnt(0)
	global_store_dword v21, v6, s[2:3]
.LBB89_9:
	s_or_b64 exec, exec, s[4:5]
	ds_read2st64_b32 v[6:7], v21 offset0:2 offset1:3
	ds_read_b64 v[8:9], v20 offset:8
	s_waitcnt lgkmcnt(0)
	v_pk_add_f32 v[6:7], v[6:7], v[8:9]
	ds_bpermute_b32 v8, v0, v6
	ds_bpermute_b32 v9, v0, v7
	s_waitcnt lgkmcnt(0)
	v_pk_add_f32 v[6:7], v[6:7], v[8:9]
	ds_bpermute_b32 v0, v1, v6
	ds_bpermute_b32 v1, v1, v7
	;; [unrolled: 4-line block ×6, first 2 shown]
	s_waitcnt lgkmcnt(0)
	v_pk_add_f32 v[0:1], v[0:1], v[2:3]
	ds_write_b64 v20, v[0:1] offset:8
	s_and_b64 exec, exec, s[0:1]
	s_cbranch_execz .LBB89_11
; %bb.10:
	v_lshl_add_u32 v0, v17, 2, v20
	ds_read_b32 v2, v0 offset:8
	v_add_u32_e32 v0, s10, v17
	v_mov_b32_e32 v1, 0
	v_lshl_add_u64 v[0:1], v[0:1], 2, s[2:3]
	s_waitcnt lgkmcnt(0)
	global_store_dword v[0:1], v2, off
.LBB89_11:
	s_endpgm
	.section	.rodata,"a",@progbits
	.p2align	6, 0x0
	.amdhsa_kernel _ZL13mul_mat_vec_qIL9ggml_type40ELi2ELb0ELb0EEvPKvS2_PKi31ggml_cuda_mm_fusion_args_devicePfj15HIP_vector_typeIjLj3EEjjjS8_jjjS8_jjjj
		.amdhsa_group_segment_fixed_size 3072
		.amdhsa_private_segment_fixed_size 0
		.amdhsa_kernarg_size 144
		.amdhsa_user_sgpr_count 4
		.amdhsa_user_sgpr_dispatch_ptr 1
		.amdhsa_user_sgpr_queue_ptr 0
		.amdhsa_user_sgpr_kernarg_segment_ptr 1
		.amdhsa_user_sgpr_dispatch_id 0
		.amdhsa_user_sgpr_kernarg_preload_length 0
		.amdhsa_user_sgpr_kernarg_preload_offset 0
		.amdhsa_user_sgpr_private_segment_size 0
		.amdhsa_uses_dynamic_stack 0
		.amdhsa_enable_private_segment 0
		.amdhsa_system_sgpr_workgroup_id_x 1
		.amdhsa_system_sgpr_workgroup_id_y 1
		.amdhsa_system_sgpr_workgroup_id_z 1
		.amdhsa_system_sgpr_workgroup_info 0
		.amdhsa_system_vgpr_workitem_id 2
		.amdhsa_next_free_vgpr 54
		.amdhsa_next_free_sgpr 30
		.amdhsa_accum_offset 56
		.amdhsa_reserve_vcc 1
		.amdhsa_float_round_mode_32 0
		.amdhsa_float_round_mode_16_64 0
		.amdhsa_float_denorm_mode_32 3
		.amdhsa_float_denorm_mode_16_64 3
		.amdhsa_dx10_clamp 1
		.amdhsa_ieee_mode 1
		.amdhsa_fp16_overflow 0
		.amdhsa_tg_split 0
		.amdhsa_exception_fp_ieee_invalid_op 0
		.amdhsa_exception_fp_denorm_src 0
		.amdhsa_exception_fp_ieee_div_zero 0
		.amdhsa_exception_fp_ieee_overflow 0
		.amdhsa_exception_fp_ieee_underflow 0
		.amdhsa_exception_fp_ieee_inexact 0
		.amdhsa_exception_int_div_zero 0
	.end_amdhsa_kernel
	.section	.text._ZL13mul_mat_vec_qIL9ggml_type40ELi2ELb0ELb0EEvPKvS2_PKi31ggml_cuda_mm_fusion_args_devicePfj15HIP_vector_typeIjLj3EEjjjS8_jjjS8_jjjj,"axG",@progbits,_ZL13mul_mat_vec_qIL9ggml_type40ELi2ELb0ELb0EEvPKvS2_PKi31ggml_cuda_mm_fusion_args_devicePfj15HIP_vector_typeIjLj3EEjjjS8_jjjS8_jjjj,comdat
.Lfunc_end89:
	.size	_ZL13mul_mat_vec_qIL9ggml_type40ELi2ELb0ELb0EEvPKvS2_PKi31ggml_cuda_mm_fusion_args_devicePfj15HIP_vector_typeIjLj3EEjjjS8_jjjS8_jjjj, .Lfunc_end89-_ZL13mul_mat_vec_qIL9ggml_type40ELi2ELb0ELb0EEvPKvS2_PKi31ggml_cuda_mm_fusion_args_devicePfj15HIP_vector_typeIjLj3EEjjjS8_jjjS8_jjjj
                                        ; -- End function
	.section	.AMDGPU.csdata,"",@progbits
; Kernel info:
; codeLenInByte = 2720
; NumSgprs: 36
; NumVgprs: 54
; NumAgprs: 0
; TotalNumVgprs: 54
; ScratchSize: 0
; MemoryBound: 0
; FloatMode: 240
; IeeeMode: 1
; LDSByteSize: 3072 bytes/workgroup (compile time only)
; SGPRBlocks: 4
; VGPRBlocks: 6
; NumSGPRsForWavesPerEU: 36
; NumVGPRsForWavesPerEU: 54
; AccumOffset: 56
; Occupancy: 8
; WaveLimiterHint : 0
; COMPUTE_PGM_RSRC2:SCRATCH_EN: 0
; COMPUTE_PGM_RSRC2:USER_SGPR: 4
; COMPUTE_PGM_RSRC2:TRAP_HANDLER: 0
; COMPUTE_PGM_RSRC2:TGID_X_EN: 1
; COMPUTE_PGM_RSRC2:TGID_Y_EN: 1
; COMPUTE_PGM_RSRC2:TGID_Z_EN: 1
; COMPUTE_PGM_RSRC2:TIDIG_COMP_CNT: 2
; COMPUTE_PGM_RSRC3_GFX90A:ACCUM_OFFSET: 13
; COMPUTE_PGM_RSRC3_GFX90A:TG_SPLIT: 0
	.section	.text._ZL13mul_mat_vec_qIL9ggml_type40ELi3ELb0ELb0EEvPKvS2_PKi31ggml_cuda_mm_fusion_args_devicePfj15HIP_vector_typeIjLj3EEjjjS8_jjjS8_jjjj,"axG",@progbits,_ZL13mul_mat_vec_qIL9ggml_type40ELi3ELb0ELb0EEvPKvS2_PKi31ggml_cuda_mm_fusion_args_devicePfj15HIP_vector_typeIjLj3EEjjjS8_jjjS8_jjjj,comdat
	.globl	_ZL13mul_mat_vec_qIL9ggml_type40ELi3ELb0ELb0EEvPKvS2_PKi31ggml_cuda_mm_fusion_args_devicePfj15HIP_vector_typeIjLj3EEjjjS8_jjjS8_jjjj ; -- Begin function _ZL13mul_mat_vec_qIL9ggml_type40ELi3ELb0ELb0EEvPKvS2_PKi31ggml_cuda_mm_fusion_args_devicePfj15HIP_vector_typeIjLj3EEjjjS8_jjjS8_jjjj
	.p2align	8
	.type	_ZL13mul_mat_vec_qIL9ggml_type40ELi3ELb0ELb0EEvPKvS2_PKi31ggml_cuda_mm_fusion_args_devicePfj15HIP_vector_typeIjLj3EEjjjS8_jjjS8_jjjj,@function
_ZL13mul_mat_vec_qIL9ggml_type40ELi3ELb0ELb0EEvPKvS2_PKi31ggml_cuda_mm_fusion_args_devicePfj15HIP_vector_typeIjLj3EEjjjS8_jjjS8_jjjj: ; @_ZL13mul_mat_vec_qIL9ggml_type40ELi3ELb0ELb0EEvPKvS2_PKi31ggml_cuda_mm_fusion_args_devicePfj15HIP_vector_typeIjLj3EEjjjS8_jjjS8_jjjj
; %bb.0:
	v_bfe_u32 v20, v0, 10, 10
	v_and_b32_e32 v18, 0x3ff, v0
	v_mov_b32_e32 v0, 0
	v_lshlrev_b32_e32 v4, 6, v20
	v_mov_b32_e32 v1, v0
	v_mov_b32_e32 v2, v0
	;; [unrolled: 1-line block ×3, first 2 shown]
	s_load_dword s6, s[0:1], 0x40
	s_load_dwordx4 s[8:11], s[0:1], 0x50
	s_load_dword s25, s[0:1], 0x60
	s_load_dwordx4 s[12:15], s[0:1], 0x68
	;; [unrolled: 2-line block ×3, first 2 shown]
	scratch_store_dwordx2 off, v[0:1], off offset:16
	scratch_store_dwordx4 off, v[0:3], off
	s_lshl_b32 s5, s2, 1
	s_waitcnt lgkmcnt(0)
	s_lshr_b32 s2, s6, 6
	v_add_u16_e32 v1, v4, v18
	v_lshrrev_b16_e32 v21, 1, v1
	v_cmp_gt_u32_e32 vcc, s2, v21
	v_lshlrev_b32_e32 v19, 2, v18
	v_mov_b32_e32 v9, v0
	v_mov_b32_e32 v1, v0
	;; [unrolled: 1-line block ×3, first 2 shown]
	s_and_saveexec_b64 s[6:7], vcc
	s_cbranch_execz .LBB90_4
; %bb.1:
	s_load_dwordx4 s[20:23], s[0:1], 0x0
	s_mul_i32 s17, s4, s17
	s_mul_i32 s26, s17, 36
	;; [unrolled: 1-line block ×3, first 2 shown]
	s_mul_hi_u32 s19, s17, 36
	s_waitcnt lgkmcnt(0)
	s_add_u32 s28, s22, s26
	s_addc_u32 s19, s23, s19
	s_mul_i32 s26, s13, 36
	s_mul_hi_u32 s27, s13, 36
	s_add_u32 s28, s28, s26
	s_mul_hi_u32 s11, s11, s3
	s_addc_u32 s29, s19, s27
	s_add_i32 s11, s3, s11
	s_lshr_b32 s11, s11, s25
	s_mul_i32 s11, s11, s12
	s_mul_hi_u32 s12, s15, s4
	s_add_i32 s12, s4, s12
	s_lshr_b32 s12, s12, s24
	v_and_b32_e32 v1, 1, v18
	s_mul_i32 s15, s12, s16
	v_mad_u64_u32 v[12:13], s[12:13], v1, 36, s[28:29]
	s_add_i32 s12, s5, 1
	v_xor_b32_e32 v3, v4, v18
	s_mul_i32 s16, s5, s8
	s_add_i32 s15, s15, s11
	s_mul_i32 s8, s8, s12
	v_and_b32_e32 v2, v4, v18
	v_lshrrev_b16_e32 v3, 1, v3
	s_add_i32 s11, s15, s16
	s_add_i32 s15, s15, s8
	v_add_u16_e32 v4, v2, v3
	s_movk_i32 s8, 0x48
	v_mov_b64_e32 v[2:3], s[26:27]
	v_mad_u64_u32 v[2:3], s[12:13], v4, s8, v[2:3]
	v_mad_u64_u32 v[2:3], s[12:13], s17, 36, v[2:3]
	v_and_b32_e32 v0, 4, v19
	v_mov_b32_e32 v11, 0
	v_mad_u64_u32 v[2:3], s[12:13], v1, 36, v[2:3]
	v_lshrrev_b32_e32 v10, 1, v0
	v_add_lshl_u32 v22, s9, v21, 1
	v_lshl_add_u64 v[14:15], s[22:23], 0, v[2:3]
	v_lshl_add_u32 v23, v21, 1, s9
	s_mov_b64 s[8:9], 0
	v_lshlrev_b32_e32 v16, 2, v0
	v_mov_b32_e32 v17, v11
	s_mov_b32 s16, 0xc080604
	v_mov_b32_e32 v24, 0x3020100
	s_mov_b32 s17, 0xf4f8fafc
	v_mov_b32_e32 v25, 0xfdfeff00
	s_movk_i32 s19, 0x7f
	s_mov_b64 s[12:13], 0x1200
	v_mov_b32_e32 v0, v11
	v_mov_b32_e32 v1, v11
	;; [unrolled: 1-line block ×6, first 2 shown]
.LBB90_2:                               ; =>This Inner Loop Header: Depth=1
	v_add_u32_e32 v26, s11, v21
	v_add_u32_e32 v28, s15, v21
	v_mad_i64_i32 v[26:27], s[22:23], v26, 36, s[20:21]
	v_mad_i64_i32 v[28:29], s[22:23], v28, 36, s[20:21]
	v_lshl_add_u64 v[38:39], v[26:27], 0, v[16:17]
	global_load_dwordx4 v[4:7], v[14:15], off
	v_lshl_add_u64 v[40:41], v[26:27], 0, v[10:11]
	v_lshl_add_u64 v[42:43], v[28:29], 0, v[16:17]
	;; [unrolled: 1-line block ×3, first 2 shown]
	global_load_dwordx4 v[26:29], v[38:39], off offset:4
	global_load_dwordx4 v[30:33], v[42:43], off offset:4
	global_load_ushort v50, v[40:41], off
	global_load_ushort v51, v[44:45], off
	v_mov_b32_e32 v46, 0
	v_mov_b32_e32 v47, 0
	v_mad_u64_u32 v[34:35], s[22:23], v23, 36, v[12:13]
	v_mad_u64_u32 v[36:37], s[22:23], v22, 36, v[12:13]
	v_mov_b32_e32 v48, 0
	v_mov_b32_e32 v60, 0
	;; [unrolled: 1-line block ×3, first 2 shown]
	v_add_u32_e32 v21, 64, v21
	v_add_u32_e32 v22, 0x80, v22
	;; [unrolled: 1-line block ×3, first 2 shown]
	s_waitcnt vmcnt(3)
	v_ashrrev_i32_e32 v38, 4, v26
	v_and_b32_e32 v39, 0x7070707, v26
	v_lshrrev_b32_e32 v26, 1, v26
	v_ashrrev_i32_e32 v41, 4, v27
	v_and_b32_e32 v40, 0x7070707, v27
	v_lshrrev_b32_e32 v27, 1, v27
	;; [unrolled: 3-line block ×4, first 2 shown]
	s_waitcnt vmcnt(2)
	v_ashrrev_i32_e32 v42, 4, v30
	v_and_b32_e32 v28, 0x7070707, v30
	v_lshrrev_b32_e32 v29, 1, v30
	v_ashrrev_i32_e32 v30, 4, v31
	v_and_b32_e32 v55, 0x7070707, v31
	v_lshrrev_b32_e32 v31, 1, v31
	v_and_b32_e32 v26, 0x4040404, v26
	v_and_b32_e32 v27, 0x4040404, v27
	v_perm_b32 v61, s16, v24, v39
	v_perm_b32 v39, s17, v25, v39
	v_perm_b32 v62, s16, v24, v40
	v_perm_b32 v40, s17, v25, v40
	v_or_b32_e32 v26, 0x3020100, v26
	v_or_b32_e32 v27, 0x3020100, v27
	v_and_b32_e32 v31, 0x4040404, v31
	v_perm_b32 v39, v39, v61, v26
	v_perm_b32 v61, v40, v62, v27
	;; [unrolled: 1-line block ×4, first 2 shown]
	v_or_b32_e32 v31, 0x3020100, v31
	v_perm_b32 v31, v55, v62, v31
	v_and_b32_e32 v55, 0x7070707, v38
	v_lshrrev_b32_e32 v38, 1, v38
	v_and_b32_e32 v38, 0x4040404, v38
	v_perm_b32 v62, s16, v24, v55
	v_perm_b32 v55, s17, v25, v55
	v_or_b32_e32 v38, 0x3020100, v38
	v_and_b32_e32 v29, 0x4040404, v29
	v_perm_b32 v55, v55, v62, v38
	v_and_b32_e32 v38, 0x7070707, v42
	v_lshrrev_b32_e32 v42, 1, v42
	v_perm_b32 v26, s16, v24, v28
	v_perm_b32 v28, s17, v25, v28
	v_or_b32_e32 v29, 0x3020100, v29
	v_and_b32_e32 v42, 0x4040404, v42
	v_perm_b32 v40, v28, v26, v29
	v_perm_b32 v62, s16, v24, v38
	;; [unrolled: 1-line block ×3, first 2 shown]
	v_or_b32_e32 v42, 0x3020100, v42
	v_perm_b32 v42, v38, v62, v42
	v_dot4c_i32_i8_e32 v46, v39, v5
	v_dot4c_i32_i8_e32 v47, v40, v5
	;; [unrolled: 1-line block ×4, first 2 shown]
	global_load_dwordx4 v[26:29], v[34:35], off
	v_cvt_f32_f16_e32 v38, v4
	v_dot4c_i32_i8_e32 v46, v61, v6
	v_dot4c_i32_i8_e32 v47, v31, v6
	global_load_dwordx4 v[4:7], v[36:37], off
	v_ashrrev_i32_e32 v56, 4, v32
	v_and_b32_e32 v57, 0x7070707, v32
	v_lshrrev_b32_e32 v32, 1, v32
	v_ashrrev_i32_e32 v58, 4, v33
	v_and_b32_e32 v59, 0x7070707, v33
	v_lshrrev_b32_e32 v33, 1, v33
	v_and_b32_e32 v32, 0x4040404, v32
	v_or_b32_e32 v32, 0x3020100, v32
	v_and_b32_e32 v33, 0x4040404, v33
	v_or_b32_e32 v33, 0x3020100, v33
	v_mov_b32_e32 v62, 0
	s_waitcnt vmcnt(1)
	v_dot4c_i32_i8_e32 v48, v39, v27
	v_dot4c_i32_i8_e32 v49, v40, v27
	;; [unrolled: 1-line block ×4, first 2 shown]
	s_waitcnt vmcnt(0)
	v_dot4c_i32_i8_e32 v60, v39, v5
	v_mov_b32_e32 v39, 0
	v_dot4c_i32_i8_e32 v39, v40, v5
	v_dot4c_i32_i8_e32 v60, v55, v7
	;; [unrolled: 1-line block ×5, first 2 shown]
	v_cvt_f32_f16_e32 v42, v4
	v_perm_b32 v4, s16, v24, v44
	v_perm_b32 v5, s17, v25, v44
	v_and_b32_e32 v6, 0x4040404, v45
	v_and_b32_e32 v44, 0x4040404, v54
	v_dot4c_i32_i8_e32 v49, v31, v28
	v_perm_b32 v7, s16, v24, v53
	v_perm_b32 v31, s17, v25, v53
	v_or_b32_e32 v6, 0x3020100, v6
	v_or_b32_e32 v44, 0x3020100, v44
	v_cvt_f32_f16_e32 v40, v26
	v_dot4c_i32_i8_e32 v48, v61, v28
	global_load_dwordx4 v[26:29], v[14:15], off offset:16
	v_perm_b32 v53, v5, v4, v6
	v_perm_b32 v54, v31, v7, v44
	global_load_dwordx4 v[4:7], v[34:35], off offset:16
	global_load_dword v63, v[34:35], off offset:32
	v_perm_b32 v31, s16, v24, v57
	v_perm_b32 v34, s17, v25, v57
	;; [unrolled: 1-line block ×6, first 2 shown]
	v_lshrrev_b32_e32 v33, 1, v41
	v_and_b32_e32 v32, 0x7070707, v41
	v_and_b32_e32 v33, 0x4040404, v33
	v_perm_b32 v34, s16, v24, v32
	v_perm_b32 v32, s17, v25, v32
	v_or_b32_e32 v33, 0x3020100, v33
	v_perm_b32 v41, v32, v34, v33
	v_lshrrev_b32_e32 v33, 1, v43
	v_and_b32_e32 v32, 0x7070707, v43
	v_and_b32_e32 v33, 0x4040404, v33
	v_perm_b32 v34, s16, v24, v32
	v_perm_b32 v32, s17, v25, v32
	v_or_b32_e32 v33, 0x3020100, v33
	v_perm_b32 v43, v32, v34, v33
	;; [unrolled: 7-line block ×3, first 2 shown]
	v_and_b32_e32 v32, 0x7070707, v30
	v_lshrrev_b32_e32 v30, 1, v30
	v_and_b32_e32 v30, 0x4040404, v30
	v_perm_b32 v33, s16, v24, v32
	v_perm_b32 v32, s17, v25, v32
	v_or_b32_e32 v30, 0x3020100, v30
	v_perm_b32 v64, v32, v33, v30
	v_lshrrev_b32_e32 v32, 1, v56
	v_and_b32_e32 v30, 0x7070707, v56
	v_and_b32_e32 v32, 0x4040404, v32
	v_perm_b32 v33, s16, v24, v30
	v_perm_b32 v30, s17, v25, v30
	v_or_b32_e32 v32, 0x3020100, v32
	v_perm_b32 v56, v30, v33, v32
	v_lshrrev_b32_e32 v32, 1, v58
	v_and_b32_e32 v30, 0x7070707, v58
	v_and_b32_e32 v32, 0x4040404, v32
	v_perm_b32 v33, s16, v24, v30
	v_perm_b32 v30, s17, v25, v30
	v_or_b32_e32 v32, 0x3020100, v32
	v_perm_b32 v58, v30, v33, v32
	v_and_b32_e32 v30, 0x7f, v50
	v_lshrrev_b16_e32 v31, 8, v50
	v_cmp_ne_u16_e32 vcc, s19, v30
	v_and_b32_e32 v30, 0x7f, v51
	v_lshrrev_b16_e32 v32, 8, v51
	v_cndmask_b32_e32 v33, 0, v50, vcc
	v_cmp_ne_u16_e32 vcc, s19, v30
	v_and_b32_e32 v30, 0x7f, v31
	v_and_b32_e32 v33, 0xff, v33
	v_cndmask_b32_e32 v34, 0, v51, vcc
	v_cmp_ne_u16_e32 vcc, s19, v30
	v_and_b32_e32 v30, 0x7f, v32
	v_and_b32_e32 v35, 0xff, v34
	v_cndmask_b32_e32 v31, 0, v31, vcc
	v_cmp_ne_u16_e32 vcc, s19, v30
	v_and_b32_e32 v31, 0xffff, v31
	v_cvt_f32_fp8_sdwa v34, v33 src0_sel:BYTE_0
	v_cndmask_b32_e32 v30, 0, v32, vcc
	v_and_b32_e32 v30, 0xffff, v30
	v_cvt_f32_fp8_sdwa v44, v31 src0_sel:BYTE_0
	v_cvt_f32_fp8_sdwa v45, v30 src0_sel:BYTE_0
	global_load_dword v50, v[36:37], off offset:32
	global_load_dwordx4 v[30:33], v[36:37], off offset:16
	v_mov_b32_e32 v61, 0
	v_mov_b32_e32 v37, 0
	;; [unrolled: 1-line block ×3, first 2 shown]
	v_cvt_f32_fp8_sdwa v35, v35 src0_sel:BYTE_0
	v_mov_b32_e32 v36, 0
	v_mov_b32_e32 v51, 0
	s_waitcnt vmcnt(4)
	v_dot4c_i32_i8_e32 v55, v53, v27
	s_waitcnt vmcnt(3)
	v_dot4c_i32_i8_e32 v61, v53, v5
	v_dot4c_i32_i8_e32 v37, v57, v5
	global_load_dword v5, v[14:15], off offset:32
	v_dot4c_i32_i8_e32 v36, v57, v27
	v_dot4c_i32_i8_e32 v55, v43, v29
	v_dot4c_i32_i8_e32 v61, v43, v7
	v_dot4c_i32_i8_e32 v36, v56, v29
	v_dot4c_i32_i8_e32 v37, v56, v7
	v_dot4c_i32_i8_e32 v55, v54, v28
	v_dot4c_i32_i8_e32 v61, v54, v6
	v_dot4c_i32_i8_e32 v36, v59, v28
	v_dot4c_i32_i8_e32 v37, v59, v6
	v_dot4c_i32_i8_e32 v46, v41, v26
	v_dot4c_i32_i8_e32 v47, v64, v26
	v_dot4c_i32_i8_e32 v48, v41, v4
	v_dot4c_i32_i8_e32 v49, v64, v4
	v_pk_mul_f32 v[6:7], v[34:35], 0.5 op_sel_hi:[1,0]
	s_waitcnt vmcnt(3)
	v_dot4c_i32_i8_e32 v61, v52, v63
	v_dot4c_i32_i8_e32 v37, v58, v63
	v_cvt_f32_i32_e32 v27, v47
	v_cvt_f32_i32_e32 v26, v46
	v_pk_mul_f32 v[28:29], v[44:45], 0.5 op_sel_hi:[1,0]
	v_cvt_f32_i32_e32 v35, v49
	v_cvt_f32_i32_e32 v34, v48
	;; [unrolled: 1-line block ×3, first 2 shown]
	v_cmp_le_u32_e32 vcc, s2, v21
	v_lshl_add_u64 v[14:15], v[14:15], 0, s[12:13]
	s_or_b64 s[8:9], vcc, s[8:9]
	s_waitcnt vmcnt(1)
	v_dot4c_i32_i8_e32 v62, v53, v31
	v_dot4c_i32_i8_e32 v51, v57, v31
	;; [unrolled: 1-line block ×10, first 2 shown]
	s_waitcnt vmcnt(0)
	v_dot4c_i32_i8_e32 v55, v52, v5
	v_dot4c_i32_i8_e32 v36, v58, v5
	v_cvt_f32_i32_e32 v45, v39
	v_cvt_f32_i32_e32 v44, v60
	;; [unrolled: 1-line block ×7, first 2 shown]
	v_pk_mul_f32 v[4:5], v[6:7], v[38:39] op_sel_hi:[1,0]
	v_pk_mul_f32 v[32:33], v[6:7], v[40:41] op_sel_hi:[1,0]
	;; [unrolled: 1-line block ×6, first 2 shown]
	v_pk_fma_f32 v[4:5], v[4:5], v[26:27], 0 op_sel_hi:[1,1,0]
	v_pk_fma_f32 v[26:27], v[32:33], v[34:35], 0 op_sel_hi:[1,1,0]
	;; [unrolled: 1-line block ×3, first 2 shown]
	v_pk_fma_f32 v[4:5], v[38:39], v[30:31], v[4:5]
	v_pk_fma_f32 v[26:27], v[40:41], v[36:37], v[26:27]
	;; [unrolled: 1-line block ×3, first 2 shown]
	v_pk_add_f32 v[0:1], v[0:1], v[4:5]
	v_pk_add_f32 v[2:3], v[2:3], v[26:27]
	;; [unrolled: 1-line block ×3, first 2 shown]
	s_andn2_b64 exec, exec, s[8:9]
	s_cbranch_execnz .LBB90_2
; %bb.3:
	s_or_b64 exec, exec, s[8:9]
	scratch_store_dwordx4 off, v[0:3], off
	scratch_store_dwordx2 off, v[8:9], off offset:16
.LBB90_4:
	s_or_b64 exec, exec, s[6:7]
	v_cmp_eq_u32_e32 vcc, 0, v20
	v_cmp_ne_u32_e64 s[6:7], 0, v20
	s_and_saveexec_b64 s[8:9], s[6:7]
	s_cbranch_execz .LBB90_6
; %bb.5:
	v_mul_u32_u24_e32 v4, 0x600, v20
	s_movk_i32 s2, 0xfa00
	v_add3_u32 v4, v4, v19, s2
	ds_write2st64_b32 v4, v0, v1 offset1:1
	ds_write2st64_b32 v4, v2, v3 offset0:2 offset1:3
	ds_write2st64_b32 v4, v8, v9 offset0:4 offset1:5
.LBB90_6:
	s_or_b64 exec, exec, s[8:9]
	s_waitcnt lgkmcnt(0)
	s_barrier
	s_and_saveexec_b64 s[6:7], vcc
	s_cbranch_execz .LBB90_13
; %bb.7:
	scratch_load_dwordx2 v[2:3], off, off
	v_mbcnt_lo_u32_b32 v0, -1, 0
	ds_read2st64_b32 v[4:5], v19 offset1:1
	v_mbcnt_hi_u32_b32 v10, -1, v0
	v_and_b32_e32 v0, 64, v10
	v_xor_b32_e32 v1, 32, v10
	v_add_u32_e32 v11, 64, v0
	v_cmp_lt_i32_e32 vcc, v1, v11
	v_xor_b32_e32 v6, 16, v10
	v_xor_b32_e32 v8, 8, v10
	v_cndmask_b32_e32 v0, v10, v1, vcc
	v_lshlrev_b32_e32 v0, 2, v0
	v_cmp_lt_i32_e32 vcc, v6, v11
	v_xor_b32_e32 v9, 4, v10
	v_xor_b32_e32 v12, 2, v10
	v_cndmask_b32_e32 v1, v10, v6, vcc
	v_lshlrev_b32_e32 v1, 2, v1
	v_cmp_lt_i32_e32 vcc, v8, v11
	v_xor_b32_e32 v13, 1, v10
	s_load_dwordx2 s[0:1], s[0:1], 0x38
	s_mul_i32 s2, s3, s14
	s_mul_i32 s4, s4, s18
	s_add_i32 s2, s2, s5
	s_mov_b32 s3, 0
	s_add_i32 s2, s2, s4
	s_lshl_b64 s[2:3], s[2:3], 2
	s_waitcnt lgkmcnt(0)
	s_add_u32 s2, s0, s2
	s_addc_u32 s3, s1, s3
	s_waitcnt vmcnt(0)
	v_pk_add_f32 v[2:3], v[4:5], v[2:3]
	ds_bpermute_b32 v4, v0, v2
	ds_bpermute_b32 v5, v0, v3
	s_waitcnt lgkmcnt(0)
	v_pk_add_f32 v[4:5], v[2:3], v[4:5]
	ds_bpermute_b32 v6, v1, v4
	ds_bpermute_b32 v7, v1, v5
	v_cndmask_b32_e32 v2, v10, v8, vcc
	v_lshlrev_b32_e32 v2, 2, v2
	v_cmp_lt_i32_e32 vcc, v9, v11
	s_waitcnt lgkmcnt(0)
	v_pk_add_f32 v[4:5], v[4:5], v[6:7]
	ds_bpermute_b32 v6, v2, v4
	ds_bpermute_b32 v7, v2, v5
	v_cndmask_b32_e32 v3, v10, v9, vcc
	v_lshlrev_b32_e32 v3, 2, v3
	v_cmp_lt_i32_e32 vcc, v12, v11
	;; [unrolled: 7-line block ×3, first 2 shown]
	s_waitcnt lgkmcnt(0)
	v_pk_add_f32 v[6:7], v[6:7], v[8:9]
	ds_bpermute_b32 v8, v4, v6
	ds_bpermute_b32 v9, v4, v7
	v_cndmask_b32_e32 v5, v10, v13, vcc
	v_lshlrev_b32_e32 v5, 2, v5
	v_or_b32_e32 v10, s5, v18
	v_cmp_gt_u32_e32 vcc, 2, v18
	s_waitcnt lgkmcnt(0)
	v_pk_add_f32 v[6:7], v[6:7], v[8:9]
	ds_bpermute_b32 v8, v5, v6
	ds_bpermute_b32 v9, v5, v7
	v_cmp_gt_u32_e64 s[0:1], s10, v10
	s_and_b64 s[0:1], vcc, s[0:1]
	s_waitcnt lgkmcnt(0)
	v_pk_add_f32 v[6:7], v[6:7], v[8:9]
	scratch_store_dwordx2 off, v[6:7], off
	s_and_saveexec_b64 s[4:5], s[0:1]
	s_cbranch_execz .LBB90_9
; %bb.8:
	scratch_load_dword v6, v19, off
	s_waitcnt vmcnt(0)
	global_store_dword v19, v6, s[2:3]
.LBB90_9:
	s_or_b64 exec, exec, s[4:5]
	scratch_load_dwordx2 v[6:7], off, off offset:8
	ds_read2st64_b32 v[8:9], v19 offset0:2 offset1:3
	s_waitcnt vmcnt(0) lgkmcnt(0)
	v_pk_add_f32 v[6:7], v[8:9], v[6:7]
	ds_bpermute_b32 v8, v0, v6
	ds_bpermute_b32 v9, v0, v7
	s_waitcnt lgkmcnt(0)
	v_pk_add_f32 v[6:7], v[6:7], v[8:9]
	ds_bpermute_b32 v8, v1, v6
	ds_bpermute_b32 v9, v1, v7
	s_waitcnt lgkmcnt(0)
	;; [unrolled: 4-line block ×6, first 2 shown]
	v_pk_add_f32 v[6:7], v[6:7], v[8:9]
	scratch_store_dwordx2 off, v[6:7], off offset:8
	s_and_saveexec_b64 s[4:5], s[0:1]
	s_cbranch_execz .LBB90_11
; %bb.10:
	scratch_load_dword v8, v19, off offset:8
	v_add_u32_e32 v6, s10, v18
	v_mov_b32_e32 v7, 0
	v_lshl_add_u64 v[6:7], v[6:7], 2, s[2:3]
	s_waitcnt vmcnt(0)
	global_store_dword v[6:7], v8, off
.LBB90_11:
	s_or_b64 exec, exec, s[4:5]
	scratch_load_dwordx2 v[6:7], off, off offset:16
	ds_read2st64_b32 v[8:9], v19 offset0:4 offset1:5
	s_waitcnt vmcnt(0) lgkmcnt(0)
	v_pk_add_f32 v[6:7], v[8:9], v[6:7]
	ds_bpermute_b32 v8, v0, v6
	ds_bpermute_b32 v9, v0, v7
	s_waitcnt lgkmcnt(0)
	v_pk_add_f32 v[6:7], v[6:7], v[8:9]
	ds_bpermute_b32 v0, v1, v6
	ds_bpermute_b32 v1, v1, v7
	s_waitcnt lgkmcnt(0)
	;; [unrolled: 4-line block ×6, first 2 shown]
	v_pk_add_f32 v[0:1], v[0:1], v[2:3]
	scratch_store_dwordx2 off, v[0:1], off offset:16
	s_and_b64 exec, exec, s[0:1]
	s_cbranch_execz .LBB90_13
; %bb.12:
	scratch_load_dword v2, v19, off offset:16
	v_lshl_or_b32 v0, s10, 1, v18
	v_mov_b32_e32 v1, 0
	v_lshl_add_u64 v[0:1], v[0:1], 2, s[2:3]
	s_waitcnt vmcnt(0)
	global_store_dword v[0:1], v2, off
.LBB90_13:
	s_endpgm
	.section	.rodata,"a",@progbits
	.p2align	6, 0x0
	.amdhsa_kernel _ZL13mul_mat_vec_qIL9ggml_type40ELi3ELb0ELb0EEvPKvS2_PKi31ggml_cuda_mm_fusion_args_devicePfj15HIP_vector_typeIjLj3EEjjjS8_jjjS8_jjjj
		.amdhsa_group_segment_fixed_size 1536
		.amdhsa_private_segment_fixed_size 32
		.amdhsa_kernarg_size 144
		.amdhsa_user_sgpr_count 2
		.amdhsa_user_sgpr_dispatch_ptr 0
		.amdhsa_user_sgpr_queue_ptr 0
		.amdhsa_user_sgpr_kernarg_segment_ptr 1
		.amdhsa_user_sgpr_dispatch_id 0
		.amdhsa_user_sgpr_kernarg_preload_length 0
		.amdhsa_user_sgpr_kernarg_preload_offset 0
		.amdhsa_user_sgpr_private_segment_size 0
		.amdhsa_uses_dynamic_stack 0
		.amdhsa_enable_private_segment 1
		.amdhsa_system_sgpr_workgroup_id_x 1
		.amdhsa_system_sgpr_workgroup_id_y 1
		.amdhsa_system_sgpr_workgroup_id_z 1
		.amdhsa_system_sgpr_workgroup_info 0
		.amdhsa_system_vgpr_workitem_id 1
		.amdhsa_next_free_vgpr 65
		.amdhsa_next_free_sgpr 30
		.amdhsa_accum_offset 68
		.amdhsa_reserve_vcc 1
		.amdhsa_float_round_mode_32 0
		.amdhsa_float_round_mode_16_64 0
		.amdhsa_float_denorm_mode_32 3
		.amdhsa_float_denorm_mode_16_64 3
		.amdhsa_dx10_clamp 1
		.amdhsa_ieee_mode 1
		.amdhsa_fp16_overflow 0
		.amdhsa_tg_split 0
		.amdhsa_exception_fp_ieee_invalid_op 0
		.amdhsa_exception_fp_denorm_src 0
		.amdhsa_exception_fp_ieee_div_zero 0
		.amdhsa_exception_fp_ieee_overflow 0
		.amdhsa_exception_fp_ieee_underflow 0
		.amdhsa_exception_fp_ieee_inexact 0
		.amdhsa_exception_int_div_zero 0
	.end_amdhsa_kernel
	.section	.text._ZL13mul_mat_vec_qIL9ggml_type40ELi3ELb0ELb0EEvPKvS2_PKi31ggml_cuda_mm_fusion_args_devicePfj15HIP_vector_typeIjLj3EEjjjS8_jjjS8_jjjj,"axG",@progbits,_ZL13mul_mat_vec_qIL9ggml_type40ELi3ELb0ELb0EEvPKvS2_PKi31ggml_cuda_mm_fusion_args_devicePfj15HIP_vector_typeIjLj3EEjjjS8_jjjS8_jjjj,comdat
.Lfunc_end90:
	.size	_ZL13mul_mat_vec_qIL9ggml_type40ELi3ELb0ELb0EEvPKvS2_PKi31ggml_cuda_mm_fusion_args_devicePfj15HIP_vector_typeIjLj3EEjjjS8_jjjS8_jjjj, .Lfunc_end90-_ZL13mul_mat_vec_qIL9ggml_type40ELi3ELb0ELb0EEvPKvS2_PKi31ggml_cuda_mm_fusion_args_devicePfj15HIP_vector_typeIjLj3EEjjjS8_jjjS8_jjjj
                                        ; -- End function
	.section	.AMDGPU.csdata,"",@progbits
; Kernel info:
; codeLenInByte = 3160
; NumSgprs: 36
; NumVgprs: 65
; NumAgprs: 0
; TotalNumVgprs: 65
; ScratchSize: 32
; MemoryBound: 0
; FloatMode: 240
; IeeeMode: 1
; LDSByteSize: 1536 bytes/workgroup (compile time only)
; SGPRBlocks: 4
; VGPRBlocks: 8
; NumSGPRsForWavesPerEU: 36
; NumVGPRsForWavesPerEU: 65
; AccumOffset: 68
; Occupancy: 7
; WaveLimiterHint : 0
; COMPUTE_PGM_RSRC2:SCRATCH_EN: 1
; COMPUTE_PGM_RSRC2:USER_SGPR: 2
; COMPUTE_PGM_RSRC2:TRAP_HANDLER: 0
; COMPUTE_PGM_RSRC2:TGID_X_EN: 1
; COMPUTE_PGM_RSRC2:TGID_Y_EN: 1
; COMPUTE_PGM_RSRC2:TGID_Z_EN: 1
; COMPUTE_PGM_RSRC2:TIDIG_COMP_CNT: 1
; COMPUTE_PGM_RSRC3_GFX90A:ACCUM_OFFSET: 16
; COMPUTE_PGM_RSRC3_GFX90A:TG_SPLIT: 0
	.section	.text._ZL13mul_mat_vec_qIL9ggml_type40ELi4ELb0ELb0EEvPKvS2_PKi31ggml_cuda_mm_fusion_args_devicePfj15HIP_vector_typeIjLj3EEjjjS8_jjjS8_jjjj,"axG",@progbits,_ZL13mul_mat_vec_qIL9ggml_type40ELi4ELb0ELb0EEvPKvS2_PKi31ggml_cuda_mm_fusion_args_devicePfj15HIP_vector_typeIjLj3EEjjjS8_jjjS8_jjjj,comdat
	.globl	_ZL13mul_mat_vec_qIL9ggml_type40ELi4ELb0ELb0EEvPKvS2_PKi31ggml_cuda_mm_fusion_args_devicePfj15HIP_vector_typeIjLj3EEjjjS8_jjjS8_jjjj ; -- Begin function _ZL13mul_mat_vec_qIL9ggml_type40ELi4ELb0ELb0EEvPKvS2_PKi31ggml_cuda_mm_fusion_args_devicePfj15HIP_vector_typeIjLj3EEjjjS8_jjjS8_jjjj
	.p2align	8
	.type	_ZL13mul_mat_vec_qIL9ggml_type40ELi4ELb0ELb0EEvPKvS2_PKi31ggml_cuda_mm_fusion_args_devicePfj15HIP_vector_typeIjLj3EEjjjS8_jjjS8_jjjj,@function
_ZL13mul_mat_vec_qIL9ggml_type40ELi4ELb0ELb0EEvPKvS2_PKi31ggml_cuda_mm_fusion_args_devicePfj15HIP_vector_typeIjLj3EEjjjS8_jjjS8_jjjj: ; @_ZL13mul_mat_vec_qIL9ggml_type40ELi4ELb0ELb0EEvPKvS2_PKi31ggml_cuda_mm_fusion_args_devicePfj15HIP_vector_typeIjLj3EEjjjS8_jjjS8_jjjj
; %bb.0:
	s_mov_b32 s20, 0
	s_mov_b32 s21, s20
	v_bfe_u32 v25, v0, 10, 10
	v_and_b32_e32 v12, 0x3ff, v0
	s_mov_b32 s22, s20
	s_mov_b32 s23, s20
	v_mov_b64_e32 v[0:1], s[20:21]
	v_lshlrev_b32_e32 v8, 6, v25
	v_mov_b64_e32 v[2:3], s[22:23]
	s_load_dword s6, s[0:1], 0x40
	s_load_dwordx4 s[8:11], s[0:1], 0x50
	s_load_dword s25, s[0:1], 0x60
	s_load_dwordx4 s[12:15], s[0:1], 0x68
	;; [unrolled: 2-line block ×3, first 2 shown]
	scratch_store_dwordx4 off, v[0:3], off offset:16
	scratch_store_dwordx4 off, v[0:3], off
	s_lshl_b32 s5, s2, 1
	s_waitcnt lgkmcnt(0)
	s_lshr_b32 s2, s6, 6
	v_add_u16_e32 v0, v8, v12
	v_lshrrev_b16_e32 v30, 1, v0
	v_cmp_gt_u32_e32 vcc, s2, v30
	v_mov_b32_e32 v7, 0
	v_mov_b32_e32 v0, 0
	v_lshlrev_b32_e32 v13, 2, v12
	v_mov_b32_e32 v1, 0
	v_mov_b32_e32 v2, 0
	;; [unrolled: 1-line block ×6, first 2 shown]
	s_and_saveexec_b64 s[6:7], vcc
	s_cbranch_execz .LBB91_4
; %bb.1:
	s_load_dwordx4 s[20:23], s[0:1], 0x0
	s_mul_i32 s17, s4, s17
	s_mul_i32 s26, s17, 36
	;; [unrolled: 1-line block ×3, first 2 shown]
	s_mul_hi_u32 s19, s17, 36
	s_waitcnt lgkmcnt(0)
	s_add_u32 s28, s22, s26
	s_addc_u32 s19, s23, s19
	s_mul_i32 s26, s13, 36
	s_mul_hi_u32 s27, s13, 36
	s_add_u32 s28, s28, s26
	s_mul_hi_u32 s11, s11, s3
	s_addc_u32 s29, s19, s27
	s_add_i32 s11, s3, s11
	s_lshr_b32 s11, s11, s25
	s_mul_i32 s11, s11, s12
	s_mul_hi_u32 s12, s15, s4
	s_add_i32 s12, s4, s12
	s_lshr_b32 s12, s12, s24
	v_and_b32_e32 v1, 1, v12
	s_mul_i32 s15, s12, s16
	v_mad_u64_u32 v[16:17], s[12:13], v1, 36, s[28:29]
	s_add_i32 s12, s5, 1
	v_xor_b32_e32 v3, v8, v12
	s_mul_i32 s16, s5, s8
	s_add_i32 s15, s15, s11
	s_mul_i32 s8, s8, s12
	v_and_b32_e32 v2, v8, v12
	v_lshrrev_b16_e32 v3, 1, v3
	s_add_i32 s11, s15, s16
	s_add_i32 s15, s15, s8
	v_add_u16_e32 v4, v2, v3
	s_movk_i32 s8, 0x48
	v_mov_b64_e32 v[2:3], s[26:27]
	v_mad_u64_u32 v[2:3], s[12:13], v4, s8, v[2:3]
	v_mad_u64_u32 v[2:3], s[12:13], s17, 36, v[2:3]
	;; [unrolled: 1-line block ×3, first 2 shown]
	v_lshl_add_u64 v[18:19], s[22:23], 0, v[2:3]
	v_lshlrev_b32_e32 v2, 1, v30
	v_and_b32_e32 v0, 4, v13
	v_mov_b32_e32 v15, 0
	v_mad_u64_u32 v[20:21], s[12:13], s9, 3, v[2:3]
	v_lshrrev_b32_e32 v14, 1, v0
	v_add_lshl_u32 v31, s9, v30, 1
	v_add_u32_e32 v21, s9, v2
	s_mov_b64 s[8:9], 0
	v_lshlrev_b32_e32 v22, 2, v0
	v_mov_b32_e32 v23, v15
	s_mov_b32 s16, 0xc080604
	v_mov_b32_e32 v32, 0x3020100
	s_mov_b32 s17, 0xf4f8fafc
	v_mov_b32_e32 v33, 0xfdfeff00
	s_movk_i32 s19, 0x7f
	s_mov_b64 s[12:13], 0x1200
	v_mov_b32_e32 v0, v15
	v_mov_b32_e32 v1, v15
	;; [unrolled: 1-line block ×8, first 2 shown]
.LBB91_2:                               ; =>This Inner Loop Header: Depth=1
	v_add_u32_e32 v26, s11, v30
	v_mad_i64_i32 v[38:39], s[22:23], v26, 36, s[20:21]
	v_lshl_add_u64 v[26:27], v[38:39], 0, v[22:23]
	global_load_dword v52, v[18:19], off offset:32
	global_load_dwordx4 v[8:11], v[18:19], off offset:16
	global_load_dwordx4 v[42:45], v[18:19], off
	v_mov_b32_e32 v53, 0
	global_load_dwordx4 v[26:29], v[26:27], off offset:4
	v_mov_b32_e32 v54, 0
	v_lshl_add_u64 v[18:19], v[18:19], 0, s[12:13]
	s_waitcnt vmcnt(1)
	v_cvt_f32_f16_e32 v24, v42
	s_waitcnt vmcnt(0)
	v_ashrrev_i32_e32 v35, 4, v26
	v_and_b32_e32 v34, 0x7070707, v26
	v_lshrrev_b32_e32 v26, 1, v26
	v_and_b32_e32 v26, 0x4040404, v26
	v_perm_b32 v36, s16, v32, v34
	v_perm_b32 v34, s17, v33, v34
	v_or_b32_e32 v26, 0x3020100, v26
	v_perm_b32 v34, v34, v36, v26
	v_lshrrev_b32_e32 v26, 1, v35
	v_and_b32_e32 v37, 0x7070707, v35
	v_and_b32_e32 v26, 0x4040404, v26
	v_perm_b32 v40, s16, v32, v37
	v_perm_b32 v37, s17, v33, v37
	v_or_b32_e32 v26, 0x3020100, v26
	v_perm_b32 v35, v37, v40, v26
	v_ashrrev_i32_e32 v26, 4, v27
	v_and_b32_e32 v36, 0x7070707, v27
	v_and_b32_e32 v40, 0x7070707, v26
	v_lshrrev_b32_e32 v27, 1, v27
	v_lshrrev_b32_e32 v26, 1, v26
	v_and_b32_e32 v27, 0x4040404, v27
	v_and_b32_e32 v26, 0x4040404, v26
	v_perm_b32 v37, s16, v32, v36
	v_perm_b32 v41, s16, v32, v40
	;; [unrolled: 1-line block ×4, first 2 shown]
	v_or_b32_e32 v27, 0x3020100, v27
	v_or_b32_e32 v26, 0x3020100, v26
	v_perm_b32 v36, v36, v37, v27
	v_perm_b32 v37, v40, v41, v26
	v_lshl_add_u64 v[26:27], v[38:39], 0, v[14:15]
	global_load_ushort v26, v[26:27], off
	v_ashrrev_i32_e32 v39, 4, v28
	v_and_b32_e32 v41, 0x7070707, v39
	v_perm_b32 v42, s16, v32, v41
	v_perm_b32 v41, s17, v33, v41
	v_dot4c_i32_i8_e32 v53, v34, v43
	v_dot4c_i32_i8_e32 v53, v35, v45
	;; [unrolled: 1-line block ×4, first 2 shown]
	s_waitcnt vmcnt(0)
	v_and_b32_e32 v38, 0x7f, v26
	v_cmp_ne_u16_e32 vcc, s19, v38
	v_and_b32_e32 v38, 0x7070707, v28
	v_lshrrev_b32_e32 v28, 1, v28
	v_and_b32_e32 v28, 0x4040404, v28
	v_perm_b32 v40, s16, v32, v38
	v_perm_b32 v38, s17, v33, v38
	v_or_b32_e32 v28, 0x3020100, v28
	v_perm_b32 v38, v38, v40, v28
	v_lshrrev_b32_e32 v28, 1, v39
	v_and_b32_e32 v28, 0x4040404, v28
	v_or_b32_e32 v28, 0x3020100, v28
	v_perm_b32 v39, v41, v42, v28
	v_ashrrev_i32_e32 v28, 4, v29
	v_and_b32_e32 v40, 0x7070707, v29
	v_and_b32_e32 v42, 0x7070707, v28
	v_lshrrev_b32_e32 v29, 1, v29
	v_lshrrev_b32_e32 v28, 1, v28
	v_and_b32_e32 v29, 0x4040404, v29
	v_and_b32_e32 v28, 0x4040404, v28
	v_lshrrev_b16_e32 v27, 8, v26
	v_perm_b32 v41, s16, v32, v40
	v_perm_b32 v46, s16, v32, v42
	;; [unrolled: 1-line block ×4, first 2 shown]
	v_or_b32_e32 v29, 0x3020100, v29
	v_or_b32_e32 v28, 0x3020100, v28
	v_perm_b32 v40, v40, v41, v29
	v_perm_b32 v41, v42, v46, v28
	v_and_b32_e32 v28, 0x7f, v27
	v_cndmask_b32_e32 v26, 0, v26, vcc
	v_cmp_ne_u16_e32 vcc, s19, v28
	v_and_b32_e32 v26, 0xff, v26
	v_cvt_f32_fp8_sdwa v26, v26 src0_sel:BYTE_0
	v_cndmask_b32_e32 v27, 0, v27, vcc
	v_and_b32_e32 v27, 0xffff, v27
	v_cvt_f32_fp8_sdwa v28, v27 src0_sel:BYTE_0
	v_add_u32_e32 v27, s15, v30
	v_mad_i64_i32 v[50:51], s[22:23], v27, 36, s[20:21]
	v_lshl_add_u64 v[46:47], v[50:51], 0, v[22:23]
	global_load_dwordx4 v[46:49], v[46:47], off offset:4
	v_dot4c_i32_i8_e32 v54, v38, v9
	v_dot4c_i32_i8_e32 v54, v39, v11
	;; [unrolled: 1-line block ×4, first 2 shown]
	v_add_u32_e32 v30, 64, v30
	s_waitcnt vmcnt(0)
	v_ashrrev_i32_e32 v27, 4, v46
	v_and_b32_e32 v55, 0x7070707, v27
	v_lshrrev_b32_e32 v27, 1, v27
	v_and_b32_e32 v29, 0x7070707, v46
	v_lshrrev_b32_e32 v46, 1, v46
	v_and_b32_e32 v27, 0x4040404, v27
	v_perm_b32 v56, s16, v32, v55
	v_perm_b32 v55, s17, v33, v55
	v_and_b32_e32 v46, 0x4040404, v46
	v_or_b32_e32 v27, 0x3020100, v27
	v_perm_b32 v42, s16, v32, v29
	v_perm_b32 v29, s17, v33, v29
	v_or_b32_e32 v46, 0x3020100, v46
	v_perm_b32 v55, v55, v56, v27
	v_ashrrev_i32_e32 v27, 4, v47
	v_perm_b32 v57, v29, v42, v46
	v_and_b32_e32 v46, 0x7070707, v27
	v_lshrrev_b32_e32 v27, 1, v27
	v_and_b32_e32 v27, 0x4040404, v27
	v_and_b32_e32 v29, 0x7070707, v47
	v_perm_b32 v56, s16, v32, v46
	v_perm_b32 v46, s17, v33, v46
	v_lshrrev_b32_e32 v47, 1, v47
	v_or_b32_e32 v27, 0x3020100, v27
	v_and_b32_e32 v47, 0x4040404, v47
	v_perm_b32 v56, v46, v56, v27
	v_mov_b32_e32 v46, 0
	v_perm_b32 v42, s16, v32, v29
	v_perm_b32 v29, s17, v33, v29
	v_or_b32_e32 v47, 0x3020100, v47
	v_dot4c_i32_i8_e32 v46, v57, v43
	v_perm_b32 v58, v29, v42, v47
	v_dot4c_i32_i8_e32 v46, v55, v45
	v_dot4c_i32_i8_e32 v46, v58, v44
	v_lshl_add_u64 v[42:43], v[50:51], 0, v[14:15]
	v_dot4c_i32_i8_e32 v46, v56, v8
	global_load_ushort v8, v[42:43], off
	v_lshrrev_b32_e32 v47, 1, v48
	v_and_b32_e32 v42, 0x7070707, v48
	v_and_b32_e32 v47, 0x4040404, v47
	v_perm_b32 v43, s16, v32, v42
	v_perm_b32 v42, s17, v33, v42
	v_or_b32_e32 v47, 0x3020100, v47
	s_waitcnt vmcnt(0)
	v_and_b32_e32 v27, 0x7f, v8
	v_cmp_ne_u16_e32 vcc, s19, v27
	v_lshrrev_b16_e32 v29, 8, v8
	s_nop 0
	v_cndmask_b32_e32 v8, 0, v8, vcc
	v_and_b32_e32 v8, 0xff, v8
	v_cvt_f32_fp8_sdwa v27, v8 src0_sel:BYTE_0
	v_ashrrev_i32_e32 v8, 4, v48
	v_and_b32_e32 v44, 0x7070707, v8
	v_lshrrev_b32_e32 v8, 1, v8
	v_and_b32_e32 v8, 0x4040404, v8
	v_perm_b32 v45, s16, v32, v44
	v_perm_b32 v44, s17, v33, v44
	v_or_b32_e32 v8, 0x3020100, v8
	v_perm_b32 v50, v44, v45, v8
	v_ashrrev_i32_e32 v8, 4, v49
	v_and_b32_e32 v44, 0x7070707, v8
	v_lshrrev_b32_e32 v8, 1, v8
	v_perm_b32 v48, v42, v43, v47
	v_lshrrev_b32_e32 v47, 1, v49
	v_and_b32_e32 v8, 0x4040404, v8
	v_and_b32_e32 v42, 0x7070707, v49
	v_perm_b32 v45, s16, v32, v44
	v_perm_b32 v44, s17, v33, v44
	v_and_b32_e32 v47, 0x4040404, v47
	v_or_b32_e32 v8, 0x3020100, v8
	v_perm_b32 v43, s16, v32, v42
	v_perm_b32 v42, s17, v33, v42
	v_or_b32_e32 v47, 0x3020100, v47
	v_perm_b32 v51, v44, v45, v8
	v_and_b32_e32 v8, 0x7f, v29
	v_perm_b32 v49, v42, v43, v47
	v_mov_b32_e32 v42, 0
	v_cmp_ne_u16_e32 vcc, s19, v8
	v_dot4c_i32_i8_e32 v42, v48, v9
	v_dot4c_i32_i8_e32 v42, v50, v11
	v_cndmask_b32_e32 v8, 0, v29, vcc
	v_and_b32_e32 v8, 0xffff, v8
	v_dot4c_i32_i8_e32 v42, v49, v10
	v_cvt_f32_fp8_sdwa v29, v8 src0_sel:BYTE_0
	v_pk_mul_f32 v[8:9], v[26:27], 0.5 op_sel_hi:[1,0]
	v_cvt_f32_i32_e32 v27, v46
	v_cvt_f32_i32_e32 v26, v53
	v_dot4c_i32_i8_e32 v42, v51, v52
	v_pk_mul_f32 v[10:11], v[8:9], v[24:25] op_sel_hi:[1,0]
	v_mad_u64_u32 v[46:47], s[22:23], v21, 36, v[16:17]
	s_nop 0
	v_cvt_f32_i32_e32 v43, v42
	v_cvt_f32_i32_e32 v42, v54
	v_pk_fma_f32 v[26:27], v[10:11], v[26:27], 0 op_sel_hi:[1,1,0]
	v_pk_mul_f32 v[10:11], v[28:29], 0.5 op_sel_hi:[1,0]
	v_cmp_le_u32_e32 vcc, s2, v30
	v_pk_mul_f32 v[28:29], v[10:11], v[24:25] op_sel_hi:[1,0]
	v_add_u32_e32 v21, 0x80, v21
	v_pk_fma_f32 v[26:27], v[28:29], v[42:43], v[26:27]
	s_or_b64 s[8:9], vcc, s[8:9]
	v_pk_add_f32 v[0:1], v[0:1], v[26:27]
	global_load_dword v52, v[46:47], off offset:32
	global_load_dwordx4 v[26:29], v[46:47], off offset:16
	global_load_dwordx4 v[42:45], v[46:47], off
	v_mov_b32_e32 v47, 0
	v_mov_b32_e32 v46, 0
	s_waitcnt vmcnt(1)
	v_dot4c_i32_i8_e32 v46, v38, v27
	s_waitcnt vmcnt(0)
	v_cvt_f32_f16_e32 v24, v42
	v_mov_b32_e32 v42, 0
	v_dot4c_i32_i8_e32 v42, v34, v43
	v_dot4c_i32_i8_e32 v47, v57, v43
	v_mov_b32_e32 v43, 0
	v_dot4c_i32_i8_e32 v42, v35, v45
	v_dot4c_i32_i8_e32 v47, v55, v45
	;; [unrolled: 1-line block ×13, first 2 shown]
	v_cvt_f32_i32_e32 v29, v47
	v_cvt_f32_i32_e32 v28, v42
	;; [unrolled: 1-line block ×4, first 2 shown]
	v_pk_mul_f32 v[26:27], v[8:9], v[24:25] op_sel_hi:[1,0]
	v_mad_u64_u32 v[46:47], s[22:23], v31, 36, v[16:17]
	v_pk_fma_f32 v[26:27], v[26:27], v[28:29], 0 op_sel_hi:[1,1,0]
	v_pk_mul_f32 v[28:29], v[10:11], v[24:25] op_sel_hi:[1,0]
	v_add_u32_e32 v31, 0x80, v31
	v_pk_fma_f32 v[26:27], v[28:29], v[42:43], v[26:27]
	s_nop 0
	v_pk_add_f32 v[2:3], v[2:3], v[26:27]
	global_load_dword v52, v[46:47], off offset:32
	global_load_dwordx4 v[26:29], v[46:47], off offset:16
	global_load_dwordx4 v[42:45], v[46:47], off
	v_mov_b32_e32 v47, 0
	v_mov_b32_e32 v46, 0
	s_waitcnt vmcnt(1)
	v_dot4c_i32_i8_e32 v46, v38, v27
	s_waitcnt vmcnt(0)
	v_cvt_f32_f16_e32 v24, v42
	v_mov_b32_e32 v42, 0
	v_dot4c_i32_i8_e32 v42, v34, v43
	v_dot4c_i32_i8_e32 v47, v57, v43
	v_mov_b32_e32 v43, 0
	v_dot4c_i32_i8_e32 v42, v35, v45
	v_dot4c_i32_i8_e32 v47, v55, v45
	;; [unrolled: 1-line block ×13, first 2 shown]
	v_cvt_f32_i32_e32 v29, v47
	v_cvt_f32_i32_e32 v28, v42
	;; [unrolled: 1-line block ×4, first 2 shown]
	v_pk_mul_f32 v[26:27], v[8:9], v[24:25] op_sel_hi:[1,0]
	v_mad_u64_u32 v[46:47], s[22:23], v20, 36, v[16:17]
	v_pk_fma_f32 v[26:27], v[26:27], v[28:29], 0 op_sel_hi:[1,1,0]
	v_pk_mul_f32 v[28:29], v[10:11], v[24:25] op_sel_hi:[1,0]
	v_add_u32_e32 v20, 0x80, v20
	v_pk_fma_f32 v[26:27], v[28:29], v[42:43], v[26:27]
	s_nop 0
	v_pk_add_f32 v[4:5], v[4:5], v[26:27]
	global_load_dword v52, v[46:47], off offset:32
	global_load_dwordx4 v[26:29], v[46:47], off offset:16
	global_load_dwordx4 v[42:45], v[46:47], off
	s_waitcnt vmcnt(0)
	v_cvt_f32_f16_e32 v24, v42
	v_mov_b32_e32 v42, 0
	v_dot4c_i32_i8_e32 v42, v34, v43
	v_dot4c_i32_i8_e32 v42, v35, v45
	v_mov_b32_e32 v35, 0
	v_dot4c_i32_i8_e32 v35, v57, v43
	v_dot4c_i32_i8_e32 v35, v55, v45
	;; [unrolled: 1-line block ×5, first 2 shown]
	v_mov_b32_e32 v34, 0
	v_dot4c_i32_i8_e32 v35, v56, v26
	v_mov_b32_e32 v36, 0
	v_dot4c_i32_i8_e32 v34, v38, v27
	v_dot4c_i32_i8_e32 v36, v48, v27
	v_cvt_f32_i32_e32 v27, v35
	v_cvt_f32_i32_e32 v26, v42
	v_dot4c_i32_i8_e32 v34, v39, v29
	v_dot4c_i32_i8_e32 v36, v50, v29
	;; [unrolled: 1-line block ×6, first 2 shown]
	v_pk_mul_f32 v[8:9], v[8:9], v[24:25] op_sel_hi:[1,0]
	v_pk_mul_f32 v[10:11], v[10:11], v[24:25] op_sel_hi:[1,0]
	v_pk_fma_f32 v[8:9], v[8:9], v[26:27], 0 op_sel_hi:[1,1,0]
	v_cvt_f32_i32_e32 v27, v36
	v_cvt_f32_i32_e32 v26, v34
	v_pk_fma_f32 v[8:9], v[10:11], v[26:27], v[8:9]
	s_nop 0
	v_pk_add_f32 v[6:7], v[6:7], v[8:9]
	s_andn2_b64 exec, exec, s[8:9]
	s_cbranch_execnz .LBB91_2
; %bb.3:
	s_or_b64 exec, exec, s[8:9]
	scratch_store_dwordx4 off, v[0:3], off
	scratch_store_dwordx4 off, v[4:7], off offset:16
.LBB91_4:
	s_or_b64 exec, exec, s[6:7]
	v_cmp_eq_u32_e32 vcc, 0, v25
	v_cmp_ne_u32_e64 s[6:7], 0, v25
	s_and_saveexec_b64 s[8:9], s[6:7]
	s_cbranch_execz .LBB91_6
; %bb.5:
	v_lshlrev_b32_e32 v8, 11, v25
	s_movk_i32 s2, 0xf800
	v_add3_u32 v8, v8, v13, s2
	ds_write2st64_b32 v8, v0, v1 offset1:1
	ds_write2st64_b32 v8, v2, v3 offset0:2 offset1:3
	ds_write2st64_b32 v8, v4, v5 offset0:4 offset1:5
	;; [unrolled: 1-line block ×3, first 2 shown]
.LBB91_6:
	s_or_b64 exec, exec, s[8:9]
	s_waitcnt lgkmcnt(0)
	s_barrier
	s_and_saveexec_b64 s[6:7], vcc
	s_cbranch_execz .LBB91_15
; %bb.7:
	scratch_load_dwordx2 v[2:3], off, off
	v_mbcnt_lo_u32_b32 v0, -1, 0
	ds_read2st64_b32 v[4:5], v13 offset1:1
	v_mbcnt_hi_u32_b32 v10, -1, v0
	v_and_b32_e32 v0, 64, v10
	v_xor_b32_e32 v1, 32, v10
	v_add_u32_e32 v11, 64, v0
	v_cmp_lt_i32_e32 vcc, v1, v11
	v_xor_b32_e32 v6, 16, v10
	v_xor_b32_e32 v8, 8, v10
	v_cndmask_b32_e32 v0, v10, v1, vcc
	v_lshlrev_b32_e32 v0, 2, v0
	v_cmp_lt_i32_e32 vcc, v6, v11
	v_xor_b32_e32 v9, 4, v10
	v_xor_b32_e32 v14, 2, v10
	v_cndmask_b32_e32 v1, v10, v6, vcc
	v_lshlrev_b32_e32 v1, 2, v1
	v_cmp_lt_i32_e32 vcc, v8, v11
	v_xor_b32_e32 v15, 1, v10
	s_load_dwordx2 s[0:1], s[0:1], 0x38
	s_mul_i32 s2, s3, s14
	s_mul_i32 s4, s4, s18
	s_add_i32 s2, s2, s5
	s_mov_b32 s3, 0
	s_add_i32 s2, s2, s4
	s_lshl_b64 s[2:3], s[2:3], 2
	s_waitcnt lgkmcnt(0)
	s_add_u32 s2, s0, s2
	s_addc_u32 s3, s1, s3
	s_waitcnt vmcnt(0)
	v_pk_add_f32 v[2:3], v[4:5], v[2:3]
	ds_bpermute_b32 v4, v0, v2
	ds_bpermute_b32 v5, v0, v3
	s_waitcnt lgkmcnt(0)
	v_pk_add_f32 v[4:5], v[2:3], v[4:5]
	ds_bpermute_b32 v6, v1, v4
	ds_bpermute_b32 v7, v1, v5
	v_cndmask_b32_e32 v2, v10, v8, vcc
	v_lshlrev_b32_e32 v2, 2, v2
	v_cmp_lt_i32_e32 vcc, v9, v11
	s_waitcnt lgkmcnt(0)
	v_pk_add_f32 v[4:5], v[4:5], v[6:7]
	ds_bpermute_b32 v6, v2, v4
	ds_bpermute_b32 v7, v2, v5
	v_cndmask_b32_e32 v3, v10, v9, vcc
	v_lshlrev_b32_e32 v3, 2, v3
	v_cmp_lt_i32_e32 vcc, v14, v11
	;; [unrolled: 7-line block ×3, first 2 shown]
	s_waitcnt lgkmcnt(0)
	v_pk_add_f32 v[6:7], v[6:7], v[8:9]
	ds_bpermute_b32 v8, v4, v6
	ds_bpermute_b32 v9, v4, v7
	v_cndmask_b32_e32 v5, v10, v15, vcc
	v_lshlrev_b32_e32 v5, 2, v5
	v_or_b32_e32 v10, s5, v12
	v_cmp_gt_u32_e32 vcc, 2, v12
	s_waitcnt lgkmcnt(0)
	v_pk_add_f32 v[6:7], v[6:7], v[8:9]
	ds_bpermute_b32 v8, v5, v6
	ds_bpermute_b32 v9, v5, v7
	v_cmp_gt_u32_e64 s[0:1], s10, v10
	s_and_b64 s[0:1], vcc, s[0:1]
	s_waitcnt lgkmcnt(0)
	v_pk_add_f32 v[6:7], v[6:7], v[8:9]
	scratch_store_dwordx2 off, v[6:7], off
	s_and_saveexec_b64 s[4:5], s[0:1]
	s_cbranch_execz .LBB91_9
; %bb.8:
	scratch_load_dword v6, v13, off
	s_waitcnt vmcnt(0)
	global_store_dword v13, v6, s[2:3]
.LBB91_9:
	s_or_b64 exec, exec, s[4:5]
	scratch_load_dwordx2 v[6:7], off, off offset:8
	ds_read2st64_b32 v[8:9], v13 offset0:2 offset1:3
	s_waitcnt vmcnt(0) lgkmcnt(0)
	v_pk_add_f32 v[6:7], v[8:9], v[6:7]
	ds_bpermute_b32 v8, v0, v6
	ds_bpermute_b32 v9, v0, v7
	s_waitcnt lgkmcnt(0)
	v_pk_add_f32 v[6:7], v[6:7], v[8:9]
	ds_bpermute_b32 v8, v1, v6
	ds_bpermute_b32 v9, v1, v7
	s_waitcnt lgkmcnt(0)
	;; [unrolled: 4-line block ×6, first 2 shown]
	v_pk_add_f32 v[6:7], v[6:7], v[8:9]
	scratch_store_dwordx2 off, v[6:7], off offset:8
	s_and_saveexec_b64 s[4:5], s[0:1]
	s_cbranch_execz .LBB91_11
; %bb.10:
	scratch_load_dword v8, v13, off offset:8
	v_add_u32_e32 v6, s10, v12
	v_mov_b32_e32 v7, 0
	v_lshl_add_u64 v[6:7], v[6:7], 2, s[2:3]
	s_waitcnt vmcnt(0)
	global_store_dword v[6:7], v8, off
.LBB91_11:
	s_or_b64 exec, exec, s[4:5]
	scratch_load_dwordx2 v[6:7], off, off offset:16
	ds_read2st64_b32 v[8:9], v13 offset0:4 offset1:5
	s_waitcnt vmcnt(0) lgkmcnt(0)
	v_pk_add_f32 v[6:7], v[8:9], v[6:7]
	ds_bpermute_b32 v8, v0, v6
	ds_bpermute_b32 v9, v0, v7
	s_waitcnt lgkmcnt(0)
	v_pk_add_f32 v[6:7], v[6:7], v[8:9]
	ds_bpermute_b32 v8, v1, v6
	ds_bpermute_b32 v9, v1, v7
	s_waitcnt lgkmcnt(0)
	;; [unrolled: 4-line block ×6, first 2 shown]
	v_pk_add_f32 v[6:7], v[6:7], v[8:9]
	scratch_store_dwordx2 off, v[6:7], off offset:16
	s_and_saveexec_b64 s[4:5], s[0:1]
	s_cbranch_execz .LBB91_13
; %bb.12:
	scratch_load_dword v8, v13, off offset:16
	v_lshl_or_b32 v6, s10, 1, v12
	v_mov_b32_e32 v7, 0
	v_lshl_add_u64 v[6:7], v[6:7], 2, s[2:3]
	s_waitcnt vmcnt(0)
	global_store_dword v[6:7], v8, off
.LBB91_13:
	s_or_b64 exec, exec, s[4:5]
	scratch_load_dwordx2 v[6:7], off, off offset:24
	ds_read2st64_b32 v[8:9], v13 offset0:6 offset1:7
	s_waitcnt vmcnt(0) lgkmcnt(0)
	v_pk_add_f32 v[6:7], v[8:9], v[6:7]
	ds_bpermute_b32 v8, v0, v6
	ds_bpermute_b32 v9, v0, v7
	s_waitcnt lgkmcnt(0)
	v_pk_add_f32 v[6:7], v[6:7], v[8:9]
	ds_bpermute_b32 v0, v1, v6
	ds_bpermute_b32 v1, v1, v7
	s_waitcnt lgkmcnt(0)
	;; [unrolled: 4-line block ×6, first 2 shown]
	v_pk_add_f32 v[0:1], v[0:1], v[2:3]
	scratch_store_dwordx2 off, v[0:1], off offset:24
	s_and_b64 exec, exec, s[0:1]
	s_cbranch_execz .LBB91_15
; %bb.14:
	scratch_load_dword v2, v13, off offset:24
	v_mad_u64_u32 v[0:1], s[0:1], s10, 3, v[12:13]
	v_mov_b32_e32 v1, 0
	v_lshl_add_u64 v[0:1], v[0:1], 2, s[2:3]
	s_waitcnt vmcnt(0)
	global_store_dword v[0:1], v2, off
.LBB91_15:
	s_endpgm
	.section	.rodata,"a",@progbits
	.p2align	6, 0x0
	.amdhsa_kernel _ZL13mul_mat_vec_qIL9ggml_type40ELi4ELb0ELb0EEvPKvS2_PKi31ggml_cuda_mm_fusion_args_devicePfj15HIP_vector_typeIjLj3EEjjjS8_jjjS8_jjjj
		.amdhsa_group_segment_fixed_size 2048
		.amdhsa_private_segment_fixed_size 48
		.amdhsa_kernarg_size 144
		.amdhsa_user_sgpr_count 2
		.amdhsa_user_sgpr_dispatch_ptr 0
		.amdhsa_user_sgpr_queue_ptr 0
		.amdhsa_user_sgpr_kernarg_segment_ptr 1
		.amdhsa_user_sgpr_dispatch_id 0
		.amdhsa_user_sgpr_kernarg_preload_length 0
		.amdhsa_user_sgpr_kernarg_preload_offset 0
		.amdhsa_user_sgpr_private_segment_size 0
		.amdhsa_uses_dynamic_stack 0
		.amdhsa_enable_private_segment 1
		.amdhsa_system_sgpr_workgroup_id_x 1
		.amdhsa_system_sgpr_workgroup_id_y 1
		.amdhsa_system_sgpr_workgroup_id_z 1
		.amdhsa_system_sgpr_workgroup_info 0
		.amdhsa_system_vgpr_workitem_id 1
		.amdhsa_next_free_vgpr 59
		.amdhsa_next_free_sgpr 30
		.amdhsa_accum_offset 60
		.amdhsa_reserve_vcc 1
		.amdhsa_float_round_mode_32 0
		.amdhsa_float_round_mode_16_64 0
		.amdhsa_float_denorm_mode_32 3
		.amdhsa_float_denorm_mode_16_64 3
		.amdhsa_dx10_clamp 1
		.amdhsa_ieee_mode 1
		.amdhsa_fp16_overflow 0
		.amdhsa_tg_split 0
		.amdhsa_exception_fp_ieee_invalid_op 0
		.amdhsa_exception_fp_denorm_src 0
		.amdhsa_exception_fp_ieee_div_zero 0
		.amdhsa_exception_fp_ieee_overflow 0
		.amdhsa_exception_fp_ieee_underflow 0
		.amdhsa_exception_fp_ieee_inexact 0
		.amdhsa_exception_int_div_zero 0
	.end_amdhsa_kernel
	.section	.text._ZL13mul_mat_vec_qIL9ggml_type40ELi4ELb0ELb0EEvPKvS2_PKi31ggml_cuda_mm_fusion_args_devicePfj15HIP_vector_typeIjLj3EEjjjS8_jjjS8_jjjj,"axG",@progbits,_ZL13mul_mat_vec_qIL9ggml_type40ELi4ELb0ELb0EEvPKvS2_PKi31ggml_cuda_mm_fusion_args_devicePfj15HIP_vector_typeIjLj3EEjjjS8_jjjS8_jjjj,comdat
.Lfunc_end91:
	.size	_ZL13mul_mat_vec_qIL9ggml_type40ELi4ELb0ELb0EEvPKvS2_PKi31ggml_cuda_mm_fusion_args_devicePfj15HIP_vector_typeIjLj3EEjjjS8_jjjS8_jjjj, .Lfunc_end91-_ZL13mul_mat_vec_qIL9ggml_type40ELi4ELb0ELb0EEvPKvS2_PKi31ggml_cuda_mm_fusion_args_devicePfj15HIP_vector_typeIjLj3EEjjjS8_jjjS8_jjjj
                                        ; -- End function
	.section	.AMDGPU.csdata,"",@progbits
; Kernel info:
; codeLenInByte = 3668
; NumSgprs: 36
; NumVgprs: 59
; NumAgprs: 0
; TotalNumVgprs: 59
; ScratchSize: 48
; MemoryBound: 0
; FloatMode: 240
; IeeeMode: 1
; LDSByteSize: 2048 bytes/workgroup (compile time only)
; SGPRBlocks: 4
; VGPRBlocks: 7
; NumSGPRsForWavesPerEU: 36
; NumVGPRsForWavesPerEU: 59
; AccumOffset: 60
; Occupancy: 8
; WaveLimiterHint : 0
; COMPUTE_PGM_RSRC2:SCRATCH_EN: 1
; COMPUTE_PGM_RSRC2:USER_SGPR: 2
; COMPUTE_PGM_RSRC2:TRAP_HANDLER: 0
; COMPUTE_PGM_RSRC2:TGID_X_EN: 1
; COMPUTE_PGM_RSRC2:TGID_Y_EN: 1
; COMPUTE_PGM_RSRC2:TGID_Z_EN: 1
; COMPUTE_PGM_RSRC2:TIDIG_COMP_CNT: 1
; COMPUTE_PGM_RSRC3_GFX90A:ACCUM_OFFSET: 14
; COMPUTE_PGM_RSRC3_GFX90A:TG_SPLIT: 0
	.section	.text._ZL13mul_mat_vec_qIL9ggml_type40ELi5ELb0ELb0EEvPKvS2_PKi31ggml_cuda_mm_fusion_args_devicePfj15HIP_vector_typeIjLj3EEjjjS8_jjjS8_jjjj,"axG",@progbits,_ZL13mul_mat_vec_qIL9ggml_type40ELi5ELb0ELb0EEvPKvS2_PKi31ggml_cuda_mm_fusion_args_devicePfj15HIP_vector_typeIjLj3EEjjjS8_jjjS8_jjjj,comdat
	.globl	_ZL13mul_mat_vec_qIL9ggml_type40ELi5ELb0ELb0EEvPKvS2_PKi31ggml_cuda_mm_fusion_args_devicePfj15HIP_vector_typeIjLj3EEjjjS8_jjjS8_jjjj ; -- Begin function _ZL13mul_mat_vec_qIL9ggml_type40ELi5ELb0ELb0EEvPKvS2_PKi31ggml_cuda_mm_fusion_args_devicePfj15HIP_vector_typeIjLj3EEjjjS8_jjjS8_jjjj
	.p2align	8
	.type	_ZL13mul_mat_vec_qIL9ggml_type40ELi5ELb0ELb0EEvPKvS2_PKi31ggml_cuda_mm_fusion_args_devicePfj15HIP_vector_typeIjLj3EEjjjS8_jjjS8_jjjj,@function
_ZL13mul_mat_vec_qIL9ggml_type40ELi5ELb0ELb0EEvPKvS2_PKi31ggml_cuda_mm_fusion_args_devicePfj15HIP_vector_typeIjLj3EEjjjS8_jjjS8_jjjj: ; @_ZL13mul_mat_vec_qIL9ggml_type40ELi5ELb0ELb0EEvPKvS2_PKi31ggml_cuda_mm_fusion_args_devicePfj15HIP_vector_typeIjLj3EEjjjS8_jjjS8_jjjj
; %bb.0:
	v_bfe_u32 v25, v0, 10, 10
	v_lshlrev_b32_e32 v1, 6, v25
	v_and_b32_e32 v12, 0x3ff, v0
	s_mov_b32 s20, 0
	s_load_dword s6, s[0:1], 0x40
	s_load_dwordx4 s[8:11], s[0:1], 0x50
	s_load_dword s24, s[0:1], 0x60
	s_load_dwordx4 s[12:15], s[0:1], 0x68
	;; [unrolled: 2-line block ×3, first 2 shown]
	s_mov_b32 s21, s20
	v_add_u16_e32 v0, v1, v12
	s_waitcnt lgkmcnt(0)
	s_lshl_b32 s19, s2, 1
	s_lshr_b32 s2, s6, 6
	v_mov_b32_e32 v15, 0
	s_mov_b32 s22, s20
	s_mov_b32 s23, s20
	v_mov_b64_e32 v[2:3], s[20:21]
	v_lshrrev_b16_e32 v28, 1, v0
	v_mov_b32_e32 v14, v15
	v_mov_b64_e32 v[4:5], s[22:23]
	v_cmp_gt_u32_e32 vcc, s2, v28
	v_lshlrev_b32_e32 v13, 2, v12
	scratch_store_dwordx2 off, v[14:15], off offset:32
	scratch_store_dwordx4 off, v[2:5], off offset:16
	scratch_store_dwordx4 off, v[2:5], off
	s_and_saveexec_b64 s[6:7], vcc
	s_cbranch_execz .LBB92_4
; %bb.1:
	s_load_dwordx4 s[20:23], s[0:1], 0x0
	s_mul_i32 s17, s4, s17
	s_mul_i32 s26, s17, 36
	;; [unrolled: 1-line block ×3, first 2 shown]
	s_mul_hi_u32 s25, s17, 36
	s_waitcnt lgkmcnt(0)
	s_add_u32 s28, s22, s26
	s_addc_u32 s25, s23, s25
	s_mul_i32 s26, s13, 36
	s_mul_hi_u32 s27, s13, 36
	s_add_u32 s28, s28, s26
	s_mul_hi_u32 s11, s11, s3
	s_addc_u32 s29, s25, s27
	s_add_i32 s11, s3, s11
	s_lshr_b32 s11, s11, s24
	s_mul_i32 s11, s11, s12
	s_mul_hi_u32 s12, s15, s4
	s_add_i32 s12, s4, s12
	v_and_b32_e32 v4, 1, v12
	s_lshr_b32 s5, s12, s5
	v_mad_u64_u32 v[16:17], s[12:13], v4, 36, s[28:29]
	s_mul_i32 s15, s5, s16
	s_add_i32 s13, s19, 1
	v_and_b32_e32 v2, v1, v12
	v_xor_b32_e32 v1, v1, v12
	s_mul_i32 s16, s19, s8
	s_add_i32 s12, s15, s11
	s_mul_i32 s8, s8, s13
	v_lshrrev_b16_e32 v1, 1, v1
	s_add_i32 s11, s12, s16
	s_add_i32 s8, s12, s8
	v_add_u16_e32 v1, v2, v1
	s_movk_i32 s12, 0x48
	v_mov_b64_e32 v[2:3], s[26:27]
	v_mad_u64_u32 v[2:3], s[12:13], v1, s12, v[2:3]
	v_mad_u64_u32 v[2:3], s[12:13], s17, 36, v[2:3]
	v_and_b32_e32 v0, 4, v13
	v_mad_u64_u32 v[2:3], s[12:13], v4, 36, v[2:3]
	v_lshrrev_b32_e32 v14, 1, v0
	s_lshl_b32 s5, s9, 1
	v_lshlrev_b32_e32 v29, 1, v28
	v_lshl_add_u64 v[18:19], s[22:23], 0, v[2:3]
	s_mul_i32 s15, s9, 3
	s_lshl_b32 s22, s9, 2
	s_mov_b64 s[12:13], 0
	v_lshlrev_b32_e32 v20, 2, v0
	v_mov_b32_e32 v21, v15
	s_mov_b32 s23, 0xc080604
	v_mov_b32_e32 v30, 0x3020100
	s_mov_b32 s24, 0xf4f8fafc
	v_mov_b32_e32 v31, 0xfdfeff00
	s_movk_i32 s25, 0x7f
	s_mov_b64 s[16:17], 0x900
	v_mov_b32_e32 v4, v15
	v_mov_b32_e32 v5, v15
	;; [unrolled: 1-line block ×10, first 2 shown]
.LBB92_2:                               ; =>This Inner Loop Header: Depth=1
	v_add_u32_e32 v26, s11, v28
	v_mad_i64_i32 v[26:27], s[26:27], v26, 36, s[20:21]
	v_lshl_add_u64 v[32:33], v[26:27], 0, v[20:21]
	global_load_dword v53, v[18:19], off offset:32
	global_load_dwordx4 v[8:11], v[18:19], off offset:16
	global_load_dwordx4 v[44:47], v[18:19], off
	global_load_dwordx4 v[36:39], v[32:33], off offset:4
	v_lshl_add_u64 v[26:27], v[26:27], 0, v[14:15]
	global_load_ushort v26, v[26:27], off
	v_mov_b32_e32 v56, 0
	v_mov_b32_e32 v57, 0
	;; [unrolled: 1-line block ×3, first 2 shown]
	v_lshl_add_u64 v[18:19], v[18:19], 0, s[16:17]
	s_waitcnt vmcnt(2)
	v_cvt_f32_f16_e32 v24, v44
	s_waitcnt vmcnt(1)
	v_ashrrev_i32_e32 v33, 4, v36
	v_and_b32_e32 v32, 0x7070707, v36
	v_and_b32_e32 v35, 0x7070707, v33
	v_lshrrev_b32_e32 v36, 1, v36
	v_lshrrev_b32_e32 v33, 1, v33
	v_and_b32_e32 v36, 0x4040404, v36
	v_and_b32_e32 v33, 0x4040404, v33
	v_perm_b32 v34, s23, v30, v32
	v_perm_b32 v40, s23, v30, v35
	;; [unrolled: 1-line block ×4, first 2 shown]
	v_or_b32_e32 v36, 0x3020100, v36
	v_or_b32_e32 v33, 0x3020100, v33
	v_perm_b32 v32, v32, v34, v36
	v_perm_b32 v33, v35, v40, v33
	v_ashrrev_i32_e32 v35, 4, v37
	v_and_b32_e32 v34, 0x7070707, v37
	v_lshrrev_b32_e32 v37, 1, v37
	v_and_b32_e32 v37, 0x4040404, v37
	v_perm_b32 v36, s23, v30, v34
	v_perm_b32 v34, s24, v31, v34
	v_or_b32_e32 v37, 0x3020100, v37
	v_and_b32_e32 v40, 0x7070707, v35
	v_perm_b32 v34, v34, v36, v37
	v_lshrrev_b32_e32 v35, 1, v35
	s_waitcnt vmcnt(0)
	v_and_b32_e32 v36, 0x7f, v26
	v_and_b32_e32 v35, 0x4040404, v35
	v_cmp_ne_u16_e32 vcc, s25, v36
	v_ashrrev_i32_e32 v37, 4, v38
	v_and_b32_e32 v36, 0x7070707, v38
	v_lshrrev_b32_e32 v38, 1, v38
	v_perm_b32 v41, s23, v30, v40
	v_perm_b32 v40, s24, v31, v40
	v_or_b32_e32 v35, 0x3020100, v35
	v_and_b32_e32 v38, 0x4040404, v38
	v_perm_b32 v35, v40, v41, v35
	v_perm_b32 v40, s23, v30, v36
	v_and_b32_e32 v41, 0x7070707, v37
	v_perm_b32 v36, s24, v31, v36
	v_or_b32_e32 v38, 0x3020100, v38
	v_lshrrev_b32_e32 v37, 1, v37
	v_perm_b32 v36, v36, v40, v38
	v_and_b32_e32 v37, 0x4040404, v37
	v_ashrrev_i32_e32 v40, 4, v39
	v_and_b32_e32 v38, 0x7070707, v39
	v_lshrrev_b32_e32 v39, 1, v39
	v_perm_b32 v42, s23, v30, v41
	v_perm_b32 v41, s24, v31, v41
	v_or_b32_e32 v37, 0x3020100, v37
	v_and_b32_e32 v39, 0x4040404, v39
	v_lshrrev_b16_e32 v27, 8, v26
	v_perm_b32 v37, v41, v42, v37
	v_perm_b32 v41, s23, v30, v38
	;; [unrolled: 1-line block ×3, first 2 shown]
	v_or_b32_e32 v39, 0x3020100, v39
	v_and_b32_e32 v42, 0x7070707, v40
	v_perm_b32 v38, v38, v41, v39
	v_lshrrev_b32_e32 v39, 1, v40
	v_and_b32_e32 v40, 0x7f, v27
	v_cndmask_b32_e32 v26, 0, v26, vcc
	v_cmp_ne_u16_e32 vcc, s25, v40
	v_and_b32_e32 v39, 0x4040404, v39
	v_perm_b32 v43, s23, v30, v42
	v_cndmask_b32_e32 v27, 0, v27, vcc
	v_and_b32_e32 v27, 0xffff, v27
	v_cvt_f32_fp8_sdwa v52, v27 src0_sel:BYTE_0
	v_add_u32_e32 v27, s8, v28
	v_mad_i64_i32 v[54:55], s[26:27], v27, 36, s[20:21]
	v_lshl_add_u64 v[40:41], v[54:55], 0, v[20:21]
	global_load_dwordx4 v[48:51], v[40:41], off offset:4
	v_perm_b32 v42, s24, v31, v42
	v_or_b32_e32 v39, 0x3020100, v39
	v_perm_b32 v39, v42, v43, v39
	v_dot4c_i32_i8_e32 v56, v32, v45
	v_dot4c_i32_i8_e32 v56, v33, v47
	;; [unrolled: 1-line block ×4, first 2 shown]
	v_and_b32_e32 v26, 0xff, v26
	v_cvt_f32_fp8_sdwa v26, v26 src0_sel:BYTE_0
	v_dot4c_i32_i8_e32 v57, v36, v9
	v_dot4c_i32_i8_e32 v57, v37, v11
	;; [unrolled: 1-line block ×4, first 2 shown]
	v_add_u32_e32 v28, 32, v28
	s_waitcnt vmcnt(0)
	v_ashrrev_i32_e32 v27, 4, v48
	v_and_b32_e32 v42, 0x7070707, v27
	v_lshrrev_b32_e32 v44, 1, v48
	v_lshrrev_b32_e32 v27, 1, v27
	v_and_b32_e32 v40, 0x7070707, v48
	v_and_b32_e32 v44, 0x4040404, v44
	;; [unrolled: 1-line block ×3, first 2 shown]
	v_perm_b32 v41, s23, v30, v40
	v_perm_b32 v43, s23, v30, v42
	;; [unrolled: 1-line block ×4, first 2 shown]
	v_or_b32_e32 v44, 0x3020100, v44
	v_or_b32_e32 v27, 0x3020100, v27
	v_perm_b32 v40, v40, v41, v44
	v_perm_b32 v41, v42, v43, v27
	v_ashrrev_i32_e32 v27, 4, v49
	v_and_b32_e32 v44, 0x7070707, v27
	v_lshrrev_b32_e32 v27, 1, v27
	v_and_b32_e32 v27, 0x4040404, v27
	v_and_b32_e32 v42, 0x7070707, v49
	v_perm_b32 v48, s23, v30, v44
	v_perm_b32 v44, s24, v31, v44
	v_lshrrev_b32_e32 v49, 1, v49
	v_or_b32_e32 v27, 0x3020100, v27
	v_and_b32_e32 v49, 0x4040404, v49
	v_perm_b32 v44, v44, v48, v27
	v_mov_b32_e32 v48, 0
	v_perm_b32 v43, s23, v30, v42
	v_perm_b32 v42, s24, v31, v42
	v_or_b32_e32 v49, 0x3020100, v49
	v_dot4c_i32_i8_e32 v48, v40, v45
	v_perm_b32 v43, v42, v43, v49
	v_dot4c_i32_i8_e32 v48, v41, v47
	v_dot4c_i32_i8_e32 v48, v43, v46
	v_lshl_add_u64 v[46:47], v[54:55], 0, v[14:15]
	v_dot4c_i32_i8_e32 v48, v44, v8
	global_load_ushort v8, v[46:47], off
	v_and_b32_e32 v42, 0x7070707, v50
	v_perm_b32 v45, s23, v30, v42
	v_perm_b32 v42, s24, v31, v42
	s_waitcnt vmcnt(0)
	v_and_b32_e32 v27, 0x7f, v8
	v_cmp_ne_u16_e32 vcc, s25, v27
	v_lshrrev_b16_e32 v49, 8, v8
	s_nop 0
	v_cndmask_b32_e32 v8, 0, v8, vcc
	v_and_b32_e32 v8, 0xff, v8
	v_cvt_f32_fp8_sdwa v27, v8 src0_sel:BYTE_0
	v_ashrrev_i32_e32 v8, 4, v50
	v_and_b32_e32 v46, 0x7070707, v8
	v_perm_b32 v47, s23, v30, v46
	v_perm_b32 v54, s24, v31, v46
	v_lshrrev_b32_e32 v46, 1, v50
	v_lshrrev_b32_e32 v8, 1, v8
	v_and_b32_e32 v46, 0x4040404, v46
	v_and_b32_e32 v8, 0x4040404, v8
	v_or_b32_e32 v46, 0x3020100, v46
	v_or_b32_e32 v8, 0x3020100, v8
	v_perm_b32 v46, v42, v45, v46
	v_perm_b32 v45, v54, v47, v8
	v_ashrrev_i32_e32 v8, 4, v51
	v_and_b32_e32 v42, 0x7070707, v51
	v_and_b32_e32 v50, 0x7070707, v8
	v_lshrrev_b32_e32 v51, 1, v51
	v_lshrrev_b32_e32 v8, 1, v8
	v_and_b32_e32 v51, 0x4040404, v51
	v_and_b32_e32 v8, 0x4040404, v8
	v_perm_b32 v47, s23, v30, v42
	v_perm_b32 v54, s23, v30, v50
	;; [unrolled: 1-line block ×4, first 2 shown]
	v_or_b32_e32 v51, 0x3020100, v51
	v_or_b32_e32 v8, 0x3020100, v8
	v_perm_b32 v47, v42, v47, v51
	v_perm_b32 v42, v50, v54, v8
	v_mov_b32_e32 v50, 0
	v_and_b32_e32 v8, 0x7f, v49
	v_dot4c_i32_i8_e32 v50, v46, v9
	v_cmp_ne_u16_e32 vcc, s25, v8
	v_dot4c_i32_i8_e32 v50, v45, v11
	v_dot4c_i32_i8_e32 v50, v47, v10
	v_cndmask_b32_e32 v8, 0, v49, vcc
	v_and_b32_e32 v8, 0xffff, v8
	v_dot4c_i32_i8_e32 v50, v42, v53
	v_cvt_f32_fp8_sdwa v53, v8 src0_sel:BYTE_0
	v_pk_mul_f32 v[10:11], v[26:27], 0.5 op_sel_hi:[1,0]
	v_cvt_f32_i32_e32 v27, v48
	v_cvt_f32_i32_e32 v26, v56
	;; [unrolled: 1-line block ×4, first 2 shown]
	v_pk_mul_f32 v[8:9], v[10:11], v[24:25] op_sel_hi:[1,0]
	v_mov_b32_e32 v57, 0
	v_pk_fma_f32 v[26:27], v[8:9], v[26:27], 0 op_sel_hi:[1,1,0]
	v_pk_mul_f32 v[8:9], v[52:53], 0.5 op_sel_hi:[1,0]
	v_cmp_le_u32_e32 vcc, s2, v28
	v_pk_mul_f32 v[48:49], v[8:9], v[24:25] op_sel_hi:[1,0]
	v_add_u32_e32 v24, s9, v29
	v_pk_fma_f32 v[26:27], v[48:49], v[50:51], v[26:27]
	s_add_i32 s9, s9, 64
	v_pk_add_f32 v[4:5], v[4:5], v[26:27]
	v_mad_u64_u32 v[26:27], s[26:27], v24, 36, v[16:17]
	global_load_dword v56, v[26:27], off offset:32
	global_load_dwordx4 v[48:51], v[26:27], off offset:16
	global_load_dwordx4 v[52:55], v[26:27], off
	s_waitcnt vmcnt(1)
	v_dot4c_i32_i8_e32 v57, v36, v49
	s_waitcnt vmcnt(0)
	v_cvt_f32_f16_e32 v24, v52
	v_mov_b32_e32 v52, 0
	v_dot4c_i32_i8_e32 v52, v32, v53
	v_dot4c_i32_i8_e32 v58, v40, v53
	v_mov_b32_e32 v53, 0
	v_dot4c_i32_i8_e32 v52, v33, v55
	v_dot4c_i32_i8_e32 v58, v41, v55
	;; [unrolled: 1-line block ×13, first 2 shown]
	v_cvt_f32_i32_e32 v49, v58
	v_cvt_f32_i32_e32 v48, v52
	;; [unrolled: 1-line block ×4, first 2 shown]
	v_pk_mul_f32 v[26:27], v[10:11], v[24:25] op_sel_hi:[1,0]
	v_mov_b32_e32 v58, 0
	v_pk_fma_f32 v[26:27], v[26:27], v[48:49], 0 op_sel_hi:[1,1,0]
	v_pk_mul_f32 v[48:49], v[8:9], v[24:25] op_sel_hi:[1,0]
	v_add_u32_e32 v24, s5, v29
	v_pk_fma_f32 v[26:27], v[48:49], v[50:51], v[26:27]
	v_mov_b32_e32 v57, 0
	v_pk_add_f32 v[6:7], v[6:7], v[26:27]
	v_mad_u64_u32 v[26:27], s[26:27], v24, 36, v[16:17]
	global_load_dword v56, v[26:27], off offset:32
	global_load_dwordx4 v[48:51], v[26:27], off offset:16
	global_load_dwordx4 v[52:55], v[26:27], off
	s_add_i32 s5, s5, 64
	s_waitcnt vmcnt(1)
	v_dot4c_i32_i8_e32 v57, v36, v49
	s_waitcnt vmcnt(0)
	v_cvt_f32_f16_e32 v24, v52
	v_mov_b32_e32 v52, 0
	v_dot4c_i32_i8_e32 v52, v32, v53
	v_dot4c_i32_i8_e32 v58, v40, v53
	v_mov_b32_e32 v53, 0
	v_dot4c_i32_i8_e32 v52, v33, v55
	v_dot4c_i32_i8_e32 v58, v41, v55
	;; [unrolled: 1-line block ×13, first 2 shown]
	v_cvt_f32_i32_e32 v49, v58
	v_cvt_f32_i32_e32 v48, v52
	;; [unrolled: 1-line block ×4, first 2 shown]
	v_pk_mul_f32 v[26:27], v[10:11], v[24:25] op_sel_hi:[1,0]
	v_mov_b32_e32 v58, 0
	v_pk_fma_f32 v[26:27], v[26:27], v[48:49], 0 op_sel_hi:[1,1,0]
	v_pk_mul_f32 v[48:49], v[8:9], v[24:25] op_sel_hi:[1,0]
	v_add_u32_e32 v24, s15, v29
	v_pk_fma_f32 v[26:27], v[48:49], v[50:51], v[26:27]
	v_mov_b32_e32 v57, 0
	v_pk_add_f32 v[0:1], v[0:1], v[26:27]
	v_mad_u64_u32 v[26:27], s[26:27], v24, 36, v[16:17]
	global_load_dword v56, v[26:27], off offset:32
	global_load_dwordx4 v[48:51], v[26:27], off offset:16
	global_load_dwordx4 v[52:55], v[26:27], off
	s_add_i32 s15, s15, 64
	s_waitcnt vmcnt(1)
	v_dot4c_i32_i8_e32 v57, v36, v49
	s_waitcnt vmcnt(0)
	v_cvt_f32_f16_e32 v24, v52
	v_mov_b32_e32 v52, 0
	v_dot4c_i32_i8_e32 v52, v32, v53
	v_dot4c_i32_i8_e32 v58, v40, v53
	v_mov_b32_e32 v53, 0
	v_dot4c_i32_i8_e32 v52, v33, v55
	v_dot4c_i32_i8_e32 v58, v41, v55
	;; [unrolled: 1-line block ×13, first 2 shown]
	v_cvt_f32_i32_e32 v49, v58
	v_cvt_f32_i32_e32 v48, v52
	;; [unrolled: 1-line block ×4, first 2 shown]
	v_pk_mul_f32 v[26:27], v[10:11], v[24:25] op_sel_hi:[1,0]
	s_nop 0
	v_pk_fma_f32 v[26:27], v[26:27], v[48:49], 0 op_sel_hi:[1,1,0]
	v_pk_mul_f32 v[48:49], v[8:9], v[24:25] op_sel_hi:[1,0]
	v_add_u32_e32 v24, s22, v29
	v_pk_fma_f32 v[26:27], v[48:49], v[50:51], v[26:27]
	s_add_i32 s22, s22, 64
	v_pk_add_f32 v[2:3], v[2:3], v[26:27]
	v_mad_u64_u32 v[26:27], s[26:27], v24, 36, v[16:17]
	global_load_dword v56, v[26:27], off offset:32
	global_load_dwordx4 v[48:51], v[26:27], off offset:16
	global_load_dwordx4 v[52:55], v[26:27], off
	v_mov_b32_e32 v26, 0
	v_mov_b32_e32 v27, 0
	s_or_b64 s[12:13], vcc, s[12:13]
	s_waitcnt vmcnt(0)
	v_dot4c_i32_i8_e32 v26, v32, v53
	v_dot4c_i32_i8_e32 v27, v40, v53
	;; [unrolled: 1-line block ×6, first 2 shown]
	v_cvt_f32_f16_e32 v24, v52
	v_dot4c_i32_i8_e32 v26, v35, v48
	v_mov_b32_e32 v32, 0
	v_dot4c_i32_i8_e32 v27, v44, v48
	v_mov_b32_e32 v33, 0
	v_dot4c_i32_i8_e32 v32, v36, v49
	v_dot4c_i32_i8_e32 v33, v46, v49
	v_cvt_f32_i32_e32 v27, v27
	v_cvt_f32_i32_e32 v26, v26
	v_dot4c_i32_i8_e32 v32, v37, v51
	v_dot4c_i32_i8_e32 v33, v45, v51
	;; [unrolled: 1-line block ×6, first 2 shown]
	v_pk_mul_f32 v[10:11], v[10:11], v[24:25] op_sel_hi:[1,0]
	v_pk_mul_f32 v[8:9], v[8:9], v[24:25] op_sel_hi:[1,0]
	v_pk_fma_f32 v[10:11], v[10:11], v[26:27], 0 op_sel_hi:[1,1,0]
	v_cvt_f32_i32_e32 v27, v33
	v_cvt_f32_i32_e32 v26, v32
	v_pk_fma_f32 v[8:9], v[8:9], v[26:27], v[10:11]
	s_nop 0
	v_pk_add_f32 v[22:23], v[22:23], v[8:9]
	s_andn2_b64 exec, exec, s[12:13]
	s_cbranch_execnz .LBB92_2
; %bb.3:
	s_or_b64 exec, exec, s[12:13]
	scratch_store_dwordx4 off, v[4:7], off
	scratch_store_dwordx4 off, v[0:3], off offset:16
	scratch_store_dwordx2 off, v[22:23], off offset:32
.LBB92_4:
	s_or_b64 exec, exec, s[6:7]
	s_mov_b32 s5, 0
	v_cmp_eq_u32_e32 vcc, 0, v25
	s_waitcnt lgkmcnt(0)
	; wave barrier
	s_and_saveexec_b64 s[6:7], vcc
	s_cbranch_execz .LBB92_15
; %bb.5:
	scratch_load_dwordx2 v[2:3], off, off
	v_mbcnt_lo_u32_b32 v0, -1, 0
	v_mbcnt_hi_u32_b32 v10, -1, v0
	v_and_b32_e32 v0, 64, v10
	v_xor_b32_e32 v1, 32, v10
	v_add_u32_e32 v11, 64, v0
	v_cmp_lt_i32_e32 vcc, v1, v11
	v_xor_b32_e32 v6, 16, v10
	v_xor_b32_e32 v8, 8, v10
	v_cndmask_b32_e32 v0, v10, v1, vcc
	v_lshlrev_b32_e32 v0, 2, v0
	v_cmp_lt_i32_e32 vcc, v6, v11
	v_xor_b32_e32 v9, 4, v10
	v_xor_b32_e32 v14, 2, v10
	v_cndmask_b32_e32 v1, v10, v6, vcc
	v_lshlrev_b32_e32 v1, 2, v1
	v_cmp_lt_i32_e32 vcc, v8, v11
	v_xor_b32_e32 v15, 1, v10
	s_load_dwordx2 s[0:1], s[0:1], 0x38
	s_mul_i32 s2, s3, s14
	s_mul_i32 s4, s4, s18
	s_add_i32 s2, s2, s19
	s_add_i32 s4, s2, s4
	s_lshl_b64 s[2:3], s[4:5], 2
	s_waitcnt lgkmcnt(0)
	s_add_u32 s2, s0, s2
	s_addc_u32 s3, s1, s3
	s_waitcnt vmcnt(0)
	ds_bpermute_b32 v4, v0, v2
	ds_bpermute_b32 v5, v0, v3
	s_waitcnt lgkmcnt(0)
	v_pk_add_f32 v[4:5], v[2:3], v[4:5]
	ds_bpermute_b32 v6, v1, v4
	ds_bpermute_b32 v7, v1, v5
	v_cndmask_b32_e32 v2, v10, v8, vcc
	v_lshlrev_b32_e32 v2, 2, v2
	v_cmp_lt_i32_e32 vcc, v9, v11
	s_waitcnt lgkmcnt(0)
	v_pk_add_f32 v[4:5], v[4:5], v[6:7]
	ds_bpermute_b32 v6, v2, v4
	ds_bpermute_b32 v7, v2, v5
	v_cndmask_b32_e32 v3, v10, v9, vcc
	v_lshlrev_b32_e32 v3, 2, v3
	v_cmp_lt_i32_e32 vcc, v14, v11
	;; [unrolled: 7-line block ×3, first 2 shown]
	s_waitcnt lgkmcnt(0)
	v_pk_add_f32 v[6:7], v[6:7], v[8:9]
	ds_bpermute_b32 v8, v4, v6
	ds_bpermute_b32 v9, v4, v7
	v_cndmask_b32_e32 v5, v10, v15, vcc
	v_lshlrev_b32_e32 v5, 2, v5
	v_or_b32_e32 v10, s19, v12
	v_cmp_gt_u32_e32 vcc, 2, v12
	s_waitcnt lgkmcnt(0)
	v_pk_add_f32 v[6:7], v[6:7], v[8:9]
	ds_bpermute_b32 v8, v5, v6
	ds_bpermute_b32 v9, v5, v7
	v_cmp_gt_u32_e64 s[0:1], s10, v10
	s_and_b64 s[0:1], vcc, s[0:1]
	s_waitcnt lgkmcnt(0)
	v_pk_add_f32 v[6:7], v[6:7], v[8:9]
	scratch_store_dwordx2 off, v[6:7], off
	s_and_saveexec_b64 s[4:5], s[0:1]
	s_cbranch_execz .LBB92_7
; %bb.6:
	scratch_load_dword v6, v13, off
	s_waitcnt vmcnt(0)
	global_store_dword v13, v6, s[2:3]
.LBB92_7:
	s_or_b64 exec, exec, s[4:5]
	scratch_load_dwordx2 v[6:7], off, off offset:8
	s_waitcnt vmcnt(0)
	ds_bpermute_b32 v8, v0, v6
	ds_bpermute_b32 v9, v0, v7
	s_waitcnt lgkmcnt(0)
	v_pk_add_f32 v[6:7], v[6:7], v[8:9]
	ds_bpermute_b32 v8, v1, v6
	ds_bpermute_b32 v9, v1, v7
	s_waitcnt lgkmcnt(0)
	v_pk_add_f32 v[6:7], v[6:7], v[8:9]
	;; [unrolled: 4-line block ×6, first 2 shown]
	scratch_store_dwordx2 off, v[6:7], off offset:8
	s_and_saveexec_b64 s[4:5], s[0:1]
	s_cbranch_execz .LBB92_9
; %bb.8:
	scratch_load_dword v8, v13, off offset:8
	v_add_u32_e32 v6, s10, v12
	v_mov_b32_e32 v7, 0
	v_lshl_add_u64 v[6:7], v[6:7], 2, s[2:3]
	s_waitcnt vmcnt(0)
	global_store_dword v[6:7], v8, off
.LBB92_9:
	s_or_b64 exec, exec, s[4:5]
	scratch_load_dwordx2 v[6:7], off, off offset:16
	s_waitcnt vmcnt(0)
	ds_bpermute_b32 v8, v0, v6
	ds_bpermute_b32 v9, v0, v7
	s_waitcnt lgkmcnt(0)
	v_pk_add_f32 v[6:7], v[6:7], v[8:9]
	ds_bpermute_b32 v8, v1, v6
	ds_bpermute_b32 v9, v1, v7
	s_waitcnt lgkmcnt(0)
	v_pk_add_f32 v[6:7], v[6:7], v[8:9]
	;; [unrolled: 4-line block ×6, first 2 shown]
	scratch_store_dwordx2 off, v[6:7], off offset:16
	s_and_saveexec_b64 s[4:5], s[0:1]
	s_cbranch_execz .LBB92_11
; %bb.10:
	scratch_load_dword v8, v13, off offset:16
	v_lshl_or_b32 v6, s10, 1, v12
	v_mov_b32_e32 v7, 0
	v_lshl_add_u64 v[6:7], v[6:7], 2, s[2:3]
	s_waitcnt vmcnt(0)
	global_store_dword v[6:7], v8, off
.LBB92_11:
	s_or_b64 exec, exec, s[4:5]
	scratch_load_dwordx2 v[6:7], off, off offset:24
	s_waitcnt vmcnt(0)
	ds_bpermute_b32 v8, v0, v6
	ds_bpermute_b32 v9, v0, v7
	s_waitcnt lgkmcnt(0)
	v_pk_add_f32 v[6:7], v[6:7], v[8:9]
	ds_bpermute_b32 v8, v1, v6
	ds_bpermute_b32 v9, v1, v7
	s_waitcnt lgkmcnt(0)
	v_pk_add_f32 v[6:7], v[6:7], v[8:9]
	;; [unrolled: 4-line block ×6, first 2 shown]
	scratch_store_dwordx2 off, v[6:7], off offset:24
	s_and_saveexec_b64 s[4:5], s[0:1]
	s_cbranch_execz .LBB92_13
; %bb.12:
	scratch_load_dword v8, v13, off offset:24
	v_mad_u64_u32 v[6:7], s[6:7], s10, 3, v[12:13]
	v_mov_b32_e32 v7, 0
	v_lshl_add_u64 v[6:7], v[6:7], 2, s[2:3]
	s_waitcnt vmcnt(0)
	global_store_dword v[6:7], v8, off
.LBB92_13:
	s_or_b64 exec, exec, s[4:5]
	scratch_load_dwordx2 v[6:7], off, off offset:32
	s_waitcnt vmcnt(0)
	ds_bpermute_b32 v8, v0, v6
	ds_bpermute_b32 v9, v0, v7
	s_waitcnt lgkmcnt(0)
	v_pk_add_f32 v[6:7], v[6:7], v[8:9]
	ds_bpermute_b32 v0, v1, v6
	ds_bpermute_b32 v1, v1, v7
	s_waitcnt lgkmcnt(0)
	v_pk_add_f32 v[0:1], v[6:7], v[0:1]
	;; [unrolled: 4-line block ×6, first 2 shown]
	scratch_store_dwordx2 off, v[0:1], off offset:32
	s_and_b64 exec, exec, s[0:1]
	s_cbranch_execz .LBB92_15
; %bb.14:
	scratch_load_dword v2, v13, off offset:32
	v_lshl_or_b32 v0, s10, 2, v12
	v_mov_b32_e32 v1, 0
	v_lshl_add_u64 v[0:1], v[0:1], 2, s[2:3]
	s_waitcnt vmcnt(0)
	global_store_dword v[0:1], v2, off
.LBB92_15:
	s_endpgm
	.section	.rodata,"a",@progbits
	.p2align	6, 0x0
	.amdhsa_kernel _ZL13mul_mat_vec_qIL9ggml_type40ELi5ELb0ELb0EEvPKvS2_PKi31ggml_cuda_mm_fusion_args_devicePfj15HIP_vector_typeIjLj3EEjjjS8_jjjS8_jjjj
		.amdhsa_group_segment_fixed_size 0
		.amdhsa_private_segment_fixed_size 48
		.amdhsa_kernarg_size 144
		.amdhsa_user_sgpr_count 2
		.amdhsa_user_sgpr_dispatch_ptr 0
		.amdhsa_user_sgpr_queue_ptr 0
		.amdhsa_user_sgpr_kernarg_segment_ptr 1
		.amdhsa_user_sgpr_dispatch_id 0
		.amdhsa_user_sgpr_kernarg_preload_length 0
		.amdhsa_user_sgpr_kernarg_preload_offset 0
		.amdhsa_user_sgpr_private_segment_size 0
		.amdhsa_uses_dynamic_stack 0
		.amdhsa_enable_private_segment 1
		.amdhsa_system_sgpr_workgroup_id_x 1
		.amdhsa_system_sgpr_workgroup_id_y 1
		.amdhsa_system_sgpr_workgroup_id_z 1
		.amdhsa_system_sgpr_workgroup_info 0
		.amdhsa_system_vgpr_workitem_id 1
		.amdhsa_next_free_vgpr 59
		.amdhsa_next_free_sgpr 30
		.amdhsa_accum_offset 60
		.amdhsa_reserve_vcc 1
		.amdhsa_float_round_mode_32 0
		.amdhsa_float_round_mode_16_64 0
		.amdhsa_float_denorm_mode_32 3
		.amdhsa_float_denorm_mode_16_64 3
		.amdhsa_dx10_clamp 1
		.amdhsa_ieee_mode 1
		.amdhsa_fp16_overflow 0
		.amdhsa_tg_split 0
		.amdhsa_exception_fp_ieee_invalid_op 0
		.amdhsa_exception_fp_denorm_src 0
		.amdhsa_exception_fp_ieee_div_zero 0
		.amdhsa_exception_fp_ieee_overflow 0
		.amdhsa_exception_fp_ieee_underflow 0
		.amdhsa_exception_fp_ieee_inexact 0
		.amdhsa_exception_int_div_zero 0
	.end_amdhsa_kernel
	.section	.text._ZL13mul_mat_vec_qIL9ggml_type40ELi5ELb0ELb0EEvPKvS2_PKi31ggml_cuda_mm_fusion_args_devicePfj15HIP_vector_typeIjLj3EEjjjS8_jjjS8_jjjj,"axG",@progbits,_ZL13mul_mat_vec_qIL9ggml_type40ELi5ELb0ELb0EEvPKvS2_PKi31ggml_cuda_mm_fusion_args_devicePfj15HIP_vector_typeIjLj3EEjjjS8_jjjS8_jjjj,comdat
.Lfunc_end92:
	.size	_ZL13mul_mat_vec_qIL9ggml_type40ELi5ELb0ELb0EEvPKvS2_PKi31ggml_cuda_mm_fusion_args_devicePfj15HIP_vector_typeIjLj3EEjjjS8_jjjS8_jjjj, .Lfunc_end92-_ZL13mul_mat_vec_qIL9ggml_type40ELi5ELb0ELb0EEvPKvS2_PKi31ggml_cuda_mm_fusion_args_devicePfj15HIP_vector_typeIjLj3EEjjjS8_jjjS8_jjjj
                                        ; -- End function
	.section	.AMDGPU.csdata,"",@progbits
; Kernel info:
; codeLenInByte = 3940
; NumSgprs: 36
; NumVgprs: 59
; NumAgprs: 0
; TotalNumVgprs: 59
; ScratchSize: 48
; MemoryBound: 0
; FloatMode: 240
; IeeeMode: 1
; LDSByteSize: 0 bytes/workgroup (compile time only)
; SGPRBlocks: 4
; VGPRBlocks: 7
; NumSGPRsForWavesPerEU: 36
; NumVGPRsForWavesPerEU: 59
; AccumOffset: 60
; Occupancy: 8
; WaveLimiterHint : 0
; COMPUTE_PGM_RSRC2:SCRATCH_EN: 1
; COMPUTE_PGM_RSRC2:USER_SGPR: 2
; COMPUTE_PGM_RSRC2:TRAP_HANDLER: 0
; COMPUTE_PGM_RSRC2:TGID_X_EN: 1
; COMPUTE_PGM_RSRC2:TGID_Y_EN: 1
; COMPUTE_PGM_RSRC2:TGID_Z_EN: 1
; COMPUTE_PGM_RSRC2:TIDIG_COMP_CNT: 1
; COMPUTE_PGM_RSRC3_GFX90A:ACCUM_OFFSET: 14
; COMPUTE_PGM_RSRC3_GFX90A:TG_SPLIT: 0
	.section	.text._ZL13mul_mat_vec_qIL9ggml_type40ELi6ELb0ELb0EEvPKvS2_PKi31ggml_cuda_mm_fusion_args_devicePfj15HIP_vector_typeIjLj3EEjjjS8_jjjS8_jjjj,"axG",@progbits,_ZL13mul_mat_vec_qIL9ggml_type40ELi6ELb0ELb0EEvPKvS2_PKi31ggml_cuda_mm_fusion_args_devicePfj15HIP_vector_typeIjLj3EEjjjS8_jjjS8_jjjj,comdat
	.globl	_ZL13mul_mat_vec_qIL9ggml_type40ELi6ELb0ELb0EEvPKvS2_PKi31ggml_cuda_mm_fusion_args_devicePfj15HIP_vector_typeIjLj3EEjjjS8_jjjS8_jjjj ; -- Begin function _ZL13mul_mat_vec_qIL9ggml_type40ELi6ELb0ELb0EEvPKvS2_PKi31ggml_cuda_mm_fusion_args_devicePfj15HIP_vector_typeIjLj3EEjjjS8_jjjS8_jjjj
	.p2align	8
	.type	_ZL13mul_mat_vec_qIL9ggml_type40ELi6ELb0ELb0EEvPKvS2_PKi31ggml_cuda_mm_fusion_args_devicePfj15HIP_vector_typeIjLj3EEjjjS8_jjjS8_jjjj,@function
_ZL13mul_mat_vec_qIL9ggml_type40ELi6ELb0ELb0EEvPKvS2_PKi31ggml_cuda_mm_fusion_args_devicePfj15HIP_vector_typeIjLj3EEjjjS8_jjjS8_jjjj: ; @_ZL13mul_mat_vec_qIL9ggml_type40ELi6ELb0ELb0EEvPKvS2_PKi31ggml_cuda_mm_fusion_args_devicePfj15HIP_vector_typeIjLj3EEjjjS8_jjjS8_jjjj
; %bb.0:
	v_bfe_u32 v27, v0, 10, 10
	v_lshlrev_b32_e32 v1, 6, v27
	v_and_b32_e32 v16, 0x3ff, v0
	s_mov_b32 s20, 0
	s_load_dword s6, s[0:1], 0x40
	s_load_dwordx4 s[8:11], s[0:1], 0x50
	s_load_dword s24, s[0:1], 0x60
	s_load_dwordx4 s[12:15], s[0:1], 0x68
	s_load_dword s5, s[0:1], 0x78
	s_load_dwordx4 s[16:19], s[0:1], 0x80
	s_mov_b32 s21, s20
	v_add_u16_e32 v0, v1, v16
	s_waitcnt lgkmcnt(0)
	s_lshl_b32 s19, s2, 1
	s_lshr_b32 s2, s6, 6
	s_mov_b32 s22, s20
	s_mov_b32 s23, s20
	v_mov_b64_e32 v[2:3], s[20:21]
	v_lshrrev_b16_e32 v32, 1, v0
	v_mov_b64_e32 v[4:5], s[22:23]
	v_cmp_gt_u32_e32 vcc, s2, v32
	v_lshlrev_b32_e32 v17, 2, v16
	scratch_store_dwordx4 off, v[2:5], off offset:32
	scratch_store_dwordx4 off, v[2:5], off offset:16
	scratch_store_dwordx4 off, v[2:5], off
	s_and_saveexec_b64 s[6:7], vcc
	s_cbranch_execz .LBB93_4
; %bb.1:
	s_load_dwordx4 s[20:23], s[0:1], 0x0
	s_mul_i32 s17, s4, s17
	s_mul_i32 s26, s17, 36
	;; [unrolled: 1-line block ×3, first 2 shown]
	s_mul_hi_u32 s25, s17, 36
	s_waitcnt lgkmcnt(0)
	s_add_u32 s28, s22, s26
	s_addc_u32 s25, s23, s25
	s_mul_i32 s26, s13, 36
	s_mul_hi_u32 s27, s13, 36
	s_add_u32 s28, s28, s26
	s_mul_hi_u32 s11, s11, s3
	s_addc_u32 s29, s25, s27
	s_add_i32 s11, s3, s11
	s_lshr_b32 s11, s11, s24
	s_mul_i32 s11, s11, s12
	s_mul_hi_u32 s12, s15, s4
	s_add_i32 s12, s4, s12
	v_and_b32_e32 v4, 1, v16
	s_lshr_b32 s5, s12, s5
	v_mad_u64_u32 v[20:21], s[12:13], v4, 36, s[28:29]
	s_mul_i32 s15, s5, s16
	s_add_i32 s13, s19, 1
	v_and_b32_e32 v2, v1, v16
	v_xor_b32_e32 v1, v1, v16
	s_mul_i32 s16, s19, s8
	s_add_i32 s12, s15, s11
	s_mul_i32 s8, s8, s13
	v_lshrrev_b16_e32 v1, 1, v1
	s_add_i32 s11, s12, s16
	s_add_i32 s8, s12, s8
	v_add_u16_e32 v1, v2, v1
	s_movk_i32 s12, 0x48
	v_mov_b64_e32 v[2:3], s[26:27]
	v_mad_u64_u32 v[2:3], s[12:13], v1, s12, v[2:3]
	v_mad_u64_u32 v[2:3], s[12:13], s17, 36, v[2:3]
	v_and_b32_e32 v0, 4, v17
	v_mov_b32_e32 v19, 0
	v_mad_u64_u32 v[2:3], s[12:13], v4, 36, v[2:3]
	v_lshrrev_b32_e32 v18, 1, v0
	s_lshl_b32 s5, s9, 1
	v_lshlrev_b32_e32 v33, 1, v32
	v_lshl_add_u64 v[22:23], s[22:23], 0, v[2:3]
	s_mul_i32 s15, s9, 3
	s_lshl_b32 s22, s9, 2
	s_mul_i32 s23, s9, 5
	s_mov_b64 s[12:13], 0
	v_lshlrev_b32_e32 v24, 2, v0
	v_mov_b32_e32 v25, v19
	s_mov_b32 s24, 0xc080604
	v_mov_b32_e32 v34, 0x3020100
	s_mov_b32 s25, 0xf4f8fafc
	v_mov_b32_e32 v35, 0xfdfeff00
	s_movk_i32 s26, 0x7f
	s_mov_b64 s[16:17], 0x900
	v_mov_b32_e32 v8, v19
	v_mov_b32_e32 v9, v19
	;; [unrolled: 1-line block ×12, first 2 shown]
.LBB93_2:                               ; =>This Inner Loop Header: Depth=1
	v_add_u32_e32 v28, s11, v32
	v_mad_i64_i32 v[40:41], s[28:29], v28, 36, s[20:21]
	v_lshl_add_u64 v[28:29], v[40:41], 0, v[24:25]
	global_load_dword v58, v[22:23], off offset:32
	global_load_dwordx4 v[12:15], v[22:23], off offset:16
	global_load_dwordx4 v[48:51], v[22:23], off
	v_mov_b32_e32 v59, 0
	global_load_dwordx4 v[28:31], v[28:29], off offset:4
	v_mov_b32_e32 v60, 0
	v_lshl_add_u64 v[22:23], v[22:23], 0, s[16:17]
	s_waitcnt vmcnt(1)
	v_cvt_f32_f16_e32 v26, v48
	s_waitcnt vmcnt(0)
	v_ashrrev_i32_e32 v37, 4, v28
	v_and_b32_e32 v36, 0x7070707, v28
	v_lshrrev_b32_e32 v28, 1, v28
	v_and_b32_e32 v28, 0x4040404, v28
	v_perm_b32 v38, s24, v34, v36
	v_perm_b32 v36, s25, v35, v36
	v_or_b32_e32 v28, 0x3020100, v28
	v_perm_b32 v36, v36, v38, v28
	v_lshrrev_b32_e32 v28, 1, v37
	v_and_b32_e32 v39, 0x7070707, v37
	v_and_b32_e32 v28, 0x4040404, v28
	v_perm_b32 v42, s24, v34, v39
	v_perm_b32 v39, s25, v35, v39
	v_or_b32_e32 v28, 0x3020100, v28
	v_perm_b32 v37, v39, v42, v28
	v_ashrrev_i32_e32 v28, 4, v29
	v_and_b32_e32 v38, 0x7070707, v29
	v_and_b32_e32 v42, 0x7070707, v28
	v_lshrrev_b32_e32 v29, 1, v29
	v_lshrrev_b32_e32 v28, 1, v28
	v_and_b32_e32 v29, 0x4040404, v29
	v_and_b32_e32 v28, 0x4040404, v28
	v_perm_b32 v39, s24, v34, v38
	v_perm_b32 v43, s24, v34, v42
	;; [unrolled: 1-line block ×4, first 2 shown]
	v_or_b32_e32 v29, 0x3020100, v29
	v_or_b32_e32 v28, 0x3020100, v28
	v_perm_b32 v38, v38, v39, v29
	v_perm_b32 v39, v42, v43, v28
	v_lshl_add_u64 v[28:29], v[40:41], 0, v[18:19]
	global_load_ushort v28, v[28:29], off
	v_ashrrev_i32_e32 v41, 4, v30
	v_and_b32_e32 v43, 0x7070707, v41
	v_perm_b32 v44, s24, v34, v43
	v_perm_b32 v43, s25, v35, v43
	v_dot4c_i32_i8_e32 v59, v36, v49
	v_dot4c_i32_i8_e32 v59, v37, v51
	;; [unrolled: 1-line block ×4, first 2 shown]
	s_waitcnt vmcnt(0)
	v_and_b32_e32 v40, 0x7f, v28
	v_cmp_ne_u16_e32 vcc, s26, v40
	v_and_b32_e32 v40, 0x7070707, v30
	v_lshrrev_b32_e32 v30, 1, v30
	v_and_b32_e32 v30, 0x4040404, v30
	v_perm_b32 v42, s24, v34, v40
	v_perm_b32 v40, s25, v35, v40
	v_or_b32_e32 v30, 0x3020100, v30
	v_perm_b32 v40, v40, v42, v30
	v_lshrrev_b32_e32 v30, 1, v41
	v_and_b32_e32 v30, 0x4040404, v30
	v_or_b32_e32 v30, 0x3020100, v30
	v_perm_b32 v41, v43, v44, v30
	v_ashrrev_i32_e32 v30, 4, v31
	v_and_b32_e32 v42, 0x7070707, v31
	v_and_b32_e32 v44, 0x7070707, v30
	v_lshrrev_b32_e32 v31, 1, v31
	v_lshrrev_b32_e32 v30, 1, v30
	v_and_b32_e32 v31, 0x4040404, v31
	v_and_b32_e32 v30, 0x4040404, v30
	v_lshrrev_b16_e32 v29, 8, v28
	v_perm_b32 v43, s24, v34, v42
	v_perm_b32 v45, s24, v34, v44
	v_perm_b32 v42, s25, v35, v42
	v_perm_b32 v44, s25, v35, v44
	v_or_b32_e32 v31, 0x3020100, v31
	v_or_b32_e32 v30, 0x3020100, v30
	v_perm_b32 v42, v42, v43, v31
	v_perm_b32 v43, v44, v45, v30
	v_and_b32_e32 v30, 0x7f, v29
	v_cndmask_b32_e32 v28, 0, v28, vcc
	v_cmp_ne_u16_e32 vcc, s26, v30
	v_and_b32_e32 v28, 0xff, v28
	v_cvt_f32_fp8_sdwa v28, v28 src0_sel:BYTE_0
	v_cndmask_b32_e32 v29, 0, v29, vcc
	v_and_b32_e32 v29, 0xffff, v29
	v_cvt_f32_fp8_sdwa v30, v29 src0_sel:BYTE_0
	v_add_u32_e32 v29, s8, v32
	v_mad_i64_i32 v[56:57], s[28:29], v29, 36, s[20:21]
	v_lshl_add_u64 v[44:45], v[56:57], 0, v[24:25]
	global_load_dwordx4 v[52:55], v[44:45], off offset:4
	v_dot4c_i32_i8_e32 v60, v40, v13
	v_dot4c_i32_i8_e32 v60, v41, v15
	;; [unrolled: 1-line block ×4, first 2 shown]
	v_add_u32_e32 v32, 32, v32
	s_waitcnt vmcnt(0)
	v_ashrrev_i32_e32 v29, 4, v52
	v_lshrrev_b32_e32 v47, 1, v52
	v_and_b32_e32 v31, 0x7070707, v52
	v_and_b32_e32 v45, 0x7070707, v29
	v_and_b32_e32 v47, 0x4040404, v47
	v_lshrrev_b32_e32 v29, 1, v29
	v_perm_b32 v44, s24, v34, v31
	v_perm_b32 v31, s25, v35, v31
	v_or_b32_e32 v47, 0x3020100, v47
	v_and_b32_e32 v29, 0x4040404, v29
	v_lshrrev_b32_e32 v52, 1, v53
	v_perm_b32 v46, s24, v34, v45
	v_perm_b32 v45, s25, v35, v45
	;; [unrolled: 1-line block ×3, first 2 shown]
	v_or_b32_e32 v29, 0x3020100, v29
	v_and_b32_e32 v31, 0x7070707, v53
	v_and_b32_e32 v52, 0x4040404, v52
	v_perm_b32 v45, v45, v46, v29
	v_ashrrev_i32_e32 v29, 4, v53
	v_perm_b32 v46, s24, v34, v31
	v_perm_b32 v31, s25, v35, v31
	v_or_b32_e32 v52, 0x3020100, v52
	v_and_b32_e32 v47, 0x7070707, v29
	v_perm_b32 v46, v31, v46, v52
	v_lshrrev_b32_e32 v29, 1, v29
	v_mov_b32_e32 v52, 0
	v_and_b32_e32 v29, 0x4040404, v29
	v_dot4c_i32_i8_e32 v52, v44, v49
	v_perm_b32 v48, s24, v34, v47
	v_perm_b32 v47, s25, v35, v47
	v_or_b32_e32 v29, 0x3020100, v29
	v_dot4c_i32_i8_e32 v52, v45, v51
	v_perm_b32 v47, v47, v48, v29
	v_dot4c_i32_i8_e32 v52, v46, v50
	v_lshl_add_u64 v[48:49], v[56:57], 0, v[18:19]
	v_dot4c_i32_i8_e32 v52, v47, v12
	global_load_ushort v12, v[48:49], off
	v_and_b32_e32 v48, 0x7070707, v54
	v_perm_b32 v49, s24, v34, v48
	v_perm_b32 v48, s25, v35, v48
	s_waitcnt vmcnt(0)
	v_and_b32_e32 v29, 0x7f, v12
	v_cmp_ne_u16_e32 vcc, s26, v29
	v_lshrrev_b16_e32 v31, 8, v12
	s_nop 0
	v_cndmask_b32_e32 v12, 0, v12, vcc
	v_and_b32_e32 v12, 0xff, v12
	v_cvt_f32_fp8_sdwa v29, v12 src0_sel:BYTE_0
	v_ashrrev_i32_e32 v12, 4, v54
	v_and_b32_e32 v50, 0x7070707, v12
	v_perm_b32 v51, s24, v34, v50
	v_perm_b32 v53, s25, v35, v50
	v_lshrrev_b32_e32 v50, 1, v54
	v_lshrrev_b32_e32 v12, 1, v12
	v_and_b32_e32 v50, 0x4040404, v50
	v_and_b32_e32 v12, 0x4040404, v12
	v_or_b32_e32 v50, 0x3020100, v50
	v_or_b32_e32 v12, 0x3020100, v12
	v_perm_b32 v50, v48, v49, v50
	v_perm_b32 v49, v53, v51, v12
	v_ashrrev_i32_e32 v12, 4, v55
	v_and_b32_e32 v48, 0x7070707, v55
	v_and_b32_e32 v53, 0x7070707, v12
	v_lshrrev_b32_e32 v55, 1, v55
	v_lshrrev_b32_e32 v12, 1, v12
	v_and_b32_e32 v55, 0x4040404, v55
	v_and_b32_e32 v12, 0x4040404, v12
	v_perm_b32 v51, s24, v34, v48
	v_perm_b32 v54, s24, v34, v53
	v_perm_b32 v48, s25, v35, v48
	v_perm_b32 v53, s25, v35, v53
	v_or_b32_e32 v55, 0x3020100, v55
	v_or_b32_e32 v12, 0x3020100, v12
	v_perm_b32 v51, v48, v51, v55
	v_perm_b32 v48, v53, v54, v12
	v_and_b32_e32 v12, 0x7f, v31
	v_mov_b32_e32 v53, 0
	v_cmp_ne_u16_e32 vcc, s26, v12
	v_dot4c_i32_i8_e32 v53, v50, v13
	v_dot4c_i32_i8_e32 v53, v49, v15
	v_cndmask_b32_e32 v12, 0, v31, vcc
	v_and_b32_e32 v12, 0xffff, v12
	v_dot4c_i32_i8_e32 v53, v51, v14
	v_cvt_f32_fp8_sdwa v31, v12 src0_sel:BYTE_0
	v_pk_mul_f32 v[14:15], v[28:29], 0.5 op_sel_hi:[1,0]
	v_cvt_f32_i32_e32 v29, v52
	v_cvt_f32_i32_e32 v28, v59
	v_dot4c_i32_i8_e32 v53, v48, v58
	v_cvt_f32_i32_e32 v52, v60
	v_pk_mul_f32 v[12:13], v[14:15], v[26:27] op_sel_hi:[1,0]
	v_cmp_le_u32_e32 vcc, s2, v32
	v_cvt_f32_i32_e32 v53, v53
	v_pk_fma_f32 v[28:29], v[12:13], v[28:29], 0 op_sel_hi:[1,1,0]
	v_pk_mul_f32 v[12:13], v[30:31], 0.5 op_sel_hi:[1,0]
	s_nop 0
	v_pk_mul_f32 v[30:31], v[12:13], v[26:27] op_sel_hi:[1,0]
	v_add_u32_e32 v26, s9, v33
	v_pk_fma_f32 v[28:29], v[30:31], v[52:53], v[28:29]
	v_mad_u64_u32 v[56:57], s[28:29], v26, 36, v[20:21]
	v_pk_add_f32 v[8:9], v[8:9], v[28:29]
	global_load_dword v58, v[56:57], off offset:32
	global_load_dwordx4 v[28:31], v[56:57], off offset:16
	global_load_dwordx4 v[52:55], v[56:57], off
	v_mov_b32_e32 v57, 0
	v_mov_b32_e32 v56, 0
	s_add_i32 s9, s9, 64
	s_waitcnt vmcnt(1)
	v_dot4c_i32_i8_e32 v56, v40, v29
	s_waitcnt vmcnt(0)
	v_cvt_f32_f16_e32 v26, v52
	v_mov_b32_e32 v52, 0
	v_dot4c_i32_i8_e32 v52, v36, v53
	v_dot4c_i32_i8_e32 v57, v44, v53
	v_mov_b32_e32 v53, 0
	v_dot4c_i32_i8_e32 v52, v37, v55
	v_dot4c_i32_i8_e32 v57, v45, v55
	v_dot4c_i32_i8_e32 v53, v50, v29
	v_dot4c_i32_i8_e32 v52, v38, v54
	v_dot4c_i32_i8_e32 v56, v41, v31
	v_dot4c_i32_i8_e32 v57, v46, v54
	v_dot4c_i32_i8_e32 v53, v49, v31
	v_dot4c_i32_i8_e32 v52, v39, v28
	v_dot4c_i32_i8_e32 v56, v42, v30
	v_dot4c_i32_i8_e32 v57, v47, v28
	v_dot4c_i32_i8_e32 v53, v51, v30
	v_dot4c_i32_i8_e32 v56, v43, v58
	v_dot4c_i32_i8_e32 v53, v48, v58
	v_cvt_f32_i32_e32 v31, v57
	v_cvt_f32_i32_e32 v30, v52
	v_cvt_f32_i32_e32 v52, v56
	v_cvt_f32_i32_e32 v53, v53
	v_pk_mul_f32 v[28:29], v[14:15], v[26:27] op_sel_hi:[1,0]
	s_nop 0
	v_pk_fma_f32 v[28:29], v[28:29], v[30:31], 0 op_sel_hi:[1,1,0]
	v_pk_mul_f32 v[30:31], v[12:13], v[26:27] op_sel_hi:[1,0]
	v_add_u32_e32 v26, s5, v33
	v_pk_fma_f32 v[28:29], v[30:31], v[52:53], v[28:29]
	v_mad_u64_u32 v[56:57], s[28:29], v26, 36, v[20:21]
	v_pk_add_f32 v[10:11], v[10:11], v[28:29]
	global_load_dword v58, v[56:57], off offset:32
	global_load_dwordx4 v[28:31], v[56:57], off offset:16
	global_load_dwordx4 v[52:55], v[56:57], off
	v_mov_b32_e32 v57, 0
	v_mov_b32_e32 v56, 0
	s_add_i32 s5, s5, 64
	s_waitcnt vmcnt(1)
	v_dot4c_i32_i8_e32 v56, v40, v29
	s_waitcnt vmcnt(0)
	v_cvt_f32_f16_e32 v26, v52
	v_mov_b32_e32 v52, 0
	v_dot4c_i32_i8_e32 v52, v36, v53
	v_dot4c_i32_i8_e32 v57, v44, v53
	v_mov_b32_e32 v53, 0
	v_dot4c_i32_i8_e32 v52, v37, v55
	v_dot4c_i32_i8_e32 v57, v45, v55
	v_dot4c_i32_i8_e32 v53, v50, v29
	v_dot4c_i32_i8_e32 v52, v38, v54
	v_dot4c_i32_i8_e32 v56, v41, v31
	v_dot4c_i32_i8_e32 v57, v46, v54
	v_dot4c_i32_i8_e32 v53, v49, v31
	v_dot4c_i32_i8_e32 v52, v39, v28
	v_dot4c_i32_i8_e32 v56, v42, v30
	v_dot4c_i32_i8_e32 v57, v47, v28
	v_dot4c_i32_i8_e32 v53, v51, v30
	v_dot4c_i32_i8_e32 v56, v43, v58
	v_dot4c_i32_i8_e32 v53, v48, v58
	v_cvt_f32_i32_e32 v31, v57
	v_cvt_f32_i32_e32 v30, v52
	v_cvt_f32_i32_e32 v52, v56
	v_cvt_f32_i32_e32 v53, v53
	v_pk_mul_f32 v[28:29], v[14:15], v[26:27] op_sel_hi:[1,0]
	s_nop 0
	v_pk_fma_f32 v[28:29], v[28:29], v[30:31], 0 op_sel_hi:[1,1,0]
	;; [unrolled: 39-line block ×4, first 2 shown]
	v_pk_mul_f32 v[30:31], v[12:13], v[26:27] op_sel_hi:[1,0]
	v_add_u32_e32 v26, s23, v33
	v_pk_fma_f32 v[28:29], v[30:31], v[52:53], v[28:29]
	v_mad_u64_u32 v[56:57], s[28:29], v26, 36, v[20:21]
	v_pk_add_f32 v[0:1], v[0:1], v[28:29]
	global_load_dword v58, v[56:57], off offset:32
	global_load_dwordx4 v[28:31], v[56:57], off offset:16
	global_load_dwordx4 v[52:55], v[56:57], off
	s_add_i32 s23, s23, 64
	s_or_b64 s[12:13], vcc, s[12:13]
	s_waitcnt vmcnt(0)
	v_cvt_f32_f16_e32 v26, v52
	v_mov_b32_e32 v52, 0
	v_dot4c_i32_i8_e32 v52, v36, v53
	v_dot4c_i32_i8_e32 v52, v37, v55
	v_mov_b32_e32 v37, 0
	v_dot4c_i32_i8_e32 v37, v44, v53
	v_dot4c_i32_i8_e32 v37, v45, v55
	;; [unrolled: 1-line block ×5, first 2 shown]
	v_mov_b32_e32 v36, 0
	v_dot4c_i32_i8_e32 v37, v47, v28
	v_mov_b32_e32 v38, 0
	v_dot4c_i32_i8_e32 v36, v40, v29
	v_dot4c_i32_i8_e32 v38, v50, v29
	v_cvt_f32_i32_e32 v29, v37
	v_cvt_f32_i32_e32 v28, v52
	v_dot4c_i32_i8_e32 v36, v41, v31
	v_dot4c_i32_i8_e32 v38, v49, v31
	;; [unrolled: 1-line block ×6, first 2 shown]
	v_pk_mul_f32 v[14:15], v[14:15], v[26:27] op_sel_hi:[1,0]
	v_pk_mul_f32 v[12:13], v[12:13], v[26:27] op_sel_hi:[1,0]
	v_pk_fma_f32 v[14:15], v[14:15], v[28:29], 0 op_sel_hi:[1,1,0]
	v_cvt_f32_i32_e32 v29, v38
	v_cvt_f32_i32_e32 v28, v36
	v_pk_fma_f32 v[12:13], v[12:13], v[28:29], v[14:15]
	s_nop 0
	v_pk_add_f32 v[2:3], v[2:3], v[12:13]
	s_andn2_b64 exec, exec, s[12:13]
	s_cbranch_execnz .LBB93_2
; %bb.3:
	s_or_b64 exec, exec, s[12:13]
	scratch_store_dwordx4 off, v[8:11], off
	scratch_store_dwordx4 off, v[4:7], off offset:16
	scratch_store_dwordx4 off, v[0:3], off offset:32
.LBB93_4:
	s_or_b64 exec, exec, s[6:7]
	s_mov_b32 s5, 0
	v_cmp_eq_u32_e32 vcc, 0, v27
	s_waitcnt lgkmcnt(0)
	; wave barrier
	s_and_saveexec_b64 s[6:7], vcc
	s_cbranch_execz .LBB93_17
; %bb.5:
	scratch_load_dwordx2 v[2:3], off, off
	v_mbcnt_lo_u32_b32 v0, -1, 0
	v_mbcnt_hi_u32_b32 v10, -1, v0
	v_and_b32_e32 v0, 64, v10
	v_xor_b32_e32 v1, 32, v10
	v_add_u32_e32 v11, 64, v0
	v_cmp_lt_i32_e32 vcc, v1, v11
	v_xor_b32_e32 v6, 16, v10
	v_xor_b32_e32 v8, 8, v10
	v_cndmask_b32_e32 v0, v10, v1, vcc
	v_lshlrev_b32_e32 v0, 2, v0
	v_cmp_lt_i32_e32 vcc, v6, v11
	v_xor_b32_e32 v9, 4, v10
	v_xor_b32_e32 v12, 2, v10
	v_cndmask_b32_e32 v1, v10, v6, vcc
	v_lshlrev_b32_e32 v1, 2, v1
	v_cmp_lt_i32_e32 vcc, v8, v11
	v_xor_b32_e32 v13, 1, v10
	s_load_dwordx2 s[0:1], s[0:1], 0x38
	s_mul_i32 s2, s3, s14
	s_mul_i32 s4, s4, s18
	s_add_i32 s2, s2, s19
	s_add_i32 s4, s2, s4
	s_lshl_b64 s[2:3], s[4:5], 2
	s_waitcnt lgkmcnt(0)
	s_add_u32 s2, s0, s2
	s_addc_u32 s3, s1, s3
	s_waitcnt vmcnt(0)
	ds_bpermute_b32 v4, v0, v2
	ds_bpermute_b32 v5, v0, v3
	s_waitcnt lgkmcnt(0)
	v_pk_add_f32 v[4:5], v[2:3], v[4:5]
	ds_bpermute_b32 v6, v1, v4
	ds_bpermute_b32 v7, v1, v5
	v_cndmask_b32_e32 v2, v10, v8, vcc
	v_lshlrev_b32_e32 v2, 2, v2
	v_cmp_lt_i32_e32 vcc, v9, v11
	s_waitcnt lgkmcnt(0)
	v_pk_add_f32 v[4:5], v[4:5], v[6:7]
	ds_bpermute_b32 v6, v2, v4
	ds_bpermute_b32 v7, v2, v5
	v_cndmask_b32_e32 v3, v10, v9, vcc
	v_lshlrev_b32_e32 v3, 2, v3
	v_cmp_lt_i32_e32 vcc, v12, v11
	;; [unrolled: 7-line block ×3, first 2 shown]
	s_waitcnt lgkmcnt(0)
	v_pk_add_f32 v[6:7], v[6:7], v[8:9]
	ds_bpermute_b32 v8, v4, v6
	ds_bpermute_b32 v9, v4, v7
	v_cndmask_b32_e32 v5, v10, v13, vcc
	v_lshlrev_b32_e32 v5, 2, v5
	v_or_b32_e32 v10, s19, v16
	v_cmp_gt_u32_e32 vcc, 2, v16
	s_waitcnt lgkmcnt(0)
	v_pk_add_f32 v[6:7], v[6:7], v[8:9]
	ds_bpermute_b32 v8, v5, v6
	ds_bpermute_b32 v9, v5, v7
	v_cmp_gt_u32_e64 s[0:1], s10, v10
	s_and_b64 s[0:1], vcc, s[0:1]
	s_waitcnt lgkmcnt(0)
	v_pk_add_f32 v[6:7], v[6:7], v[8:9]
	scratch_store_dwordx2 off, v[6:7], off
	s_and_saveexec_b64 s[4:5], s[0:1]
	s_cbranch_execz .LBB93_7
; %bb.6:
	scratch_load_dword v6, v17, off
	s_waitcnt vmcnt(0)
	global_store_dword v17, v6, s[2:3]
.LBB93_7:
	s_or_b64 exec, exec, s[4:5]
	scratch_load_dwordx2 v[6:7], off, off offset:8
	s_waitcnt vmcnt(0)
	ds_bpermute_b32 v8, v0, v6
	ds_bpermute_b32 v9, v0, v7
	s_waitcnt lgkmcnt(0)
	v_pk_add_f32 v[6:7], v[6:7], v[8:9]
	ds_bpermute_b32 v8, v1, v6
	ds_bpermute_b32 v9, v1, v7
	s_waitcnt lgkmcnt(0)
	v_pk_add_f32 v[6:7], v[6:7], v[8:9]
	;; [unrolled: 4-line block ×6, first 2 shown]
	scratch_store_dwordx2 off, v[6:7], off offset:8
	s_and_saveexec_b64 s[4:5], s[0:1]
	s_cbranch_execz .LBB93_9
; %bb.8:
	scratch_load_dword v8, v17, off offset:8
	v_add_u32_e32 v6, s10, v16
	v_mov_b32_e32 v7, 0
	v_lshl_add_u64 v[6:7], v[6:7], 2, s[2:3]
	s_waitcnt vmcnt(0)
	global_store_dword v[6:7], v8, off
.LBB93_9:
	s_or_b64 exec, exec, s[4:5]
	scratch_load_dwordx2 v[6:7], off, off offset:16
	s_waitcnt vmcnt(0)
	ds_bpermute_b32 v8, v0, v6
	ds_bpermute_b32 v9, v0, v7
	s_waitcnt lgkmcnt(0)
	v_pk_add_f32 v[6:7], v[6:7], v[8:9]
	ds_bpermute_b32 v8, v1, v6
	ds_bpermute_b32 v9, v1, v7
	s_waitcnt lgkmcnt(0)
	v_pk_add_f32 v[6:7], v[6:7], v[8:9]
	ds_bpermute_b32 v8, v2, v6
	ds_bpermute_b32 v9, v2, v7
	s_waitcnt lgkmcnt(0)
	v_pk_add_f32 v[6:7], v[6:7], v[8:9]
	ds_bpermute_b32 v8, v3, v6
	ds_bpermute_b32 v9, v3, v7
	s_waitcnt lgkmcnt(0)
	v_pk_add_f32 v[6:7], v[6:7], v[8:9]
	ds_bpermute_b32 v8, v4, v6
	ds_bpermute_b32 v9, v4, v7
	s_waitcnt lgkmcnt(0)
	v_pk_add_f32 v[6:7], v[6:7], v[8:9]
	ds_bpermute_b32 v8, v5, v6
	ds_bpermute_b32 v9, v5, v7
	s_waitcnt lgkmcnt(0)
	v_pk_add_f32 v[6:7], v[6:7], v[8:9]
	scratch_store_dwordx2 off, v[6:7], off offset:16
	s_and_saveexec_b64 s[4:5], s[0:1]
	s_cbranch_execz .LBB93_11
; %bb.10:
	scratch_load_dword v8, v17, off offset:16
	v_lshl_or_b32 v6, s10, 1, v16
	v_mov_b32_e32 v7, 0
	v_lshl_add_u64 v[6:7], v[6:7], 2, s[2:3]
	s_waitcnt vmcnt(0)
	global_store_dword v[6:7], v8, off
.LBB93_11:
	s_or_b64 exec, exec, s[4:5]
	scratch_load_dwordx2 v[6:7], off, off offset:24
	s_waitcnt vmcnt(0)
	ds_bpermute_b32 v8, v0, v6
	ds_bpermute_b32 v9, v0, v7
	s_waitcnt lgkmcnt(0)
	v_pk_add_f32 v[6:7], v[6:7], v[8:9]
	ds_bpermute_b32 v8, v1, v6
	ds_bpermute_b32 v9, v1, v7
	s_waitcnt lgkmcnt(0)
	v_pk_add_f32 v[6:7], v[6:7], v[8:9]
	;; [unrolled: 4-line block ×6, first 2 shown]
	scratch_store_dwordx2 off, v[6:7], off offset:24
	s_and_saveexec_b64 s[4:5], s[0:1]
	s_cbranch_execz .LBB93_13
; %bb.12:
	scratch_load_dword v8, v17, off offset:24
	v_mad_u64_u32 v[6:7], s[6:7], s10, 3, v[16:17]
	v_mov_b32_e32 v7, 0
	v_lshl_add_u64 v[6:7], v[6:7], 2, s[2:3]
	s_waitcnt vmcnt(0)
	global_store_dword v[6:7], v8, off
.LBB93_13:
	s_or_b64 exec, exec, s[4:5]
	scratch_load_dwordx2 v[6:7], off, off offset:32
	s_waitcnt vmcnt(0)
	ds_bpermute_b32 v8, v0, v6
	ds_bpermute_b32 v9, v0, v7
	s_waitcnt lgkmcnt(0)
	v_pk_add_f32 v[6:7], v[6:7], v[8:9]
	ds_bpermute_b32 v8, v1, v6
	ds_bpermute_b32 v9, v1, v7
	s_waitcnt lgkmcnt(0)
	v_pk_add_f32 v[6:7], v[6:7], v[8:9]
	;; [unrolled: 4-line block ×6, first 2 shown]
	scratch_store_dwordx2 off, v[6:7], off offset:32
	s_and_saveexec_b64 s[4:5], s[0:1]
	s_cbranch_execz .LBB93_15
; %bb.14:
	scratch_load_dword v8, v17, off offset:32
	v_lshl_or_b32 v6, s10, 2, v16
	v_mov_b32_e32 v7, 0
	v_lshl_add_u64 v[6:7], v[6:7], 2, s[2:3]
	s_waitcnt vmcnt(0)
	global_store_dword v[6:7], v8, off
.LBB93_15:
	s_or_b64 exec, exec, s[4:5]
	scratch_load_dwordx2 v[6:7], off, off offset:40
	s_waitcnt vmcnt(0)
	ds_bpermute_b32 v8, v0, v6
	ds_bpermute_b32 v9, v0, v7
	s_waitcnt lgkmcnt(0)
	v_pk_add_f32 v[6:7], v[6:7], v[8:9]
	ds_bpermute_b32 v0, v1, v6
	ds_bpermute_b32 v1, v1, v7
	s_waitcnt lgkmcnt(0)
	v_pk_add_f32 v[0:1], v[6:7], v[0:1]
	;; [unrolled: 4-line block ×6, first 2 shown]
	scratch_store_dwordx2 off, v[0:1], off offset:40
	s_and_b64 exec, exec, s[0:1]
	s_cbranch_execz .LBB93_17
; %bb.16:
	scratch_load_dword v2, v17, off offset:40
	v_mad_u64_u32 v[0:1], s[0:1], s10, 5, v[16:17]
	v_mov_b32_e32 v1, 0
	v_lshl_add_u64 v[0:1], v[0:1], 2, s[2:3]
	s_waitcnt vmcnt(0)
	global_store_dword v[0:1], v2, off
.LBB93_17:
	s_endpgm
	.section	.rodata,"a",@progbits
	.p2align	6, 0x0
	.amdhsa_kernel _ZL13mul_mat_vec_qIL9ggml_type40ELi6ELb0ELb0EEvPKvS2_PKi31ggml_cuda_mm_fusion_args_devicePfj15HIP_vector_typeIjLj3EEjjjS8_jjjS8_jjjj
		.amdhsa_group_segment_fixed_size 0
		.amdhsa_private_segment_fixed_size 64
		.amdhsa_kernarg_size 144
		.amdhsa_user_sgpr_count 2
		.amdhsa_user_sgpr_dispatch_ptr 0
		.amdhsa_user_sgpr_queue_ptr 0
		.amdhsa_user_sgpr_kernarg_segment_ptr 1
		.amdhsa_user_sgpr_dispatch_id 0
		.amdhsa_user_sgpr_kernarg_preload_length 0
		.amdhsa_user_sgpr_kernarg_preload_offset 0
		.amdhsa_user_sgpr_private_segment_size 0
		.amdhsa_uses_dynamic_stack 0
		.amdhsa_enable_private_segment 1
		.amdhsa_system_sgpr_workgroup_id_x 1
		.amdhsa_system_sgpr_workgroup_id_y 1
		.amdhsa_system_sgpr_workgroup_id_z 1
		.amdhsa_system_sgpr_workgroup_info 0
		.amdhsa_system_vgpr_workitem_id 1
		.amdhsa_next_free_vgpr 61
		.amdhsa_next_free_sgpr 30
		.amdhsa_accum_offset 64
		.amdhsa_reserve_vcc 1
		.amdhsa_float_round_mode_32 0
		.amdhsa_float_round_mode_16_64 0
		.amdhsa_float_denorm_mode_32 3
		.amdhsa_float_denorm_mode_16_64 3
		.amdhsa_dx10_clamp 1
		.amdhsa_ieee_mode 1
		.amdhsa_fp16_overflow 0
		.amdhsa_tg_split 0
		.amdhsa_exception_fp_ieee_invalid_op 0
		.amdhsa_exception_fp_denorm_src 0
		.amdhsa_exception_fp_ieee_div_zero 0
		.amdhsa_exception_fp_ieee_overflow 0
		.amdhsa_exception_fp_ieee_underflow 0
		.amdhsa_exception_fp_ieee_inexact 0
		.amdhsa_exception_int_div_zero 0
	.end_amdhsa_kernel
	.section	.text._ZL13mul_mat_vec_qIL9ggml_type40ELi6ELb0ELb0EEvPKvS2_PKi31ggml_cuda_mm_fusion_args_devicePfj15HIP_vector_typeIjLj3EEjjjS8_jjjS8_jjjj,"axG",@progbits,_ZL13mul_mat_vec_qIL9ggml_type40ELi6ELb0ELb0EEvPKvS2_PKi31ggml_cuda_mm_fusion_args_devicePfj15HIP_vector_typeIjLj3EEjjjS8_jjjS8_jjjj,comdat
.Lfunc_end93:
	.size	_ZL13mul_mat_vec_qIL9ggml_type40ELi6ELb0ELb0EEvPKvS2_PKi31ggml_cuda_mm_fusion_args_devicePfj15HIP_vector_typeIjLj3EEjjjS8_jjjS8_jjjj, .Lfunc_end93-_ZL13mul_mat_vec_qIL9ggml_type40ELi6ELb0ELb0EEvPKvS2_PKi31ggml_cuda_mm_fusion_args_devicePfj15HIP_vector_typeIjLj3EEjjjS8_jjjS8_jjjj
                                        ; -- End function
	.section	.AMDGPU.csdata,"",@progbits
; Kernel info:
; codeLenInByte = 4392
; NumSgprs: 36
; NumVgprs: 61
; NumAgprs: 0
; TotalNumVgprs: 61
; ScratchSize: 64
; MemoryBound: 0
; FloatMode: 240
; IeeeMode: 1
; LDSByteSize: 0 bytes/workgroup (compile time only)
; SGPRBlocks: 4
; VGPRBlocks: 7
; NumSGPRsForWavesPerEU: 36
; NumVGPRsForWavesPerEU: 61
; AccumOffset: 64
; Occupancy: 8
; WaveLimiterHint : 0
; COMPUTE_PGM_RSRC2:SCRATCH_EN: 1
; COMPUTE_PGM_RSRC2:USER_SGPR: 2
; COMPUTE_PGM_RSRC2:TRAP_HANDLER: 0
; COMPUTE_PGM_RSRC2:TGID_X_EN: 1
; COMPUTE_PGM_RSRC2:TGID_Y_EN: 1
; COMPUTE_PGM_RSRC2:TGID_Z_EN: 1
; COMPUTE_PGM_RSRC2:TIDIG_COMP_CNT: 1
; COMPUTE_PGM_RSRC3_GFX90A:ACCUM_OFFSET: 15
; COMPUTE_PGM_RSRC3_GFX90A:TG_SPLIT: 0
	.section	.text._ZL13mul_mat_vec_qIL9ggml_type40ELi7ELb0ELb0EEvPKvS2_PKi31ggml_cuda_mm_fusion_args_devicePfj15HIP_vector_typeIjLj3EEjjjS8_jjjS8_jjjj,"axG",@progbits,_ZL13mul_mat_vec_qIL9ggml_type40ELi7ELb0ELb0EEvPKvS2_PKi31ggml_cuda_mm_fusion_args_devicePfj15HIP_vector_typeIjLj3EEjjjS8_jjjS8_jjjj,comdat
	.globl	_ZL13mul_mat_vec_qIL9ggml_type40ELi7ELb0ELb0EEvPKvS2_PKi31ggml_cuda_mm_fusion_args_devicePfj15HIP_vector_typeIjLj3EEjjjS8_jjjS8_jjjj ; -- Begin function _ZL13mul_mat_vec_qIL9ggml_type40ELi7ELb0ELb0EEvPKvS2_PKi31ggml_cuda_mm_fusion_args_devicePfj15HIP_vector_typeIjLj3EEjjjS8_jjjS8_jjjj
	.p2align	8
	.type	_ZL13mul_mat_vec_qIL9ggml_type40ELi7ELb0ELb0EEvPKvS2_PKi31ggml_cuda_mm_fusion_args_devicePfj15HIP_vector_typeIjLj3EEjjjS8_jjjS8_jjjj,@function
_ZL13mul_mat_vec_qIL9ggml_type40ELi7ELb0ELb0EEvPKvS2_PKi31ggml_cuda_mm_fusion_args_devicePfj15HIP_vector_typeIjLj3EEjjjS8_jjjS8_jjjj: ; @_ZL13mul_mat_vec_qIL9ggml_type40ELi7ELb0ELb0EEvPKvS2_PKi31ggml_cuda_mm_fusion_args_devicePfj15HIP_vector_typeIjLj3EEjjjS8_jjjS8_jjjj
; %bb.0:
	v_bfe_u32 v29, v0, 10, 10
	v_lshlrev_b32_e32 v1, 6, v29
	v_and_b32_e32 v16, 0x3ff, v0
	s_mov_b32 s20, 0
	s_load_dword s6, s[0:1], 0x40
	s_load_dwordx4 s[8:11], s[0:1], 0x50
	s_load_dword s24, s[0:1], 0x60
	s_load_dwordx4 s[12:15], s[0:1], 0x68
	;; [unrolled: 2-line block ×3, first 2 shown]
	s_mov_b32 s21, s20
	v_add_u16_e32 v0, v1, v16
	s_waitcnt lgkmcnt(0)
	s_lshl_b32 s19, s2, 1
	s_lshr_b32 s2, s6, 6
	v_mov_b32_e32 v19, 0
	s_mov_b32 s22, s20
	s_mov_b32 s23, s20
	v_mov_b64_e32 v[2:3], s[20:21]
	v_lshrrev_b16_e32 v34, 1, v0
	v_mov_b32_e32 v18, v19
	v_mov_b64_e32 v[4:5], s[22:23]
	v_cmp_gt_u32_e32 vcc, s2, v34
	v_lshlrev_b32_e32 v17, 2, v16
	scratch_store_dwordx2 off, v[18:19], off offset:48
	scratch_store_dwordx4 off, v[2:5], off offset:32
	scratch_store_dwordx4 off, v[2:5], off offset:16
	scratch_store_dwordx4 off, v[2:5], off
	s_and_saveexec_b64 s[6:7], vcc
	s_cbranch_execz .LBB94_4
; %bb.1:
	s_load_dwordx4 s[20:23], s[0:1], 0x0
	s_mul_i32 s17, s4, s17
	s_mul_i32 s26, s17, 36
	;; [unrolled: 1-line block ×3, first 2 shown]
	s_mul_hi_u32 s25, s17, 36
	s_waitcnt lgkmcnt(0)
	s_add_u32 s28, s22, s26
	s_addc_u32 s25, s23, s25
	s_mul_i32 s26, s13, 36
	s_mul_hi_u32 s27, s13, 36
	s_add_u32 s28, s28, s26
	s_mul_hi_u32 s11, s11, s3
	s_addc_u32 s29, s25, s27
	s_add_i32 s11, s3, s11
	s_lshr_b32 s11, s11, s24
	s_mul_i32 s11, s11, s12
	s_mul_hi_u32 s12, s15, s4
	s_add_i32 s12, s4, s12
	v_and_b32_e32 v4, 1, v16
	s_lshr_b32 s5, s12, s5
	v_mad_u64_u32 v[20:21], s[12:13], v4, 36, s[28:29]
	s_mul_i32 s15, s5, s16
	s_add_i32 s13, s19, 1
	v_and_b32_e32 v2, v1, v16
	v_xor_b32_e32 v1, v1, v16
	s_mul_i32 s16, s19, s8
	s_add_i32 s12, s15, s11
	s_mul_i32 s8, s8, s13
	v_lshrrev_b16_e32 v1, 1, v1
	s_add_i32 s11, s12, s16
	s_add_i32 s8, s12, s8
	v_add_u16_e32 v1, v2, v1
	s_movk_i32 s12, 0x48
	v_mov_b64_e32 v[2:3], s[26:27]
	v_mad_u64_u32 v[2:3], s[12:13], v1, s12, v[2:3]
	v_mad_u64_u32 v[2:3], s[12:13], s17, 36, v[2:3]
	v_and_b32_e32 v0, 4, v17
	v_mad_u64_u32 v[2:3], s[12:13], v4, 36, v[2:3]
	v_lshrrev_b32_e32 v18, 1, v0
	s_lshl_b32 s5, s9, 1
	v_lshlrev_b32_e32 v35, 1, v34
	v_lshl_add_u64 v[22:23], s[22:23], 0, v[2:3]
	s_mul_i32 s15, s9, 3
	s_lshl_b32 s22, s9, 2
	s_mul_i32 s23, s9, 5
	s_mul_i32 s24, s9, 6
	s_mov_b64 s[12:13], 0
	v_lshlrev_b32_e32 v24, 2, v0
	v_mov_b32_e32 v25, v19
	s_mov_b32 s25, 0xc080604
	v_mov_b32_e32 v36, 0x3020100
	s_mov_b32 s26, 0xf4f8fafc
	v_mov_b32_e32 v37, 0xfdfeff00
	s_movk_i32 s27, 0x7f
	s_mov_b64 s[16:17], 0x900
	v_mov_b32_e32 v8, v19
	v_mov_b32_e32 v9, v19
	;; [unrolled: 1-line block ×14, first 2 shown]
.LBB94_2:                               ; =>This Inner Loop Header: Depth=1
	v_add_u32_e32 v30, s11, v34
	v_mad_i64_i32 v[42:43], s[28:29], v30, 36, s[20:21]
	v_lshl_add_u64 v[30:31], v[42:43], 0, v[24:25]
	global_load_dword v60, v[22:23], off offset:32
	global_load_dwordx4 v[12:15], v[22:23], off offset:16
	global_load_dwordx4 v[50:53], v[22:23], off
	v_mov_b32_e32 v61, 0
	global_load_dwordx4 v[30:33], v[30:31], off offset:4
	v_mov_b32_e32 v62, 0
	v_lshl_add_u64 v[22:23], v[22:23], 0, s[16:17]
	s_waitcnt vmcnt(1)
	v_cvt_f32_f16_e32 v28, v50
	s_waitcnt vmcnt(0)
	v_ashrrev_i32_e32 v39, 4, v30
	v_and_b32_e32 v38, 0x7070707, v30
	v_lshrrev_b32_e32 v30, 1, v30
	v_and_b32_e32 v30, 0x4040404, v30
	v_perm_b32 v40, s25, v36, v38
	v_perm_b32 v38, s26, v37, v38
	v_or_b32_e32 v30, 0x3020100, v30
	v_perm_b32 v38, v38, v40, v30
	v_lshrrev_b32_e32 v30, 1, v39
	v_and_b32_e32 v41, 0x7070707, v39
	v_and_b32_e32 v30, 0x4040404, v30
	v_perm_b32 v44, s25, v36, v41
	v_perm_b32 v41, s26, v37, v41
	v_or_b32_e32 v30, 0x3020100, v30
	v_perm_b32 v39, v41, v44, v30
	v_ashrrev_i32_e32 v30, 4, v31
	v_and_b32_e32 v40, 0x7070707, v31
	v_and_b32_e32 v44, 0x7070707, v30
	v_lshrrev_b32_e32 v31, 1, v31
	v_lshrrev_b32_e32 v30, 1, v30
	v_and_b32_e32 v31, 0x4040404, v31
	v_and_b32_e32 v30, 0x4040404, v30
	v_perm_b32 v41, s25, v36, v40
	v_perm_b32 v45, s25, v36, v44
	;; [unrolled: 1-line block ×4, first 2 shown]
	v_or_b32_e32 v31, 0x3020100, v31
	v_or_b32_e32 v30, 0x3020100, v30
	v_perm_b32 v40, v40, v41, v31
	v_perm_b32 v41, v44, v45, v30
	v_lshl_add_u64 v[30:31], v[42:43], 0, v[18:19]
	global_load_ushort v30, v[30:31], off
	v_ashrrev_i32_e32 v43, 4, v32
	v_and_b32_e32 v45, 0x7070707, v43
	v_perm_b32 v46, s25, v36, v45
	v_perm_b32 v45, s26, v37, v45
	v_dot4c_i32_i8_e32 v61, v38, v51
	v_dot4c_i32_i8_e32 v61, v39, v53
	;; [unrolled: 1-line block ×4, first 2 shown]
	s_waitcnt vmcnt(0)
	v_and_b32_e32 v42, 0x7f, v30
	v_cmp_ne_u16_e32 vcc, s27, v42
	v_and_b32_e32 v42, 0x7070707, v32
	v_lshrrev_b32_e32 v32, 1, v32
	v_and_b32_e32 v32, 0x4040404, v32
	v_perm_b32 v44, s25, v36, v42
	v_perm_b32 v42, s26, v37, v42
	v_or_b32_e32 v32, 0x3020100, v32
	v_perm_b32 v42, v42, v44, v32
	v_lshrrev_b32_e32 v32, 1, v43
	v_and_b32_e32 v32, 0x4040404, v32
	v_or_b32_e32 v32, 0x3020100, v32
	v_perm_b32 v43, v45, v46, v32
	v_ashrrev_i32_e32 v32, 4, v33
	v_and_b32_e32 v44, 0x7070707, v33
	v_and_b32_e32 v46, 0x7070707, v32
	v_lshrrev_b32_e32 v33, 1, v33
	v_lshrrev_b32_e32 v32, 1, v32
	v_and_b32_e32 v33, 0x4040404, v33
	v_and_b32_e32 v32, 0x4040404, v32
	v_lshrrev_b16_e32 v31, 8, v30
	v_perm_b32 v45, s25, v36, v44
	v_perm_b32 v47, s25, v36, v46
	;; [unrolled: 1-line block ×4, first 2 shown]
	v_or_b32_e32 v33, 0x3020100, v33
	v_or_b32_e32 v32, 0x3020100, v32
	v_perm_b32 v44, v44, v45, v33
	v_perm_b32 v45, v46, v47, v32
	v_and_b32_e32 v32, 0x7f, v31
	v_cndmask_b32_e32 v30, 0, v30, vcc
	v_cmp_ne_u16_e32 vcc, s27, v32
	v_and_b32_e32 v30, 0xff, v30
	v_cvt_f32_fp8_sdwa v30, v30 src0_sel:BYTE_0
	v_cndmask_b32_e32 v31, 0, v31, vcc
	v_and_b32_e32 v31, 0xffff, v31
	v_cvt_f32_fp8_sdwa v32, v31 src0_sel:BYTE_0
	v_add_u32_e32 v31, s8, v34
	v_mad_i64_i32 v[58:59], s[28:29], v31, 36, s[20:21]
	v_lshl_add_u64 v[46:47], v[58:59], 0, v[24:25]
	global_load_dwordx4 v[54:57], v[46:47], off offset:4
	v_dot4c_i32_i8_e32 v62, v42, v13
	v_dot4c_i32_i8_e32 v62, v43, v15
	;; [unrolled: 1-line block ×4, first 2 shown]
	v_add_u32_e32 v34, 32, v34
	s_waitcnt vmcnt(0)
	v_ashrrev_i32_e32 v31, 4, v54
	v_lshrrev_b32_e32 v49, 1, v54
	v_and_b32_e32 v33, 0x7070707, v54
	v_and_b32_e32 v47, 0x7070707, v31
	;; [unrolled: 1-line block ×3, first 2 shown]
	v_lshrrev_b32_e32 v31, 1, v31
	v_perm_b32 v46, s25, v36, v33
	v_perm_b32 v33, s26, v37, v33
	v_or_b32_e32 v49, 0x3020100, v49
	v_and_b32_e32 v31, 0x4040404, v31
	v_lshrrev_b32_e32 v54, 1, v55
	v_perm_b32 v48, s25, v36, v47
	v_perm_b32 v47, s26, v37, v47
	;; [unrolled: 1-line block ×3, first 2 shown]
	v_or_b32_e32 v31, 0x3020100, v31
	v_and_b32_e32 v33, 0x7070707, v55
	v_and_b32_e32 v54, 0x4040404, v54
	v_perm_b32 v47, v47, v48, v31
	v_ashrrev_i32_e32 v31, 4, v55
	v_perm_b32 v48, s25, v36, v33
	v_perm_b32 v33, s26, v37, v33
	v_or_b32_e32 v54, 0x3020100, v54
	v_and_b32_e32 v49, 0x7070707, v31
	v_perm_b32 v48, v33, v48, v54
	v_lshrrev_b32_e32 v31, 1, v31
	v_mov_b32_e32 v54, 0
	v_and_b32_e32 v31, 0x4040404, v31
	v_dot4c_i32_i8_e32 v54, v46, v51
	v_perm_b32 v50, s25, v36, v49
	v_perm_b32 v49, s26, v37, v49
	v_or_b32_e32 v31, 0x3020100, v31
	v_dot4c_i32_i8_e32 v54, v47, v53
	v_perm_b32 v49, v49, v50, v31
	v_dot4c_i32_i8_e32 v54, v48, v52
	v_lshl_add_u64 v[50:51], v[58:59], 0, v[18:19]
	v_dot4c_i32_i8_e32 v54, v49, v12
	global_load_ushort v12, v[50:51], off
	v_and_b32_e32 v50, 0x7070707, v56
	v_perm_b32 v51, s25, v36, v50
	v_perm_b32 v50, s26, v37, v50
	s_waitcnt vmcnt(0)
	v_and_b32_e32 v31, 0x7f, v12
	v_cmp_ne_u16_e32 vcc, s27, v31
	v_lshrrev_b16_e32 v33, 8, v12
	s_nop 0
	v_cndmask_b32_e32 v12, 0, v12, vcc
	v_and_b32_e32 v12, 0xff, v12
	v_cvt_f32_fp8_sdwa v31, v12 src0_sel:BYTE_0
	v_ashrrev_i32_e32 v12, 4, v56
	v_and_b32_e32 v52, 0x7070707, v12
	v_perm_b32 v53, s25, v36, v52
	v_perm_b32 v55, s26, v37, v52
	v_lshrrev_b32_e32 v52, 1, v56
	v_lshrrev_b32_e32 v12, 1, v12
	v_and_b32_e32 v52, 0x4040404, v52
	v_and_b32_e32 v12, 0x4040404, v12
	v_or_b32_e32 v52, 0x3020100, v52
	v_or_b32_e32 v12, 0x3020100, v12
	v_perm_b32 v52, v50, v51, v52
	v_perm_b32 v51, v55, v53, v12
	v_ashrrev_i32_e32 v12, 4, v57
	v_and_b32_e32 v50, 0x7070707, v57
	v_and_b32_e32 v55, 0x7070707, v12
	v_lshrrev_b32_e32 v57, 1, v57
	v_lshrrev_b32_e32 v12, 1, v12
	v_and_b32_e32 v57, 0x4040404, v57
	v_and_b32_e32 v12, 0x4040404, v12
	v_perm_b32 v53, s25, v36, v50
	v_perm_b32 v56, s25, v36, v55
	v_perm_b32 v50, s26, v37, v50
	v_perm_b32 v55, s26, v37, v55
	v_or_b32_e32 v57, 0x3020100, v57
	v_or_b32_e32 v12, 0x3020100, v12
	v_perm_b32 v53, v50, v53, v57
	v_perm_b32 v50, v55, v56, v12
	v_and_b32_e32 v12, 0x7f, v33
	v_mov_b32_e32 v55, 0
	v_cmp_ne_u16_e32 vcc, s27, v12
	v_dot4c_i32_i8_e32 v55, v52, v13
	v_dot4c_i32_i8_e32 v55, v51, v15
	v_cndmask_b32_e32 v12, 0, v33, vcc
	v_and_b32_e32 v12, 0xffff, v12
	v_dot4c_i32_i8_e32 v55, v53, v14
	v_cvt_f32_fp8_sdwa v33, v12 src0_sel:BYTE_0
	v_pk_mul_f32 v[14:15], v[30:31], 0.5 op_sel_hi:[1,0]
	v_cvt_f32_i32_e32 v31, v54
	v_cvt_f32_i32_e32 v30, v61
	v_dot4c_i32_i8_e32 v55, v50, v60
	v_cvt_f32_i32_e32 v54, v62
	v_pk_mul_f32 v[12:13], v[14:15], v[28:29] op_sel_hi:[1,0]
	v_cmp_le_u32_e32 vcc, s2, v34
	v_cvt_f32_i32_e32 v55, v55
	v_pk_fma_f32 v[30:31], v[12:13], v[30:31], 0 op_sel_hi:[1,1,0]
	v_pk_mul_f32 v[12:13], v[32:33], 0.5 op_sel_hi:[1,0]
	s_nop 0
	v_pk_mul_f32 v[32:33], v[12:13], v[28:29] op_sel_hi:[1,0]
	v_add_u32_e32 v28, s9, v35
	v_pk_fma_f32 v[30:31], v[32:33], v[54:55], v[30:31]
	v_mad_u64_u32 v[58:59], s[28:29], v28, 36, v[20:21]
	v_pk_add_f32 v[8:9], v[8:9], v[30:31]
	global_load_dword v60, v[58:59], off offset:32
	global_load_dwordx4 v[30:33], v[58:59], off offset:16
	global_load_dwordx4 v[54:57], v[58:59], off
	v_mov_b32_e32 v59, 0
	v_mov_b32_e32 v58, 0
	s_add_i32 s9, s9, 64
	s_waitcnt vmcnt(1)
	v_dot4c_i32_i8_e32 v58, v42, v31
	s_waitcnt vmcnt(0)
	v_cvt_f32_f16_e32 v28, v54
	v_mov_b32_e32 v54, 0
	v_dot4c_i32_i8_e32 v54, v38, v55
	v_dot4c_i32_i8_e32 v59, v46, v55
	v_mov_b32_e32 v55, 0
	v_dot4c_i32_i8_e32 v54, v39, v57
	v_dot4c_i32_i8_e32 v59, v47, v57
	v_dot4c_i32_i8_e32 v55, v52, v31
	v_dot4c_i32_i8_e32 v54, v40, v56
	v_dot4c_i32_i8_e32 v58, v43, v33
	v_dot4c_i32_i8_e32 v59, v48, v56
	v_dot4c_i32_i8_e32 v55, v51, v33
	v_dot4c_i32_i8_e32 v54, v41, v30
	v_dot4c_i32_i8_e32 v58, v44, v32
	v_dot4c_i32_i8_e32 v59, v49, v30
	v_dot4c_i32_i8_e32 v55, v53, v32
	v_dot4c_i32_i8_e32 v58, v45, v60
	v_dot4c_i32_i8_e32 v55, v50, v60
	v_cvt_f32_i32_e32 v33, v59
	v_cvt_f32_i32_e32 v32, v54
	v_cvt_f32_i32_e32 v54, v58
	v_cvt_f32_i32_e32 v55, v55
	v_pk_mul_f32 v[30:31], v[14:15], v[28:29] op_sel_hi:[1,0]
	s_nop 0
	v_pk_fma_f32 v[30:31], v[30:31], v[32:33], 0 op_sel_hi:[1,1,0]
	v_pk_mul_f32 v[32:33], v[12:13], v[28:29] op_sel_hi:[1,0]
	v_add_u32_e32 v28, s5, v35
	v_pk_fma_f32 v[30:31], v[32:33], v[54:55], v[30:31]
	v_mad_u64_u32 v[58:59], s[28:29], v28, 36, v[20:21]
	v_pk_add_f32 v[10:11], v[10:11], v[30:31]
	global_load_dword v60, v[58:59], off offset:32
	global_load_dwordx4 v[30:33], v[58:59], off offset:16
	global_load_dwordx4 v[54:57], v[58:59], off
	v_mov_b32_e32 v59, 0
	v_mov_b32_e32 v58, 0
	s_add_i32 s5, s5, 64
	s_waitcnt vmcnt(1)
	v_dot4c_i32_i8_e32 v58, v42, v31
	s_waitcnt vmcnt(0)
	v_cvt_f32_f16_e32 v28, v54
	v_mov_b32_e32 v54, 0
	v_dot4c_i32_i8_e32 v54, v38, v55
	v_dot4c_i32_i8_e32 v59, v46, v55
	v_mov_b32_e32 v55, 0
	v_dot4c_i32_i8_e32 v54, v39, v57
	v_dot4c_i32_i8_e32 v59, v47, v57
	v_dot4c_i32_i8_e32 v55, v52, v31
	v_dot4c_i32_i8_e32 v54, v40, v56
	v_dot4c_i32_i8_e32 v58, v43, v33
	v_dot4c_i32_i8_e32 v59, v48, v56
	v_dot4c_i32_i8_e32 v55, v51, v33
	v_dot4c_i32_i8_e32 v54, v41, v30
	v_dot4c_i32_i8_e32 v58, v44, v32
	v_dot4c_i32_i8_e32 v59, v49, v30
	v_dot4c_i32_i8_e32 v55, v53, v32
	v_dot4c_i32_i8_e32 v58, v45, v60
	v_dot4c_i32_i8_e32 v55, v50, v60
	v_cvt_f32_i32_e32 v33, v59
	v_cvt_f32_i32_e32 v32, v54
	v_cvt_f32_i32_e32 v54, v58
	v_cvt_f32_i32_e32 v55, v55
	v_pk_mul_f32 v[30:31], v[14:15], v[28:29] op_sel_hi:[1,0]
	s_nop 0
	v_pk_fma_f32 v[30:31], v[30:31], v[32:33], 0 op_sel_hi:[1,1,0]
	v_pk_mul_f32 v[32:33], v[12:13], v[28:29] op_sel_hi:[1,0]
	v_add_u32_e32 v28, s15, v35
	v_pk_fma_f32 v[30:31], v[32:33], v[54:55], v[30:31]
	v_mad_u64_u32 v[58:59], s[28:29], v28, 36, v[20:21]
	v_pk_add_f32 v[4:5], v[4:5], v[30:31]
	global_load_dword v60, v[58:59], off offset:32
	global_load_dwordx4 v[30:33], v[58:59], off offset:16
	global_load_dwordx4 v[54:57], v[58:59], off
	v_mov_b32_e32 v59, 0
	v_mov_b32_e32 v58, 0
	s_add_i32 s15, s15, 64
	s_waitcnt vmcnt(1)
	v_dot4c_i32_i8_e32 v58, v42, v31
	s_waitcnt vmcnt(0)
	v_cvt_f32_f16_e32 v28, v54
	v_mov_b32_e32 v54, 0
	v_dot4c_i32_i8_e32 v54, v38, v55
	v_dot4c_i32_i8_e32 v59, v46, v55
	v_mov_b32_e32 v55, 0
	v_dot4c_i32_i8_e32 v54, v39, v57
	v_dot4c_i32_i8_e32 v59, v47, v57
	v_dot4c_i32_i8_e32 v55, v52, v31
	v_dot4c_i32_i8_e32 v54, v40, v56
	v_dot4c_i32_i8_e32 v58, v43, v33
	v_dot4c_i32_i8_e32 v59, v48, v56
	v_dot4c_i32_i8_e32 v55, v51, v33
	v_dot4c_i32_i8_e32 v54, v41, v30
	v_dot4c_i32_i8_e32 v58, v44, v32
	v_dot4c_i32_i8_e32 v59, v49, v30
	v_dot4c_i32_i8_e32 v55, v53, v32
	v_dot4c_i32_i8_e32 v58, v45, v60
	v_dot4c_i32_i8_e32 v55, v50, v60
	v_cvt_f32_i32_e32 v33, v59
	v_cvt_f32_i32_e32 v32, v54
	v_cvt_f32_i32_e32 v54, v58
	v_cvt_f32_i32_e32 v55, v55
	v_pk_mul_f32 v[30:31], v[14:15], v[28:29] op_sel_hi:[1,0]
	s_nop 0
	v_pk_fma_f32 v[30:31], v[30:31], v[32:33], 0 op_sel_hi:[1,1,0]
	v_pk_mul_f32 v[32:33], v[12:13], v[28:29] op_sel_hi:[1,0]
	v_add_u32_e32 v28, s22, v35
	v_pk_fma_f32 v[30:31], v[32:33], v[54:55], v[30:31]
	v_mad_u64_u32 v[58:59], s[28:29], v28, 36, v[20:21]
	v_pk_add_f32 v[6:7], v[6:7], v[30:31]
	global_load_dword v60, v[58:59], off offset:32
	global_load_dwordx4 v[30:33], v[58:59], off offset:16
	global_load_dwordx4 v[54:57], v[58:59], off
	v_mov_b32_e32 v59, 0
	v_mov_b32_e32 v58, 0
	s_add_i32 s22, s22, 64
	s_waitcnt vmcnt(1)
	v_dot4c_i32_i8_e32 v58, v42, v31
	s_waitcnt vmcnt(0)
	v_cvt_f32_f16_e32 v28, v54
	v_mov_b32_e32 v54, 0
	v_dot4c_i32_i8_e32 v54, v38, v55
	v_dot4c_i32_i8_e32 v59, v46, v55
	v_mov_b32_e32 v55, 0
	v_dot4c_i32_i8_e32 v54, v39, v57
	v_dot4c_i32_i8_e32 v59, v47, v57
	v_dot4c_i32_i8_e32 v55, v52, v31
	v_dot4c_i32_i8_e32 v54, v40, v56
	v_dot4c_i32_i8_e32 v58, v43, v33
	v_dot4c_i32_i8_e32 v59, v48, v56
	v_dot4c_i32_i8_e32 v55, v51, v33
	v_dot4c_i32_i8_e32 v54, v41, v30
	v_dot4c_i32_i8_e32 v58, v44, v32
	v_dot4c_i32_i8_e32 v59, v49, v30
	v_dot4c_i32_i8_e32 v55, v53, v32
	v_dot4c_i32_i8_e32 v58, v45, v60
	v_dot4c_i32_i8_e32 v55, v50, v60
	v_cvt_f32_i32_e32 v33, v59
	v_cvt_f32_i32_e32 v32, v54
	v_cvt_f32_i32_e32 v54, v58
	v_cvt_f32_i32_e32 v55, v55
	v_pk_mul_f32 v[30:31], v[14:15], v[28:29] op_sel_hi:[1,0]
	s_nop 0
	v_pk_fma_f32 v[30:31], v[30:31], v[32:33], 0 op_sel_hi:[1,1,0]
	v_pk_mul_f32 v[32:33], v[12:13], v[28:29] op_sel_hi:[1,0]
	v_add_u32_e32 v28, s23, v35
	v_pk_fma_f32 v[30:31], v[32:33], v[54:55], v[30:31]
	v_mad_u64_u32 v[58:59], s[28:29], v28, 36, v[20:21]
	v_pk_add_f32 v[0:1], v[0:1], v[30:31]
	global_load_dword v60, v[58:59], off offset:32
	global_load_dwordx4 v[30:33], v[58:59], off offset:16
	global_load_dwordx4 v[54:57], v[58:59], off
	v_mov_b32_e32 v59, 0
	v_mov_b32_e32 v58, 0
	s_add_i32 s23, s23, 64
	s_waitcnt vmcnt(1)
	v_dot4c_i32_i8_e32 v58, v42, v31
	s_waitcnt vmcnt(0)
	v_cvt_f32_f16_e32 v28, v54
	v_mov_b32_e32 v54, 0
	v_dot4c_i32_i8_e32 v54, v38, v55
	v_dot4c_i32_i8_e32 v59, v46, v55
	v_mov_b32_e32 v55, 0
	v_dot4c_i32_i8_e32 v54, v39, v57
	v_dot4c_i32_i8_e32 v59, v47, v57
	v_dot4c_i32_i8_e32 v55, v52, v31
	v_dot4c_i32_i8_e32 v54, v40, v56
	v_dot4c_i32_i8_e32 v58, v43, v33
	v_dot4c_i32_i8_e32 v59, v48, v56
	v_dot4c_i32_i8_e32 v55, v51, v33
	v_dot4c_i32_i8_e32 v54, v41, v30
	v_dot4c_i32_i8_e32 v58, v44, v32
	v_dot4c_i32_i8_e32 v59, v49, v30
	v_dot4c_i32_i8_e32 v55, v53, v32
	v_dot4c_i32_i8_e32 v58, v45, v60
	v_dot4c_i32_i8_e32 v55, v50, v60
	v_cvt_f32_i32_e32 v33, v59
	v_cvt_f32_i32_e32 v32, v54
	v_cvt_f32_i32_e32 v54, v58
	v_cvt_f32_i32_e32 v55, v55
	v_pk_mul_f32 v[30:31], v[14:15], v[28:29] op_sel_hi:[1,0]
	s_nop 0
	v_pk_fma_f32 v[30:31], v[30:31], v[32:33], 0 op_sel_hi:[1,1,0]
	v_pk_mul_f32 v[32:33], v[12:13], v[28:29] op_sel_hi:[1,0]
	v_add_u32_e32 v28, s24, v35
	v_pk_fma_f32 v[30:31], v[32:33], v[54:55], v[30:31]
	v_mad_u64_u32 v[58:59], s[28:29], v28, 36, v[20:21]
	v_pk_add_f32 v[2:3], v[2:3], v[30:31]
	global_load_dword v60, v[58:59], off offset:32
	global_load_dwordx4 v[30:33], v[58:59], off offset:16
	global_load_dwordx4 v[54:57], v[58:59], off
	s_add_i32 s24, s24, 64
	s_or_b64 s[12:13], vcc, s[12:13]
	s_waitcnt vmcnt(0)
	v_cvt_f32_f16_e32 v28, v54
	v_mov_b32_e32 v54, 0
	v_dot4c_i32_i8_e32 v54, v38, v55
	v_dot4c_i32_i8_e32 v54, v39, v57
	v_mov_b32_e32 v39, 0
	v_dot4c_i32_i8_e32 v39, v46, v55
	v_dot4c_i32_i8_e32 v39, v47, v57
	;; [unrolled: 1-line block ×5, first 2 shown]
	v_mov_b32_e32 v38, 0
	v_dot4c_i32_i8_e32 v39, v49, v30
	v_mov_b32_e32 v40, 0
	v_dot4c_i32_i8_e32 v38, v42, v31
	v_dot4c_i32_i8_e32 v40, v52, v31
	v_cvt_f32_i32_e32 v31, v39
	v_cvt_f32_i32_e32 v30, v54
	v_dot4c_i32_i8_e32 v38, v43, v33
	v_dot4c_i32_i8_e32 v40, v51, v33
	;; [unrolled: 1-line block ×6, first 2 shown]
	v_pk_mul_f32 v[14:15], v[14:15], v[28:29] op_sel_hi:[1,0]
	v_pk_mul_f32 v[12:13], v[12:13], v[28:29] op_sel_hi:[1,0]
	v_pk_fma_f32 v[14:15], v[14:15], v[30:31], 0 op_sel_hi:[1,1,0]
	v_cvt_f32_i32_e32 v31, v40
	v_cvt_f32_i32_e32 v30, v38
	v_pk_fma_f32 v[12:13], v[12:13], v[30:31], v[14:15]
	s_nop 0
	v_pk_add_f32 v[26:27], v[26:27], v[12:13]
	s_andn2_b64 exec, exec, s[12:13]
	s_cbranch_execnz .LBB94_2
; %bb.3:
	s_or_b64 exec, exec, s[12:13]
	scratch_store_dwordx4 off, v[8:11], off
	scratch_store_dwordx4 off, v[4:7], off offset:16
	scratch_store_dwordx4 off, v[0:3], off offset:32
	scratch_store_dwordx2 off, v[26:27], off offset:48
.LBB94_4:
	s_or_b64 exec, exec, s[6:7]
	s_mov_b32 s5, 0
	v_cmp_eq_u32_e32 vcc, 0, v29
	s_waitcnt lgkmcnt(0)
	; wave barrier
	s_and_saveexec_b64 s[6:7], vcc
	s_cbranch_execz .LBB94_19
; %bb.5:
	scratch_load_dwordx2 v[2:3], off, off
	v_mbcnt_lo_u32_b32 v0, -1, 0
	v_mbcnt_hi_u32_b32 v10, -1, v0
	v_and_b32_e32 v0, 64, v10
	v_xor_b32_e32 v1, 32, v10
	v_add_u32_e32 v11, 64, v0
	v_cmp_lt_i32_e32 vcc, v1, v11
	v_xor_b32_e32 v6, 16, v10
	v_xor_b32_e32 v8, 8, v10
	v_cndmask_b32_e32 v0, v10, v1, vcc
	v_lshlrev_b32_e32 v0, 2, v0
	v_cmp_lt_i32_e32 vcc, v6, v11
	v_xor_b32_e32 v9, 4, v10
	v_xor_b32_e32 v12, 2, v10
	v_cndmask_b32_e32 v1, v10, v6, vcc
	v_lshlrev_b32_e32 v1, 2, v1
	v_cmp_lt_i32_e32 vcc, v8, v11
	v_xor_b32_e32 v13, 1, v10
	s_load_dwordx2 s[0:1], s[0:1], 0x38
	s_mul_i32 s2, s3, s14
	s_mul_i32 s4, s4, s18
	s_add_i32 s2, s2, s19
	s_add_i32 s4, s2, s4
	s_lshl_b64 s[2:3], s[4:5], 2
	s_waitcnt lgkmcnt(0)
	s_add_u32 s2, s0, s2
	s_addc_u32 s3, s1, s3
	s_waitcnt vmcnt(0)
	ds_bpermute_b32 v4, v0, v2
	ds_bpermute_b32 v5, v0, v3
	s_waitcnt lgkmcnt(0)
	v_pk_add_f32 v[4:5], v[2:3], v[4:5]
	ds_bpermute_b32 v6, v1, v4
	ds_bpermute_b32 v7, v1, v5
	v_cndmask_b32_e32 v2, v10, v8, vcc
	v_lshlrev_b32_e32 v2, 2, v2
	v_cmp_lt_i32_e32 vcc, v9, v11
	s_waitcnt lgkmcnt(0)
	v_pk_add_f32 v[4:5], v[4:5], v[6:7]
	ds_bpermute_b32 v6, v2, v4
	ds_bpermute_b32 v7, v2, v5
	v_cndmask_b32_e32 v3, v10, v9, vcc
	v_lshlrev_b32_e32 v3, 2, v3
	v_cmp_lt_i32_e32 vcc, v12, v11
	;; [unrolled: 7-line block ×3, first 2 shown]
	s_waitcnt lgkmcnt(0)
	v_pk_add_f32 v[6:7], v[6:7], v[8:9]
	ds_bpermute_b32 v8, v4, v6
	ds_bpermute_b32 v9, v4, v7
	v_cndmask_b32_e32 v5, v10, v13, vcc
	v_lshlrev_b32_e32 v5, 2, v5
	v_or_b32_e32 v10, s19, v16
	v_cmp_gt_u32_e32 vcc, 2, v16
	s_waitcnt lgkmcnt(0)
	v_pk_add_f32 v[6:7], v[6:7], v[8:9]
	ds_bpermute_b32 v8, v5, v6
	ds_bpermute_b32 v9, v5, v7
	v_cmp_gt_u32_e64 s[0:1], s10, v10
	s_and_b64 s[0:1], vcc, s[0:1]
	s_waitcnt lgkmcnt(0)
	v_pk_add_f32 v[6:7], v[6:7], v[8:9]
	scratch_store_dwordx2 off, v[6:7], off
	s_and_saveexec_b64 s[4:5], s[0:1]
	s_cbranch_execz .LBB94_7
; %bb.6:
	scratch_load_dword v6, v17, off
	s_waitcnt vmcnt(0)
	global_store_dword v17, v6, s[2:3]
.LBB94_7:
	s_or_b64 exec, exec, s[4:5]
	scratch_load_dwordx2 v[6:7], off, off offset:8
	s_waitcnt vmcnt(0)
	ds_bpermute_b32 v8, v0, v6
	ds_bpermute_b32 v9, v0, v7
	s_waitcnt lgkmcnt(0)
	v_pk_add_f32 v[6:7], v[6:7], v[8:9]
	ds_bpermute_b32 v8, v1, v6
	ds_bpermute_b32 v9, v1, v7
	s_waitcnt lgkmcnt(0)
	v_pk_add_f32 v[6:7], v[6:7], v[8:9]
	;; [unrolled: 4-line block ×6, first 2 shown]
	scratch_store_dwordx2 off, v[6:7], off offset:8
	s_and_saveexec_b64 s[4:5], s[0:1]
	s_cbranch_execz .LBB94_9
; %bb.8:
	scratch_load_dword v8, v17, off offset:8
	v_add_u32_e32 v6, s10, v16
	v_mov_b32_e32 v7, 0
	v_lshl_add_u64 v[6:7], v[6:7], 2, s[2:3]
	s_waitcnt vmcnt(0)
	global_store_dword v[6:7], v8, off
.LBB94_9:
	s_or_b64 exec, exec, s[4:5]
	scratch_load_dwordx2 v[6:7], off, off offset:16
	s_waitcnt vmcnt(0)
	ds_bpermute_b32 v8, v0, v6
	ds_bpermute_b32 v9, v0, v7
	s_waitcnt lgkmcnt(0)
	v_pk_add_f32 v[6:7], v[6:7], v[8:9]
	ds_bpermute_b32 v8, v1, v6
	ds_bpermute_b32 v9, v1, v7
	s_waitcnt lgkmcnt(0)
	v_pk_add_f32 v[6:7], v[6:7], v[8:9]
	;; [unrolled: 4-line block ×6, first 2 shown]
	scratch_store_dwordx2 off, v[6:7], off offset:16
	s_and_saveexec_b64 s[4:5], s[0:1]
	s_cbranch_execz .LBB94_11
; %bb.10:
	scratch_load_dword v8, v17, off offset:16
	v_lshl_or_b32 v6, s10, 1, v16
	v_mov_b32_e32 v7, 0
	v_lshl_add_u64 v[6:7], v[6:7], 2, s[2:3]
	s_waitcnt vmcnt(0)
	global_store_dword v[6:7], v8, off
.LBB94_11:
	s_or_b64 exec, exec, s[4:5]
	scratch_load_dwordx2 v[6:7], off, off offset:24
	s_waitcnt vmcnt(0)
	ds_bpermute_b32 v8, v0, v6
	ds_bpermute_b32 v9, v0, v7
	s_waitcnt lgkmcnt(0)
	v_pk_add_f32 v[6:7], v[6:7], v[8:9]
	ds_bpermute_b32 v8, v1, v6
	ds_bpermute_b32 v9, v1, v7
	s_waitcnt lgkmcnt(0)
	v_pk_add_f32 v[6:7], v[6:7], v[8:9]
	;; [unrolled: 4-line block ×6, first 2 shown]
	scratch_store_dwordx2 off, v[6:7], off offset:24
	s_and_saveexec_b64 s[4:5], s[0:1]
	s_cbranch_execz .LBB94_13
; %bb.12:
	scratch_load_dword v8, v17, off offset:24
	v_mad_u64_u32 v[6:7], s[6:7], s10, 3, v[16:17]
	v_mov_b32_e32 v7, 0
	v_lshl_add_u64 v[6:7], v[6:7], 2, s[2:3]
	s_waitcnt vmcnt(0)
	global_store_dword v[6:7], v8, off
.LBB94_13:
	s_or_b64 exec, exec, s[4:5]
	scratch_load_dwordx2 v[6:7], off, off offset:32
	s_waitcnt vmcnt(0)
	ds_bpermute_b32 v8, v0, v6
	ds_bpermute_b32 v9, v0, v7
	s_waitcnt lgkmcnt(0)
	v_pk_add_f32 v[6:7], v[6:7], v[8:9]
	ds_bpermute_b32 v8, v1, v6
	ds_bpermute_b32 v9, v1, v7
	s_waitcnt lgkmcnt(0)
	v_pk_add_f32 v[6:7], v[6:7], v[8:9]
	ds_bpermute_b32 v8, v2, v6
	ds_bpermute_b32 v9, v2, v7
	s_waitcnt lgkmcnt(0)
	v_pk_add_f32 v[6:7], v[6:7], v[8:9]
	ds_bpermute_b32 v8, v3, v6
	ds_bpermute_b32 v9, v3, v7
	s_waitcnt lgkmcnt(0)
	v_pk_add_f32 v[6:7], v[6:7], v[8:9]
	ds_bpermute_b32 v8, v4, v6
	ds_bpermute_b32 v9, v4, v7
	s_waitcnt lgkmcnt(0)
	v_pk_add_f32 v[6:7], v[6:7], v[8:9]
	ds_bpermute_b32 v8, v5, v6
	ds_bpermute_b32 v9, v5, v7
	s_waitcnt lgkmcnt(0)
	v_pk_add_f32 v[6:7], v[6:7], v[8:9]
	scratch_store_dwordx2 off, v[6:7], off offset:32
	s_and_saveexec_b64 s[4:5], s[0:1]
	s_cbranch_execz .LBB94_15
; %bb.14:
	scratch_load_dword v8, v17, off offset:32
	v_lshl_or_b32 v6, s10, 2, v16
	v_mov_b32_e32 v7, 0
	v_lshl_add_u64 v[6:7], v[6:7], 2, s[2:3]
	s_waitcnt vmcnt(0)
	global_store_dword v[6:7], v8, off
.LBB94_15:
	s_or_b64 exec, exec, s[4:5]
	scratch_load_dwordx2 v[6:7], off, off offset:40
	s_waitcnt vmcnt(0)
	ds_bpermute_b32 v8, v0, v6
	ds_bpermute_b32 v9, v0, v7
	s_waitcnt lgkmcnt(0)
	v_pk_add_f32 v[6:7], v[6:7], v[8:9]
	ds_bpermute_b32 v8, v1, v6
	ds_bpermute_b32 v9, v1, v7
	s_waitcnt lgkmcnt(0)
	v_pk_add_f32 v[6:7], v[6:7], v[8:9]
	;; [unrolled: 4-line block ×6, first 2 shown]
	scratch_store_dwordx2 off, v[6:7], off offset:40
	s_and_saveexec_b64 s[4:5], s[0:1]
	s_cbranch_execz .LBB94_17
; %bb.16:
	scratch_load_dword v8, v17, off offset:40
	v_mad_u64_u32 v[6:7], s[6:7], s10, 5, v[16:17]
	v_mov_b32_e32 v7, 0
	v_lshl_add_u64 v[6:7], v[6:7], 2, s[2:3]
	s_waitcnt vmcnt(0)
	global_store_dword v[6:7], v8, off
.LBB94_17:
	s_or_b64 exec, exec, s[4:5]
	scratch_load_dwordx2 v[6:7], off, off offset:48
	s_waitcnt vmcnt(0)
	ds_bpermute_b32 v8, v0, v6
	ds_bpermute_b32 v9, v0, v7
	s_waitcnt lgkmcnt(0)
	v_pk_add_f32 v[6:7], v[6:7], v[8:9]
	ds_bpermute_b32 v0, v1, v6
	ds_bpermute_b32 v1, v1, v7
	s_waitcnt lgkmcnt(0)
	v_pk_add_f32 v[0:1], v[6:7], v[0:1]
	;; [unrolled: 4-line block ×6, first 2 shown]
	scratch_store_dwordx2 off, v[0:1], off offset:48
	s_and_b64 exec, exec, s[0:1]
	s_cbranch_execz .LBB94_19
; %bb.18:
	scratch_load_dword v2, v17, off offset:48
	s_mul_i32 s0, s10, 6
	v_or_b32_e32 v0, s0, v16
	v_mov_b32_e32 v1, 0
	v_lshl_add_u64 v[0:1], v[0:1], 2, s[2:3]
	s_waitcnt vmcnt(0)
	global_store_dword v[0:1], v2, off
.LBB94_19:
	s_endpgm
	.section	.rodata,"a",@progbits
	.p2align	6, 0x0
	.amdhsa_kernel _ZL13mul_mat_vec_qIL9ggml_type40ELi7ELb0ELb0EEvPKvS2_PKi31ggml_cuda_mm_fusion_args_devicePfj15HIP_vector_typeIjLj3EEjjjS8_jjjS8_jjjj
		.amdhsa_group_segment_fixed_size 0
		.amdhsa_private_segment_fixed_size 64
		.amdhsa_kernarg_size 144
		.amdhsa_user_sgpr_count 2
		.amdhsa_user_sgpr_dispatch_ptr 0
		.amdhsa_user_sgpr_queue_ptr 0
		.amdhsa_user_sgpr_kernarg_segment_ptr 1
		.amdhsa_user_sgpr_dispatch_id 0
		.amdhsa_user_sgpr_kernarg_preload_length 0
		.amdhsa_user_sgpr_kernarg_preload_offset 0
		.amdhsa_user_sgpr_private_segment_size 0
		.amdhsa_uses_dynamic_stack 0
		.amdhsa_enable_private_segment 1
		.amdhsa_system_sgpr_workgroup_id_x 1
		.amdhsa_system_sgpr_workgroup_id_y 1
		.amdhsa_system_sgpr_workgroup_id_z 1
		.amdhsa_system_sgpr_workgroup_info 0
		.amdhsa_system_vgpr_workitem_id 1
		.amdhsa_next_free_vgpr 63
		.amdhsa_next_free_sgpr 30
		.amdhsa_accum_offset 64
		.amdhsa_reserve_vcc 1
		.amdhsa_float_round_mode_32 0
		.amdhsa_float_round_mode_16_64 0
		.amdhsa_float_denorm_mode_32 3
		.amdhsa_float_denorm_mode_16_64 3
		.amdhsa_dx10_clamp 1
		.amdhsa_ieee_mode 1
		.amdhsa_fp16_overflow 0
		.amdhsa_tg_split 0
		.amdhsa_exception_fp_ieee_invalid_op 0
		.amdhsa_exception_fp_denorm_src 0
		.amdhsa_exception_fp_ieee_div_zero 0
		.amdhsa_exception_fp_ieee_overflow 0
		.amdhsa_exception_fp_ieee_underflow 0
		.amdhsa_exception_fp_ieee_inexact 0
		.amdhsa_exception_int_div_zero 0
	.end_amdhsa_kernel
	.section	.text._ZL13mul_mat_vec_qIL9ggml_type40ELi7ELb0ELb0EEvPKvS2_PKi31ggml_cuda_mm_fusion_args_devicePfj15HIP_vector_typeIjLj3EEjjjS8_jjjS8_jjjj,"axG",@progbits,_ZL13mul_mat_vec_qIL9ggml_type40ELi7ELb0ELb0EEvPKvS2_PKi31ggml_cuda_mm_fusion_args_devicePfj15HIP_vector_typeIjLj3EEjjjS8_jjjS8_jjjj,comdat
.Lfunc_end94:
	.size	_ZL13mul_mat_vec_qIL9ggml_type40ELi7ELb0ELb0EEvPKvS2_PKi31ggml_cuda_mm_fusion_args_devicePfj15HIP_vector_typeIjLj3EEjjjS8_jjjS8_jjjj, .Lfunc_end94-_ZL13mul_mat_vec_qIL9ggml_type40ELi7ELb0ELb0EEvPKvS2_PKi31ggml_cuda_mm_fusion_args_devicePfj15HIP_vector_typeIjLj3EEjjjS8_jjjS8_jjjj
                                        ; -- End function
	.section	.AMDGPU.csdata,"",@progbits
; Kernel info:
; codeLenInByte = 4856
; NumSgprs: 36
; NumVgprs: 63
; NumAgprs: 0
; TotalNumVgprs: 63
; ScratchSize: 64
; MemoryBound: 0
; FloatMode: 240
; IeeeMode: 1
; LDSByteSize: 0 bytes/workgroup (compile time only)
; SGPRBlocks: 4
; VGPRBlocks: 7
; NumSGPRsForWavesPerEU: 36
; NumVGPRsForWavesPerEU: 63
; AccumOffset: 64
; Occupancy: 8
; WaveLimiterHint : 0
; COMPUTE_PGM_RSRC2:SCRATCH_EN: 1
; COMPUTE_PGM_RSRC2:USER_SGPR: 2
; COMPUTE_PGM_RSRC2:TRAP_HANDLER: 0
; COMPUTE_PGM_RSRC2:TGID_X_EN: 1
; COMPUTE_PGM_RSRC2:TGID_Y_EN: 1
; COMPUTE_PGM_RSRC2:TGID_Z_EN: 1
; COMPUTE_PGM_RSRC2:TIDIG_COMP_CNT: 1
; COMPUTE_PGM_RSRC3_GFX90A:ACCUM_OFFSET: 15
; COMPUTE_PGM_RSRC3_GFX90A:TG_SPLIT: 0
	.section	.text._ZL13mul_mat_vec_qIL9ggml_type40ELi8ELb0ELb0EEvPKvS2_PKi31ggml_cuda_mm_fusion_args_devicePfj15HIP_vector_typeIjLj3EEjjjS8_jjjS8_jjjj,"axG",@progbits,_ZL13mul_mat_vec_qIL9ggml_type40ELi8ELb0ELb0EEvPKvS2_PKi31ggml_cuda_mm_fusion_args_devicePfj15HIP_vector_typeIjLj3EEjjjS8_jjjS8_jjjj,comdat
	.globl	_ZL13mul_mat_vec_qIL9ggml_type40ELi8ELb0ELb0EEvPKvS2_PKi31ggml_cuda_mm_fusion_args_devicePfj15HIP_vector_typeIjLj3EEjjjS8_jjjS8_jjjj ; -- Begin function _ZL13mul_mat_vec_qIL9ggml_type40ELi8ELb0ELb0EEvPKvS2_PKi31ggml_cuda_mm_fusion_args_devicePfj15HIP_vector_typeIjLj3EEjjjS8_jjjS8_jjjj
	.p2align	8
	.type	_ZL13mul_mat_vec_qIL9ggml_type40ELi8ELb0ELb0EEvPKvS2_PKi31ggml_cuda_mm_fusion_args_devicePfj15HIP_vector_typeIjLj3EEjjjS8_jjjS8_jjjj,@function
_ZL13mul_mat_vec_qIL9ggml_type40ELi8ELb0ELb0EEvPKvS2_PKi31ggml_cuda_mm_fusion_args_devicePfj15HIP_vector_typeIjLj3EEjjjS8_jjjS8_jjjj: ; @_ZL13mul_mat_vec_qIL9ggml_type40ELi8ELb0ELb0EEvPKvS2_PKi31ggml_cuda_mm_fusion_args_devicePfj15HIP_vector_typeIjLj3EEjjjS8_jjjS8_jjjj
; %bb.0:
	v_bfe_u32 v38, v0, 10, 10
	v_lshlrev_b32_e32 v1, 6, v38
	v_and_b32_e32 v24, 0x3ff, v0
	s_mov_b32 s20, 0
	s_load_dword s6, s[0:1], 0x40
	s_load_dwordx4 s[8:11], s[0:1], 0x50
	s_load_dword s24, s[0:1], 0x60
	s_load_dwordx4 s[12:15], s[0:1], 0x68
	;; [unrolled: 2-line block ×3, first 2 shown]
	s_mov_b32 s21, s20
	v_add_u16_e32 v0, v1, v24
	s_waitcnt lgkmcnt(0)
	s_lshl_b32 s19, s2, 1
	s_lshr_b32 s2, s6, 6
	s_mov_b32 s22, s20
	s_mov_b32 s23, s20
	v_mov_b64_e32 v[2:3], s[20:21]
	v_lshrrev_b16_e32 v39, 1, v0
	v_mov_b64_e32 v[4:5], s[22:23]
	v_cmp_gt_u32_e32 vcc, s2, v39
	v_lshlrev_b32_e32 v25, 2, v24
	scratch_store_dwordx4 off, v[2:5], off offset:48
	scratch_store_dwordx4 off, v[2:5], off offset:32
	scratch_store_dwordx4 off, v[2:5], off offset:16
	scratch_store_dwordx4 off, v[2:5], off
	s_and_saveexec_b64 s[6:7], vcc
	s_cbranch_execz .LBB95_4
; %bb.1:
	s_load_dwordx4 s[20:23], s[0:1], 0x0
	s_mul_i32 s17, s4, s17
	s_mul_i32 s26, s17, 36
	;; [unrolled: 1-line block ×3, first 2 shown]
	s_mul_hi_u32 s25, s17, 36
	s_waitcnt lgkmcnt(0)
	s_add_u32 s28, s22, s26
	s_addc_u32 s25, s23, s25
	s_mul_i32 s26, s13, 36
	s_mul_hi_u32 s27, s13, 36
	s_add_u32 s28, s28, s26
	s_mul_hi_u32 s11, s11, s3
	s_addc_u32 s29, s25, s27
	s_add_i32 s11, s3, s11
	s_lshr_b32 s11, s11, s24
	s_mul_i32 s11, s11, s12
	s_mul_hi_u32 s12, s15, s4
	s_add_i32 s12, s4, s12
	v_and_b32_e32 v4, 1, v24
	s_lshr_b32 s5, s12, s5
	v_mad_u64_u32 v[28:29], s[12:13], v4, 36, s[28:29]
	s_mul_i32 s15, s5, s16
	s_add_i32 s13, s19, 1
	v_and_b32_e32 v2, v1, v24
	v_xor_b32_e32 v1, v1, v24
	s_mul_i32 s16, s19, s8
	s_add_i32 s12, s15, s11
	s_mul_i32 s8, s8, s13
	v_lshrrev_b16_e32 v1, 1, v1
	s_add_i32 s11, s12, s16
	s_add_i32 s8, s12, s8
	v_add_u16_e32 v1, v2, v1
	s_movk_i32 s12, 0x48
	v_mov_b64_e32 v[2:3], s[26:27]
	v_mad_u64_u32 v[2:3], s[12:13], v1, s12, v[2:3]
	v_mad_u64_u32 v[2:3], s[12:13], s17, 36, v[2:3]
	v_and_b32_e32 v0, 4, v25
	v_mov_b32_e32 v27, 0
	v_mad_u64_u32 v[2:3], s[12:13], v4, 36, v[2:3]
	v_lshrrev_b32_e32 v26, 1, v0
	s_lshl_b32 s5, s9, 1
	v_lshlrev_b32_e32 v40, 1, v39
	v_lshl_add_u64 v[30:31], s[22:23], 0, v[2:3]
	s_mul_i32 s15, s9, 3
	s_lshl_b32 s22, s9, 2
	s_mul_i32 s23, s9, 5
	s_mul_i32 s24, s9, 6
	;; [unrolled: 1-line block ×3, first 2 shown]
	s_mov_b64 s[12:13], 0
	v_lshlrev_b32_e32 v32, 2, v0
	v_mov_b32_e32 v33, v27
	s_mov_b32 s26, 0xc080604
	v_mov_b32_e32 v41, 0x3020100
	s_mov_b32 s27, 0xf4f8fafc
	v_mov_b32_e32 v42, 0xfdfeff00
	s_movk_i32 s28, 0x7f
	s_mov_b64 s[16:17], 0x900
	v_mov_b32_e32 v12, v27
	v_mov_b32_e32 v13, v27
	;; [unrolled: 1-line block ×16, first 2 shown]
.LBB95_2:                               ; =>This Inner Loop Header: Depth=1
	v_add_u32_e32 v34, s11, v39
	v_mad_i64_i32 v[34:35], s[30:31], v34, 36, s[20:21]
	v_lshl_add_u64 v[44:45], v[34:35], 0, v[32:33]
	global_load_dword v37, v[30:31], off offset:32
	global_load_dwordx4 v[16:19], v[30:31], off offset:16
	global_load_dwordx4 v[20:23], v[30:31], off
	global_load_dwordx4 v[46:49], v[44:45], off offset:4
	v_lshl_add_u64 v[34:35], v[34:35], 0, v[26:27]
	global_load_ushort v34, v[34:35], off
	v_mov_b32_e32 v56, 0
	v_mov_b32_e32 v57, 0
	v_lshl_add_u64 v[30:31], v[30:31], 0, s[16:17]
	s_waitcnt vmcnt(2)
	v_cvt_f32_f16_e32 v20, v20
	s_waitcnt vmcnt(1)
	v_ashrrev_i32_e32 v36, 4, v46
	v_and_b32_e32 v43, 0x7070707, v46
	v_and_b32_e32 v45, 0x7070707, v36
	v_lshrrev_b32_e32 v46, 1, v46
	v_lshrrev_b32_e32 v36, 1, v36
	v_and_b32_e32 v46, 0x4040404, v46
	v_and_b32_e32 v36, 0x4040404, v36
	v_perm_b32 v44, s26, v41, v43
	v_perm_b32 v50, s26, v41, v45
	;; [unrolled: 1-line block ×4, first 2 shown]
	v_or_b32_e32 v46, 0x3020100, v46
	v_or_b32_e32 v36, 0x3020100, v36
	v_perm_b32 v43, v43, v44, v46
	v_perm_b32 v44, v45, v50, v36
	v_ashrrev_i32_e32 v36, 4, v47
	v_and_b32_e32 v45, 0x7070707, v47
	v_and_b32_e32 v50, 0x7070707, v36
	v_lshrrev_b32_e32 v47, 1, v47
	v_lshrrev_b32_e32 v36, 1, v36
	v_and_b32_e32 v47, 0x4040404, v47
	v_and_b32_e32 v36, 0x4040404, v36
	v_perm_b32 v46, s26, v41, v45
	v_perm_b32 v51, s26, v41, v50
	;; [unrolled: 1-line block ×4, first 2 shown]
	v_or_b32_e32 v47, 0x3020100, v47
	v_or_b32_e32 v36, 0x3020100, v36
	v_perm_b32 v45, v45, v46, v47
	v_perm_b32 v46, v50, v51, v36
	s_waitcnt vmcnt(0)
	v_and_b32_e32 v36, 0x7f, v34
	v_cmp_ne_u16_e32 vcc, s28, v36
	v_ashrrev_i32_e32 v36, 4, v48
	v_and_b32_e32 v47, 0x7070707, v48
	v_and_b32_e32 v51, 0x7070707, v36
	v_lshrrev_b32_e32 v48, 1, v48
	v_lshrrev_b32_e32 v36, 1, v36
	v_and_b32_e32 v48, 0x4040404, v48
	v_and_b32_e32 v36, 0x4040404, v36
	v_perm_b32 v50, s26, v41, v47
	v_perm_b32 v52, s26, v41, v51
	;; [unrolled: 1-line block ×4, first 2 shown]
	v_or_b32_e32 v48, 0x3020100, v48
	v_or_b32_e32 v36, 0x3020100, v36
	v_perm_b32 v47, v47, v50, v48
	v_perm_b32 v48, v51, v52, v36
	v_ashrrev_i32_e32 v36, 4, v49
	v_and_b32_e32 v50, 0x7070707, v49
	v_and_b32_e32 v52, 0x7070707, v36
	v_lshrrev_b32_e32 v49, 1, v49
	v_lshrrev_b32_e32 v36, 1, v36
	v_and_b32_e32 v49, 0x4040404, v49
	v_and_b32_e32 v36, 0x4040404, v36
	v_lshrrev_b16_e32 v35, 8, v34
	v_perm_b32 v51, s26, v41, v50
	v_perm_b32 v53, s26, v41, v52
	;; [unrolled: 1-line block ×4, first 2 shown]
	v_or_b32_e32 v49, 0x3020100, v49
	v_or_b32_e32 v36, 0x3020100, v36
	v_perm_b32 v49, v50, v51, v49
	v_perm_b32 v50, v52, v53, v36
	v_and_b32_e32 v36, 0x7f, v35
	v_cndmask_b32_e32 v34, 0, v34, vcc
	v_cmp_ne_u16_e32 vcc, s28, v36
	v_dot4c_i32_i8_e32 v56, v43, v21
	v_dot4c_i32_i8_e32 v56, v44, v23
	v_cndmask_b32_e32 v35, 0, v35, vcc
	v_and_b32_e32 v35, 0xffff, v35
	v_cvt_f32_fp8_sdwa v36, v35 src0_sel:BYTE_0
	v_add_u32_e32 v35, s8, v39
	v_mad_i64_i32 v[62:63], s[30:31], v35, 36, s[20:21]
	v_lshl_add_u64 v[52:53], v[62:63], 0, v[32:33]
	global_load_dwordx4 v[58:61], v[52:53], off offset:4
	v_dot4c_i32_i8_e32 v56, v45, v22
	v_dot4c_i32_i8_e32 v56, v46, v16
	v_and_b32_e32 v34, 0xff, v34
	v_cvt_f32_fp8_sdwa v34, v34 src0_sel:BYTE_0
	v_dot4c_i32_i8_e32 v57, v47, v17
	v_dot4c_i32_i8_e32 v57, v48, v19
	;; [unrolled: 1-line block ×4, first 2 shown]
	v_add_u32_e32 v39, 32, v39
	s_waitcnt vmcnt(0)
	v_ashrrev_i32_e32 v35, 4, v58
	v_and_b32_e32 v53, 0x7070707, v35
	v_lshrrev_b32_e32 v55, 1, v58
	v_lshrrev_b32_e32 v35, 1, v35
	v_and_b32_e32 v51, 0x7070707, v58
	v_and_b32_e32 v55, 0x4040404, v55
	;; [unrolled: 1-line block ×3, first 2 shown]
	v_perm_b32 v52, s26, v41, v51
	v_perm_b32 v54, s26, v41, v53
	;; [unrolled: 1-line block ×4, first 2 shown]
	v_or_b32_e32 v55, 0x3020100, v55
	v_or_b32_e32 v35, 0x3020100, v35
	v_perm_b32 v51, v51, v52, v55
	v_perm_b32 v52, v53, v54, v35
	v_ashrrev_i32_e32 v35, 4, v59
	v_and_b32_e32 v53, 0x7070707, v59
	v_and_b32_e32 v55, 0x7070707, v35
	v_lshrrev_b32_e32 v59, 1, v59
	v_lshrrev_b32_e32 v35, 1, v35
	v_and_b32_e32 v59, 0x4040404, v59
	v_and_b32_e32 v35, 0x4040404, v35
	v_perm_b32 v54, s26, v41, v53
	v_perm_b32 v58, s26, v41, v55
	v_perm_b32 v53, s27, v42, v53
	v_perm_b32 v55, s27, v42, v55
	v_or_b32_e32 v59, 0x3020100, v59
	v_or_b32_e32 v35, 0x3020100, v35
	v_perm_b32 v53, v53, v54, v59
	v_perm_b32 v54, v55, v58, v35
	v_mov_b32_e32 v58, 0
	v_dot4c_i32_i8_e32 v58, v51, v21
	v_dot4c_i32_i8_e32 v58, v52, v23
	;; [unrolled: 1-line block ×3, first 2 shown]
	v_lshl_add_u64 v[22:23], v[62:63], 0, v[26:27]
	v_dot4c_i32_i8_e32 v58, v54, v16
	global_load_ushort v16, v[22:23], off
	v_lshrrev_b32_e32 v55, 1, v60
	v_and_b32_e32 v55, 0x4040404, v55
	v_or_b32_e32 v55, 0x3020100, v55
	s_waitcnt vmcnt(0)
	v_and_b32_e32 v21, 0x7f, v16
	v_cmp_ne_u16_e32 vcc, s28, v21
	v_lshrrev_b16_e32 v59, 8, v16
	v_and_b32_e32 v21, 0x7070707, v60
	v_cndmask_b32_e32 v16, 0, v16, vcc
	v_and_b32_e32 v16, 0xff, v16
	v_cvt_f32_fp8_sdwa v35, v16 src0_sel:BYTE_0
	v_ashrrev_i32_e32 v16, 4, v60
	v_and_b32_e32 v23, 0x7070707, v16
	v_lshrrev_b32_e32 v16, 1, v16
	v_and_b32_e32 v16, 0x4040404, v16
	v_perm_b32 v22, s26, v41, v21
	v_perm_b32 v62, s26, v41, v23
	;; [unrolled: 1-line block ×4, first 2 shown]
	v_or_b32_e32 v16, 0x3020100, v16
	v_perm_b32 v55, v21, v22, v55
	v_perm_b32 v22, v23, v62, v16
	v_ashrrev_i32_e32 v16, 4, v61
	v_and_b32_e32 v21, 0x7070707, v61
	v_and_b32_e32 v60, 0x7070707, v16
	v_lshrrev_b32_e32 v61, 1, v61
	v_lshrrev_b32_e32 v16, 1, v16
	v_and_b32_e32 v61, 0x4040404, v61
	v_and_b32_e32 v16, 0x4040404, v16
	v_perm_b32 v23, s26, v41, v21
	v_perm_b32 v62, s26, v41, v60
	;; [unrolled: 1-line block ×4, first 2 shown]
	v_or_b32_e32 v61, 0x3020100, v61
	v_or_b32_e32 v16, 0x3020100, v16
	v_perm_b32 v23, v21, v23, v61
	v_perm_b32 v21, v60, v62, v16
	v_mov_b32_e32 v60, 0
	v_and_b32_e32 v16, 0x7f, v59
	v_dot4c_i32_i8_e32 v60, v55, v17
	v_cmp_ne_u16_e32 vcc, s28, v16
	v_dot4c_i32_i8_e32 v60, v22, v19
	v_dot4c_i32_i8_e32 v60, v23, v18
	v_cndmask_b32_e32 v16, 0, v59, vcc
	v_and_b32_e32 v16, 0xffff, v16
	v_dot4c_i32_i8_e32 v60, v21, v37
	v_cvt_f32_fp8_sdwa v37, v16 src0_sel:BYTE_0
	v_pk_mul_f32 v[18:19], v[34:35], 0.5 op_sel_hi:[1,0]
	v_cvt_f32_i32_e32 v35, v58
	v_cvt_f32_i32_e32 v34, v56
	;; [unrolled: 1-line block ×4, first 2 shown]
	v_pk_mul_f32 v[16:17], v[18:19], v[20:21] op_sel_hi:[1,0]
	v_cmp_le_u32_e32 vcc, s2, v39
	v_pk_fma_f32 v[34:35], v[16:17], v[34:35], 0 op_sel_hi:[1,1,0]
	v_pk_mul_f32 v[16:17], v[36:37], 0.5 op_sel_hi:[1,0]
	s_nop 0
	v_pk_mul_f32 v[36:37], v[16:17], v[20:21] op_sel_hi:[1,0]
	v_add_u32_e32 v20, s9, v40
	v_pk_fma_f32 v[34:35], v[36:37], v[58:59], v[34:35]
	v_mad_u64_u32 v[60:61], s[30:31], v20, 36, v[28:29]
	v_pk_add_f32 v[12:13], v[12:13], v[34:35]
	global_load_dword v62, v[60:61], off offset:32
	global_load_dwordx4 v[34:37], v[60:61], off offset:16
	global_load_dwordx4 v[56:59], v[60:61], off
	v_mov_b32_e32 v61, 0
	v_mov_b32_e32 v60, 0
	s_add_i32 s9, s9, 64
	s_waitcnt vmcnt(1)
	v_dot4c_i32_i8_e32 v60, v47, v35
	s_waitcnt vmcnt(0)
	v_cvt_f32_f16_e32 v20, v56
	v_mov_b32_e32 v56, 0
	v_dot4c_i32_i8_e32 v56, v43, v57
	v_dot4c_i32_i8_e32 v61, v51, v57
	v_mov_b32_e32 v57, 0
	v_dot4c_i32_i8_e32 v56, v44, v59
	v_dot4c_i32_i8_e32 v61, v52, v59
	v_dot4c_i32_i8_e32 v57, v55, v35
	v_dot4c_i32_i8_e32 v56, v45, v58
	v_dot4c_i32_i8_e32 v60, v48, v37
	v_dot4c_i32_i8_e32 v61, v53, v58
	v_dot4c_i32_i8_e32 v57, v22, v37
	v_dot4c_i32_i8_e32 v56, v46, v34
	v_dot4c_i32_i8_e32 v60, v49, v36
	v_dot4c_i32_i8_e32 v61, v54, v34
	v_dot4c_i32_i8_e32 v57, v23, v36
	v_dot4c_i32_i8_e32 v60, v50, v62
	v_dot4c_i32_i8_e32 v57, v21, v62
	v_cvt_f32_i32_e32 v37, v61
	v_cvt_f32_i32_e32 v36, v56
	v_cvt_f32_i32_e32 v56, v60
	v_cvt_f32_i32_e32 v57, v57
	v_pk_mul_f32 v[34:35], v[18:19], v[20:21] op_sel_hi:[1,0]
	s_nop 0
	v_pk_fma_f32 v[34:35], v[34:35], v[36:37], 0 op_sel_hi:[1,1,0]
	v_pk_mul_f32 v[36:37], v[16:17], v[20:21] op_sel_hi:[1,0]
	v_add_u32_e32 v20, s5, v40
	v_pk_fma_f32 v[34:35], v[36:37], v[56:57], v[34:35]
	v_mad_u64_u32 v[60:61], s[30:31], v20, 36, v[28:29]
	v_pk_add_f32 v[14:15], v[14:15], v[34:35]
	global_load_dword v62, v[60:61], off offset:32
	global_load_dwordx4 v[34:37], v[60:61], off offset:16
	global_load_dwordx4 v[56:59], v[60:61], off
	v_mov_b32_e32 v61, 0
	v_mov_b32_e32 v60, 0
	s_add_i32 s5, s5, 64
	s_waitcnt vmcnt(1)
	v_dot4c_i32_i8_e32 v60, v47, v35
	s_waitcnt vmcnt(0)
	v_cvt_f32_f16_e32 v20, v56
	v_mov_b32_e32 v56, 0
	v_dot4c_i32_i8_e32 v56, v43, v57
	v_dot4c_i32_i8_e32 v61, v51, v57
	v_mov_b32_e32 v57, 0
	v_dot4c_i32_i8_e32 v56, v44, v59
	v_dot4c_i32_i8_e32 v61, v52, v59
	v_dot4c_i32_i8_e32 v57, v55, v35
	v_dot4c_i32_i8_e32 v56, v45, v58
	v_dot4c_i32_i8_e32 v60, v48, v37
	v_dot4c_i32_i8_e32 v61, v53, v58
	v_dot4c_i32_i8_e32 v57, v22, v37
	v_dot4c_i32_i8_e32 v56, v46, v34
	v_dot4c_i32_i8_e32 v60, v49, v36
	v_dot4c_i32_i8_e32 v61, v54, v34
	v_dot4c_i32_i8_e32 v57, v23, v36
	v_dot4c_i32_i8_e32 v60, v50, v62
	v_dot4c_i32_i8_e32 v57, v21, v62
	v_cvt_f32_i32_e32 v37, v61
	v_cvt_f32_i32_e32 v36, v56
	v_cvt_f32_i32_e32 v56, v60
	v_cvt_f32_i32_e32 v57, v57
	v_pk_mul_f32 v[34:35], v[18:19], v[20:21] op_sel_hi:[1,0]
	s_nop 0
	v_pk_fma_f32 v[34:35], v[34:35], v[36:37], 0 op_sel_hi:[1,1,0]
	;; [unrolled: 39-line block ×6, first 2 shown]
	v_pk_mul_f32 v[36:37], v[16:17], v[20:21] op_sel_hi:[1,0]
	v_add_u32_e32 v20, s25, v40
	v_pk_fma_f32 v[34:35], v[36:37], v[56:57], v[34:35]
	v_mad_u64_u32 v[60:61], s[30:31], v20, 36, v[28:29]
	v_pk_add_f32 v[0:1], v[0:1], v[34:35]
	global_load_dword v62, v[60:61], off offset:32
	global_load_dwordx4 v[34:37], v[60:61], off offset:16
	global_load_dwordx4 v[56:59], v[60:61], off
	s_add_i32 s25, s25, 64
	s_or_b64 s[12:13], vcc, s[12:13]
	s_waitcnt vmcnt(0)
	v_cvt_f32_f16_e32 v20, v56
	v_mov_b32_e32 v56, 0
	v_dot4c_i32_i8_e32 v56, v43, v57
	v_dot4c_i32_i8_e32 v56, v44, v59
	v_mov_b32_e32 v44, 0
	v_dot4c_i32_i8_e32 v44, v51, v57
	v_dot4c_i32_i8_e32 v44, v52, v59
	;; [unrolled: 1-line block ×5, first 2 shown]
	v_mov_b32_e32 v43, 0
	v_dot4c_i32_i8_e32 v44, v54, v34
	v_mov_b32_e32 v34, 0
	v_dot4c_i32_i8_e32 v43, v47, v35
	v_dot4c_i32_i8_e32 v34, v55, v35
	;; [unrolled: 1-line block ×8, first 2 shown]
	v_cvt_f32_i32_e32 v23, v44
	v_cvt_f32_i32_e32 v22, v56
	v_pk_mul_f32 v[18:19], v[18:19], v[20:21] op_sel_hi:[1,0]
	v_pk_mul_f32 v[16:17], v[16:17], v[20:21] op_sel_hi:[1,0]
	v_cvt_f32_i32_e32 v21, v34
	v_cvt_f32_i32_e32 v20, v43
	v_pk_fma_f32 v[18:19], v[18:19], v[22:23], 0 op_sel_hi:[1,1,0]
	s_nop 0
	v_pk_fma_f32 v[16:17], v[16:17], v[20:21], v[18:19]
	s_nop 0
	v_pk_add_f32 v[2:3], v[2:3], v[16:17]
	s_andn2_b64 exec, exec, s[12:13]
	s_cbranch_execnz .LBB95_2
; %bb.3:
	s_or_b64 exec, exec, s[12:13]
	scratch_store_dwordx4 off, v[12:15], off
	scratch_store_dwordx4 off, v[8:11], off offset:16
	scratch_store_dwordx4 off, v[4:7], off offset:32
	;; [unrolled: 1-line block ×3, first 2 shown]
.LBB95_4:
	s_or_b64 exec, exec, s[6:7]
	s_mov_b32 s5, 0
	v_cmp_eq_u32_e32 vcc, 0, v38
	s_waitcnt lgkmcnt(0)
	; wave barrier
	s_and_saveexec_b64 s[6:7], vcc
	s_cbranch_execz .LBB95_21
; %bb.5:
	scratch_load_dwordx2 v[2:3], off, off
	v_mbcnt_lo_u32_b32 v0, -1, 0
	v_mbcnt_hi_u32_b32 v10, -1, v0
	v_and_b32_e32 v0, 64, v10
	v_xor_b32_e32 v1, 32, v10
	v_add_u32_e32 v11, 64, v0
	v_cmp_lt_i32_e32 vcc, v1, v11
	v_xor_b32_e32 v6, 16, v10
	v_xor_b32_e32 v8, 8, v10
	v_cndmask_b32_e32 v0, v10, v1, vcc
	v_lshlrev_b32_e32 v0, 2, v0
	v_cmp_lt_i32_e32 vcc, v6, v11
	v_xor_b32_e32 v9, 4, v10
	v_xor_b32_e32 v12, 2, v10
	v_cndmask_b32_e32 v1, v10, v6, vcc
	v_lshlrev_b32_e32 v1, 2, v1
	v_cmp_lt_i32_e32 vcc, v8, v11
	v_xor_b32_e32 v13, 1, v10
	s_load_dwordx2 s[0:1], s[0:1], 0x38
	s_mul_i32 s2, s3, s14
	s_mul_i32 s4, s4, s18
	s_add_i32 s2, s2, s19
	s_add_i32 s4, s2, s4
	s_lshl_b64 s[2:3], s[4:5], 2
	s_waitcnt lgkmcnt(0)
	s_add_u32 s2, s0, s2
	s_addc_u32 s3, s1, s3
	s_waitcnt vmcnt(0)
	ds_bpermute_b32 v4, v0, v2
	ds_bpermute_b32 v5, v0, v3
	s_waitcnt lgkmcnt(0)
	v_pk_add_f32 v[4:5], v[2:3], v[4:5]
	ds_bpermute_b32 v6, v1, v4
	ds_bpermute_b32 v7, v1, v5
	v_cndmask_b32_e32 v2, v10, v8, vcc
	v_lshlrev_b32_e32 v2, 2, v2
	v_cmp_lt_i32_e32 vcc, v9, v11
	s_waitcnt lgkmcnt(0)
	v_pk_add_f32 v[4:5], v[4:5], v[6:7]
	ds_bpermute_b32 v6, v2, v4
	ds_bpermute_b32 v7, v2, v5
	v_cndmask_b32_e32 v3, v10, v9, vcc
	v_lshlrev_b32_e32 v3, 2, v3
	v_cmp_lt_i32_e32 vcc, v12, v11
	;; [unrolled: 7-line block ×3, first 2 shown]
	s_waitcnt lgkmcnt(0)
	v_pk_add_f32 v[6:7], v[6:7], v[8:9]
	ds_bpermute_b32 v8, v4, v6
	ds_bpermute_b32 v9, v4, v7
	v_cndmask_b32_e32 v5, v10, v13, vcc
	v_lshlrev_b32_e32 v5, 2, v5
	v_or_b32_e32 v10, s19, v24
	v_cmp_gt_u32_e32 vcc, 2, v24
	s_waitcnt lgkmcnt(0)
	v_pk_add_f32 v[6:7], v[6:7], v[8:9]
	ds_bpermute_b32 v8, v5, v6
	ds_bpermute_b32 v9, v5, v7
	v_cmp_gt_u32_e64 s[0:1], s10, v10
	s_and_b64 s[0:1], vcc, s[0:1]
	s_waitcnt lgkmcnt(0)
	v_pk_add_f32 v[6:7], v[6:7], v[8:9]
	scratch_store_dwordx2 off, v[6:7], off
	s_and_saveexec_b64 s[4:5], s[0:1]
	s_cbranch_execz .LBB95_7
; %bb.6:
	scratch_load_dword v6, v25, off
	s_waitcnt vmcnt(0)
	global_store_dword v25, v6, s[2:3]
.LBB95_7:
	s_or_b64 exec, exec, s[4:5]
	scratch_load_dwordx2 v[6:7], off, off offset:8
	s_waitcnt vmcnt(0)
	ds_bpermute_b32 v8, v0, v6
	ds_bpermute_b32 v9, v0, v7
	s_waitcnt lgkmcnt(0)
	v_pk_add_f32 v[6:7], v[6:7], v[8:9]
	ds_bpermute_b32 v8, v1, v6
	ds_bpermute_b32 v9, v1, v7
	s_waitcnt lgkmcnt(0)
	v_pk_add_f32 v[6:7], v[6:7], v[8:9]
	;; [unrolled: 4-line block ×6, first 2 shown]
	scratch_store_dwordx2 off, v[6:7], off offset:8
	s_and_saveexec_b64 s[4:5], s[0:1]
	s_cbranch_execz .LBB95_9
; %bb.8:
	scratch_load_dword v8, v25, off offset:8
	v_add_u32_e32 v6, s10, v24
	v_mov_b32_e32 v7, 0
	v_lshl_add_u64 v[6:7], v[6:7], 2, s[2:3]
	s_waitcnt vmcnt(0)
	global_store_dword v[6:7], v8, off
.LBB95_9:
	s_or_b64 exec, exec, s[4:5]
	scratch_load_dwordx2 v[6:7], off, off offset:16
	s_waitcnt vmcnt(0)
	ds_bpermute_b32 v8, v0, v6
	ds_bpermute_b32 v9, v0, v7
	s_waitcnt lgkmcnt(0)
	v_pk_add_f32 v[6:7], v[6:7], v[8:9]
	ds_bpermute_b32 v8, v1, v6
	ds_bpermute_b32 v9, v1, v7
	s_waitcnt lgkmcnt(0)
	v_pk_add_f32 v[6:7], v[6:7], v[8:9]
	;; [unrolled: 4-line block ×6, first 2 shown]
	scratch_store_dwordx2 off, v[6:7], off offset:16
	s_and_saveexec_b64 s[4:5], s[0:1]
	s_cbranch_execz .LBB95_11
; %bb.10:
	scratch_load_dword v8, v25, off offset:16
	v_lshl_or_b32 v6, s10, 1, v24
	v_mov_b32_e32 v7, 0
	v_lshl_add_u64 v[6:7], v[6:7], 2, s[2:3]
	s_waitcnt vmcnt(0)
	global_store_dword v[6:7], v8, off
.LBB95_11:
	s_or_b64 exec, exec, s[4:5]
	scratch_load_dwordx2 v[6:7], off, off offset:24
	s_waitcnt vmcnt(0)
	ds_bpermute_b32 v8, v0, v6
	ds_bpermute_b32 v9, v0, v7
	s_waitcnt lgkmcnt(0)
	v_pk_add_f32 v[6:7], v[6:7], v[8:9]
	ds_bpermute_b32 v8, v1, v6
	ds_bpermute_b32 v9, v1, v7
	s_waitcnt lgkmcnt(0)
	v_pk_add_f32 v[6:7], v[6:7], v[8:9]
	;; [unrolled: 4-line block ×6, first 2 shown]
	scratch_store_dwordx2 off, v[6:7], off offset:24
	s_and_saveexec_b64 s[4:5], s[0:1]
	s_cbranch_execz .LBB95_13
; %bb.12:
	scratch_load_dword v8, v25, off offset:24
	v_mad_u64_u32 v[6:7], s[6:7], s10, 3, v[24:25]
	v_mov_b32_e32 v7, 0
	v_lshl_add_u64 v[6:7], v[6:7], 2, s[2:3]
	s_waitcnt vmcnt(0)
	global_store_dword v[6:7], v8, off
.LBB95_13:
	s_or_b64 exec, exec, s[4:5]
	scratch_load_dwordx2 v[6:7], off, off offset:32
	s_waitcnt vmcnt(0)
	ds_bpermute_b32 v8, v0, v6
	ds_bpermute_b32 v9, v0, v7
	s_waitcnt lgkmcnt(0)
	v_pk_add_f32 v[6:7], v[6:7], v[8:9]
	ds_bpermute_b32 v8, v1, v6
	ds_bpermute_b32 v9, v1, v7
	s_waitcnt lgkmcnt(0)
	v_pk_add_f32 v[6:7], v[6:7], v[8:9]
	;; [unrolled: 4-line block ×6, first 2 shown]
	scratch_store_dwordx2 off, v[6:7], off offset:32
	s_and_saveexec_b64 s[4:5], s[0:1]
	s_cbranch_execz .LBB95_15
; %bb.14:
	scratch_load_dword v8, v25, off offset:32
	v_lshl_or_b32 v6, s10, 2, v24
	v_mov_b32_e32 v7, 0
	v_lshl_add_u64 v[6:7], v[6:7], 2, s[2:3]
	s_waitcnt vmcnt(0)
	global_store_dword v[6:7], v8, off
.LBB95_15:
	s_or_b64 exec, exec, s[4:5]
	scratch_load_dwordx2 v[6:7], off, off offset:40
	s_waitcnt vmcnt(0)
	ds_bpermute_b32 v8, v0, v6
	ds_bpermute_b32 v9, v0, v7
	s_waitcnt lgkmcnt(0)
	v_pk_add_f32 v[6:7], v[6:7], v[8:9]
	ds_bpermute_b32 v8, v1, v6
	ds_bpermute_b32 v9, v1, v7
	s_waitcnt lgkmcnt(0)
	v_pk_add_f32 v[6:7], v[6:7], v[8:9]
	;; [unrolled: 4-line block ×6, first 2 shown]
	scratch_store_dwordx2 off, v[6:7], off offset:40
	s_and_saveexec_b64 s[4:5], s[0:1]
	s_cbranch_execz .LBB95_17
; %bb.16:
	scratch_load_dword v8, v25, off offset:40
	v_mad_u64_u32 v[6:7], s[6:7], s10, 5, v[24:25]
	v_mov_b32_e32 v7, 0
	v_lshl_add_u64 v[6:7], v[6:7], 2, s[2:3]
	s_waitcnt vmcnt(0)
	global_store_dword v[6:7], v8, off
.LBB95_17:
	s_or_b64 exec, exec, s[4:5]
	scratch_load_dwordx2 v[6:7], off, off offset:48
	s_waitcnt vmcnt(0)
	ds_bpermute_b32 v8, v0, v6
	ds_bpermute_b32 v9, v0, v7
	s_waitcnt lgkmcnt(0)
	v_pk_add_f32 v[6:7], v[6:7], v[8:9]
	ds_bpermute_b32 v8, v1, v6
	ds_bpermute_b32 v9, v1, v7
	s_waitcnt lgkmcnt(0)
	v_pk_add_f32 v[6:7], v[6:7], v[8:9]
	;; [unrolled: 4-line block ×6, first 2 shown]
	scratch_store_dwordx2 off, v[6:7], off offset:48
	s_and_saveexec_b64 s[4:5], s[0:1]
	s_cbranch_execz .LBB95_19
; %bb.18:
	scratch_load_dword v8, v25, off offset:48
	s_mul_i32 s6, s10, 6
	v_or_b32_e32 v6, s6, v24
	v_mov_b32_e32 v7, 0
	v_lshl_add_u64 v[6:7], v[6:7], 2, s[2:3]
	s_waitcnt vmcnt(0)
	global_store_dword v[6:7], v8, off
.LBB95_19:
	s_or_b64 exec, exec, s[4:5]
	scratch_load_dwordx2 v[6:7], off, off offset:56
	s_waitcnt vmcnt(0)
	ds_bpermute_b32 v8, v0, v6
	ds_bpermute_b32 v9, v0, v7
	s_waitcnt lgkmcnt(0)
	v_pk_add_f32 v[6:7], v[6:7], v[8:9]
	ds_bpermute_b32 v0, v1, v6
	ds_bpermute_b32 v1, v1, v7
	s_waitcnt lgkmcnt(0)
	v_pk_add_f32 v[0:1], v[6:7], v[0:1]
	;; [unrolled: 4-line block ×6, first 2 shown]
	scratch_store_dwordx2 off, v[0:1], off offset:56
	s_and_b64 exec, exec, s[0:1]
	s_cbranch_execz .LBB95_21
; %bb.20:
	scratch_load_dword v2, v25, off offset:56
	v_mad_u64_u32 v[0:1], s[0:1], s10, 7, v[24:25]
	v_mov_b32_e32 v1, 0
	v_lshl_add_u64 v[0:1], v[0:1], 2, s[2:3]
	s_waitcnt vmcnt(0)
	global_store_dword v[0:1], v2, off
.LBB95_21:
	s_endpgm
	.section	.rodata,"a",@progbits
	.p2align	6, 0x0
	.amdhsa_kernel _ZL13mul_mat_vec_qIL9ggml_type40ELi8ELb0ELb0EEvPKvS2_PKi31ggml_cuda_mm_fusion_args_devicePfj15HIP_vector_typeIjLj3EEjjjS8_jjjS8_jjjj
		.amdhsa_group_segment_fixed_size 0
		.amdhsa_private_segment_fixed_size 80
		.amdhsa_kernarg_size 144
		.amdhsa_user_sgpr_count 2
		.amdhsa_user_sgpr_dispatch_ptr 0
		.amdhsa_user_sgpr_queue_ptr 0
		.amdhsa_user_sgpr_kernarg_segment_ptr 1
		.amdhsa_user_sgpr_dispatch_id 0
		.amdhsa_user_sgpr_kernarg_preload_length 0
		.amdhsa_user_sgpr_kernarg_preload_offset 0
		.amdhsa_user_sgpr_private_segment_size 0
		.amdhsa_uses_dynamic_stack 0
		.amdhsa_enable_private_segment 1
		.amdhsa_system_sgpr_workgroup_id_x 1
		.amdhsa_system_sgpr_workgroup_id_y 1
		.amdhsa_system_sgpr_workgroup_id_z 1
		.amdhsa_system_sgpr_workgroup_info 0
		.amdhsa_system_vgpr_workitem_id 1
		.amdhsa_next_free_vgpr 64
		.amdhsa_next_free_sgpr 32
		.amdhsa_accum_offset 64
		.amdhsa_reserve_vcc 1
		.amdhsa_float_round_mode_32 0
		.amdhsa_float_round_mode_16_64 0
		.amdhsa_float_denorm_mode_32 3
		.amdhsa_float_denorm_mode_16_64 3
		.amdhsa_dx10_clamp 1
		.amdhsa_ieee_mode 1
		.amdhsa_fp16_overflow 0
		.amdhsa_tg_split 0
		.amdhsa_exception_fp_ieee_invalid_op 0
		.amdhsa_exception_fp_denorm_src 0
		.amdhsa_exception_fp_ieee_div_zero 0
		.amdhsa_exception_fp_ieee_overflow 0
		.amdhsa_exception_fp_ieee_underflow 0
		.amdhsa_exception_fp_ieee_inexact 0
		.amdhsa_exception_int_div_zero 0
	.end_amdhsa_kernel
	.section	.text._ZL13mul_mat_vec_qIL9ggml_type40ELi8ELb0ELb0EEvPKvS2_PKi31ggml_cuda_mm_fusion_args_devicePfj15HIP_vector_typeIjLj3EEjjjS8_jjjS8_jjjj,"axG",@progbits,_ZL13mul_mat_vec_qIL9ggml_type40ELi8ELb0ELb0EEvPKvS2_PKi31ggml_cuda_mm_fusion_args_devicePfj15HIP_vector_typeIjLj3EEjjjS8_jjjS8_jjjj,comdat
.Lfunc_end95:
	.size	_ZL13mul_mat_vec_qIL9ggml_type40ELi8ELb0ELb0EEvPKvS2_PKi31ggml_cuda_mm_fusion_args_devicePfj15HIP_vector_typeIjLj3EEjjjS8_jjjS8_jjjj, .Lfunc_end95-_ZL13mul_mat_vec_qIL9ggml_type40ELi8ELb0ELb0EEvPKvS2_PKi31ggml_cuda_mm_fusion_args_devicePfj15HIP_vector_typeIjLj3EEjjjS8_jjjS8_jjjj
                                        ; -- End function
	.section	.AMDGPU.csdata,"",@progbits
; Kernel info:
; codeLenInByte = 5296
; NumSgprs: 38
; NumVgprs: 64
; NumAgprs: 0
; TotalNumVgprs: 64
; ScratchSize: 80
; MemoryBound: 0
; FloatMode: 240
; IeeeMode: 1
; LDSByteSize: 0 bytes/workgroup (compile time only)
; SGPRBlocks: 4
; VGPRBlocks: 7
; NumSGPRsForWavesPerEU: 38
; NumVGPRsForWavesPerEU: 64
; AccumOffset: 64
; Occupancy: 8
; WaveLimiterHint : 0
; COMPUTE_PGM_RSRC2:SCRATCH_EN: 1
; COMPUTE_PGM_RSRC2:USER_SGPR: 2
; COMPUTE_PGM_RSRC2:TRAP_HANDLER: 0
; COMPUTE_PGM_RSRC2:TGID_X_EN: 1
; COMPUTE_PGM_RSRC2:TGID_Y_EN: 1
; COMPUTE_PGM_RSRC2:TGID_Z_EN: 1
; COMPUTE_PGM_RSRC2:TIDIG_COMP_CNT: 1
; COMPUTE_PGM_RSRC3_GFX90A:ACCUM_OFFSET: 15
; COMPUTE_PGM_RSRC3_GFX90A:TG_SPLIT: 0
	.section	.text._ZL17mul_mat_vec_q_moeIL9ggml_type10ELi2EEvPKvS2_PKiPfj15HIP_vector_typeIjLj3EEjjjjjjjjj,"axG",@progbits,_ZL17mul_mat_vec_q_moeIL9ggml_type10ELi2EEvPKvS2_PKiPfj15HIP_vector_typeIjLj3EEjjjjjjjjj,comdat
	.globl	_ZL17mul_mat_vec_q_moeIL9ggml_type10ELi2EEvPKvS2_PKiPfj15HIP_vector_typeIjLj3EEjjjjjjjjj ; -- Begin function _ZL17mul_mat_vec_q_moeIL9ggml_type10ELi2EEvPKvS2_PKiPfj15HIP_vector_typeIjLj3EEjjjjjjjjj
	.p2align	8
	.type	_ZL17mul_mat_vec_q_moeIL9ggml_type10ELi2EEvPKvS2_PKiPfj15HIP_vector_typeIjLj3EEjjjjjjjjj,@function
_ZL17mul_mat_vec_q_moeIL9ggml_type10ELi2EEvPKvS2_PKiPfj15HIP_vector_typeIjLj3EEjjjjjjjjj: ; @_ZL17mul_mat_vec_q_moeIL9ggml_type10ELi2EEvPKvS2_PKiPfj15HIP_vector_typeIjLj3EEjjjjjjjjj
; %bb.0:
	s_load_dwordx8 s[4:11], s[0:1], 0x30
	v_bfe_u32 v12, v0, 10, 10
	s_waitcnt lgkmcnt(0)
	v_cmp_gt_u32_e32 vcc, s11, v12
	s_and_saveexec_b64 s[12:13], vcc
	s_cbranch_execz .LBB96_7
; %bb.1:
	s_load_dword s11, s[0:1], 0x20
	s_load_dword s20, s[0:1], 0x50
	s_load_dwordx8 s[12:19], s[0:1], 0x0
	v_and_b32_e32 v13, 0x3ff, v0
	v_lshrrev_b32_e32 v14, 4, v13
	s_waitcnt lgkmcnt(0)
	s_lshr_b32 s11, s11, 8
	v_mov_b32_e32 v3, 0
	s_lshl_b32 s2, s2, 1
	v_cmp_gt_u32_e32 vcc, s11, v14
	v_mov_b32_e32 v2, v3
	s_and_saveexec_b64 s[24:25], vcc
	s_cbranch_execz .LBB96_5
; %bb.2:
	v_mul_lo_u32 v0, v12, s20
	v_mov_b32_e32 v2, s16
	v_mov_b32_e32 v3, s17
	v_add_u32_e32 v0, s3, v0
	v_mov_b32_e32 v1, 0
	v_lshl_add_u64 v[2:3], v[0:1], 2, v[2:3]
	global_load_dword v3, v[2:3], off
	s_load_dwordx4 s[20:23], s[0:1], 0x24
	v_bfe_u32 v2, v13, 3, 1
	v_and_b32_e32 v0, 15, v13
	v_and_b32_e32 v9, 7, v13
	v_lshrrev_b32_e32 v16, 4, v13
	s_waitcnt lgkmcnt(0)
	s_mul_hi_u32 s20, s20, s3
	s_add_i32 s20, s3, s20
	s_lshr_b32 s20, s20, s21
	s_mul_i32 s20, s20, s22
	s_sub_i32 s20, s3, s20
	s_mul_i32 s9, s20, s9
	s_mul_hi_u32 s20, s9, 36
	s_mul_i32 s9, s9, 36
	s_movk_i32 s23, 0x120
	v_mul_hi_u32_u24_e32 v11, 0x90, v2
	v_mul_u32_u24_e32 v10, 0x90, v2
	s_add_u32 s14, s14, s9
	v_mul_lo_u32 v15, v12, s6
	v_bfe_u32 v8, v13, 2, 1
	v_sub_u32_e32 v17, v0, v9
	v_mad_u64_u32 v[10:11], s[26:27], v16, s23, v[10:11]
	s_addc_u32 s15, s15, s20
	s_add_i32 s9, s2, 1
	s_mul_i32 s17, s2, s5
	v_add_u32_e32 v8, v17, v8
	v_mad_u64_u32 v[10:11], s[26:27], v15, 36, v[10:11]
	s_mul_i32 s5, s5, s9
	s_mov_b64 s[0:1], 0
	s_movk_i32 s6, 0x54
	v_mov_b64_e32 v[4:5], s[12:13]
	s_mov_b32 s16, 0x1010101
	s_mov_b64 s[12:13], 0x480
	v_lshlrev_b32_e32 v6, 2, v0
	v_mov_b32_e32 v7, v1
	v_mov_b32_e32 v2, v1
	v_lshlrev_b32_e32 v0, 2, v9
	v_ashrrev_i32_e32 v9, 31, v8
	v_lshl_add_u64 v[10:11], s[14:15], 0, v[10:11]
	s_waitcnt vmcnt(0)
	v_mul_lo_u32 v3, v3, s8
	v_add_u32_e32 v15, s17, v3
	v_add_u32_e32 v16, s5, v3
	v_mov_b32_e32 v3, v1
.LBB96_3:                               ; =>This Inner Loop Header: Depth=1
	v_lshl_add_u64 v[18:19], v[10:11], 0, v[0:1]
	v_add_u32_e32 v20, v15, v14
	global_load_dword v17, v[10:11], off
	global_load_dword v40, v[10:11], off offset:36
	global_load_dword v41, v[10:11], off offset:72
	;; [unrolled: 1-line block ×3, first 2 shown]
	v_add_u32_e32 v21, v16, v14
	global_load_dword v49, v[18:19], off offset:4
	global_load_dword v50, v[18:19], off offset:40
	;; [unrolled: 1-line block ×4, first 2 shown]
	v_mad_i64_i32 v[18:19], s[8:9], v20, s6, v[4:5]
	v_mad_i64_i32 v[20:21], s[8:9], v21, s6, v[4:5]
	v_lshl_add_u64 v[22:23], v[18:19], 0, v[6:7]
	v_lshl_add_u64 v[24:25], v[18:19], 0, v[8:9]
	;; [unrolled: 1-line block ×4, first 2 shown]
	global_load_dword v53, v[22:23], off offset:16
	global_load_ubyte v54, v[24:25], off offset:4
	global_load_ubyte v55, v[24:25], off offset:6
	global_load_dword v56, v[20:21], off offset:80
	global_load_ubyte v57, v[24:25], off
	global_load_ubyte v58, v[24:25], off offset:2
	global_load_dword v59, v[26:27], off offset:16
	global_load_ubyte v60, v[28:29], off
	global_load_dword v61, v[18:19], off offset:80
	global_load_ubyte v62, v[28:29], off offset:2
	global_load_ubyte v63, v[28:29], off offset:4
	;; [unrolled: 1-line block ×3, first 2 shown]
	v_mov_b32_e32 v30, 0
	v_mov_b32_e32 v38, 0
	;; [unrolled: 1-line block ×16, first 2 shown]
	v_add_u32_e32 v14, 4, v14
	v_cmp_le_u32_e32 vcc, s11, v14
	v_lshl_add_u64 v[10:11], v[10:11], 0, s[12:13]
	s_or_b64 s[0:1], vcc, s[0:1]
	s_waitcnt vmcnt(19)
	v_cvt_f32_f16_e32 v18, v17
	s_waitcnt vmcnt(18)
	v_cvt_f32_f16_e32 v19, v40
	;; [unrolled: 2-line block ×3, first 2 shown]
	s_waitcnt vmcnt(11)
	v_and_b32_e32 v22, 0x3030303, v53
	v_dot4c_i32_i8_e32 v30, v22, v49
	v_lshrrev_b32_e32 v24, 2, v53
	v_lshrrev_b32_e32 v28, 4, v53
	s_waitcnt vmcnt(7)
	v_lshrrev_b32_e32 v23, 4, v57
	s_waitcnt vmcnt(6)
	v_lshrrev_b32_e32 v26, 4, v58
	s_waitcnt vmcnt(5)
	v_and_b32_e32 v22, 0x3030303, v59
	v_dot4c_i32_i8_e32 v38, v22, v49
	v_mul_lo_u32 v22, v23, s16
	v_dot4c_i32_i8_e32 v32, v22, v49
	s_waitcnt vmcnt(4)
	v_lshrrev_b32_e32 v22, 4, v60
	v_mul_lo_u32 v22, v22, s16
	v_and_b32_e32 v24, 0x3030303, v24
	v_and_b32_e32 v28, 0x3030303, v28
	v_lshrrev_b32_e32 v29, 6, v53
	v_dot4c_i32_i8_e32 v39, v22, v49
	v_and_b32_e32 v49, 15, v54
	v_lshrrev_b32_e32 v54, 4, v54
	v_dot4c_i32_i8_e32 v31, v24, v50
	v_lshrrev_b32_e32 v24, 2, v59
	v_mul_lo_u32 v26, v26, s16
	v_dot4c_i32_i8_e32 v34, v28, v51
	v_lshrrev_b32_e32 v28, 4, v59
	v_and_b32_e32 v25, 15, v57
	v_and_b32_e32 v27, 15, v58
	;; [unrolled: 1-line block ×3, first 2 shown]
	v_dot4c_i32_i8_e32 v33, v26, v50
	s_waitcnt vmcnt(2)
	v_lshrrev_b32_e32 v26, 4, v62
	v_and_b32_e32 v29, 0x3030303, v29
	v_mul_lo_u32 v54, v54, s16
	v_and_b32_e32 v24, 0x3030303, v24
	v_and_b32_e32 v28, 0x3030303, v28
	v_mul_lo_u32 v25, v25, v30
	v_and_b32_e32 v30, 15, v62
	v_dot4c_i32_i8_e32 v35, v29, v52
	s_waitcnt vmcnt(1)
	v_and_b32_e32 v29, 15, v63
	v_lshrrev_b32_e32 v60, 4, v63
	v_lshrrev_b32_e32 v59, 6, v59
	v_dot4c_i32_i8_e32 v36, v54, v51
	v_mul_lo_u32 v26, v26, s16
	v_dot4c_i32_i8_e32 v43, v24, v50
	v_mul_lo_u32 v38, v58, v38
	;; [unrolled: 2-line block ×3, first 2 shown]
	v_and_b32_e32 v53, 15, v55
	v_cvt_f32_f16_e32 v22, v56
	v_cvt_f32_f16_sdwa v23, v56 dst_sel:DWORD dst_unused:UNUSED_PAD src0_sel:WORD_1
	v_lshrrev_b32_e32 v55, 4, v55
	v_cvt_f32_f16_e32 v56, v61
	v_cvt_f32_f16_sdwa v57, v61 dst_sel:DWORD dst_unused:UNUSED_PAD src0_sel:WORD_1
	s_waitcnt vmcnt(0)
	v_lshrrev_b32_e32 v61, 4, v64
	v_mul_lo_u32 v60, v60, s16
	v_and_b32_e32 v59, 0x3030303, v59
	v_dot4c_i32_i8_e32 v44, v26, v50
	v_cvt_f32_i32_e32 v28, v25
	v_cvt_f32_i32_e32 v25, v32
	v_mul_lo_u32 v32, v49, v34
	v_cvt_f32_i32_e32 v49, v36
	v_mul_lo_u32 v36, v30, v43
	v_mul_lo_u32 v43, v29, v45
	v_cvt_f32_i32_e32 v31, v39
	v_cvt_f32_i32_e32 v30, v38
	;; [unrolled: 1-line block ×3, first 2 shown]
	v_and_b32_e32 v54, 15, v64
	v_mul_lo_u32 v55, v55, s16
	v_mul_lo_u32 v61, v61, s16
	v_dot4c_i32_i8_e32 v46, v60, v51
	v_dot4c_i32_i8_e32 v47, v59, v52
	v_cvt_f32_i32_e32 v50, v33
	v_mul_lo_u32 v34, v53, v35
	v_cvt_f32_i32_e32 v33, v44
	v_cvt_f32_i32_e32 v38, v32
	;; [unrolled: 1-line block ×3, first 2 shown]
	v_cvt_f32_f16_e32 v21, v42
	v_dot4c_i32_i8_e32 v37, v55, v52
	v_dot4c_i32_i8_e32 v48, v61, v52
	v_mul_lo_u32 v45, v54, v47
	v_cvt_f32_i32_e32 v35, v46
	v_cvt_f32_i32_e32 v39, v34
	v_cvt_f32_i32_e32 v34, v43
	v_cvt_f32_i32_e32 v51, v37
	v_cvt_f32_i32_e32 v37, v48
	v_cvt_f32_i32_e32 v36, v45
	v_mov_b32_e32 v24, v19
	v_fma_mix_f32 v17, v17, v25, 0 op_sel_hi:[1,0,0]
	v_pk_fma_f32 v[30:31], v[18:19], v[30:31], 0 op_sel_hi:[0,1,0]
	v_pk_mul_f32 v[18:19], v[18:19], v[28:29]
	v_fma_mix_f32 v17, v40, v50, v17 op_sel_hi:[1,0,0]
	v_pk_fma_f32 v[24:25], v[24:25], v[32:33], v[30:31] op_sel_hi:[0,1,1]
	v_add_f32_e32 v18, 0, v18
	v_mov_b32_e32 v26, v21
	v_pk_mul_f32 v[28:29], v[20:21], v[38:39]
	v_fma_mix_f32 v17, v41, v49, v17 op_sel_hi:[1,0,0]
	v_pk_fma_f32 v[20:21], v[20:21], v[34:35], v[24:25] op_sel_hi:[0,1,1]
	v_add_f32_e32 v24, v18, v19
	v_fma_mix_f32 v17, v42, v51, v17 op_sel_hi:[1,0,0]
	v_pk_fma_f32 v[18:19], v[26:27], v[36:37], v[20:21] op_sel_hi:[0,1,1]
	v_add_f32_e32 v21, v24, v28
	v_mul_f32_e32 v20, v17, v57
	v_pk_mul_f32 v[18:19], v[18:19], v[22:23]
	v_add_f32_e32 v17, v21, v29
	v_mov_b32_e32 v23, v18
	v_mov_b32_e32 v21, v19
	v_mul_f32_e32 v22, v17, v56
	v_pk_add_f32 v[18:19], v[22:23], v[20:21] neg_lo:[0,1] neg_hi:[0,1]
	s_nop 0
	v_pk_add_f32 v[2:3], v[2:3], v[18:19]
	s_andn2_b64 exec, exec, s[0:1]
	s_cbranch_execnz .LBB96_3
; %bb.4:
	s_or_b64 exec, exec, s[0:1]
.LBB96_5:
	s_or_b64 exec, exec, s[24:25]
	v_mbcnt_lo_u32_b32 v0, -1, 0
	v_mbcnt_hi_u32_b32 v4, -1, v0
	v_and_b32_e32 v0, 64, v4
	v_add_u32_e32 v5, 64, v0
	v_xor_b32_e32 v0, 32, v4
	v_cmp_lt_i32_e32 vcc, v0, v5
	v_xor_b32_e32 v6, 16, v4
	s_nop 0
	v_cndmask_b32_e32 v0, v4, v0, vcc
	v_lshlrev_b32_e32 v1, 2, v0
	ds_bpermute_b32 v0, v1, v2
	ds_bpermute_b32 v1, v1, v3
	v_cmp_lt_i32_e32 vcc, v6, v5
	s_waitcnt lgkmcnt(0)
	v_pk_add_f32 v[0:1], v[2:3], v[0:1]
	v_cndmask_b32_e32 v6, v4, v6, vcc
	v_lshlrev_b32_e32 v6, 2, v6
	ds_bpermute_b32 v2, v6, v0
	ds_bpermute_b32 v3, v6, v1
	v_xor_b32_e32 v6, 8, v4
	v_cmp_lt_i32_e32 vcc, v6, v5
	s_waitcnt lgkmcnt(0)
	v_pk_add_f32 v[0:1], v[0:1], v[2:3]
	v_cndmask_b32_e32 v6, v4, v6, vcc
	v_lshlrev_b32_e32 v6, 2, v6
	ds_bpermute_b32 v2, v6, v0
	ds_bpermute_b32 v3, v6, v1
	v_xor_b32_e32 v6, 4, v4
	;; [unrolled: 8-line block ×4, first 2 shown]
	v_cmp_lt_i32_e32 vcc, v6, v5
	s_waitcnt lgkmcnt(0)
	v_pk_add_f32 v[0:1], v[0:1], v[2:3]
	v_cndmask_b32_e32 v4, v4, v6, vcc
	v_lshlrev_b32_e32 v4, 2, v4
	ds_bpermute_b32 v2, v4, v0
	ds_bpermute_b32 v3, v4, v1
	v_add_u32_e32 v4, s2, v13
	v_cmp_gt_u32_e32 vcc, 2, v13
	v_cmp_gt_u32_e64 s[0:1], s4, v4
	s_and_b64 s[0:1], vcc, s[0:1]
	s_and_b64 exec, exec, s[0:1]
	s_cbranch_execz .LBB96_7
; %bb.6:
	v_cmp_eq_u32_e32 vcc, 1, v13
	s_mul_i32 s3, s3, s10
	v_mov_b32_e32 v4, s18
	s_waitcnt lgkmcnt(0)
	v_cndmask_b32_e32 v2, v2, v3, vcc
	v_cndmask_b32_e32 v0, v0, v1, vcc
	v_add_f32_e32 v2, v0, v2
	v_mul_lo_u32 v0, v12, s7
	v_or_b32_e32 v1, s2, v13
	v_mov_b32_e32 v5, s19
	v_add3_u32 v0, v1, v0, s3
	v_mov_b32_e32 v1, 0
	v_lshl_add_u64 v[0:1], v[0:1], 2, v[4:5]
	global_store_dword v[0:1], v2, off
.LBB96_7:
	s_endpgm
	.section	.rodata,"a",@progbits
	.p2align	6, 0x0
	.amdhsa_kernel _ZL17mul_mat_vec_q_moeIL9ggml_type10ELi2EEvPKvS2_PKiPfj15HIP_vector_typeIjLj3EEjjjjjjjjj
		.amdhsa_group_segment_fixed_size 0
		.amdhsa_private_segment_fixed_size 0
		.amdhsa_kernarg_size 84
		.amdhsa_user_sgpr_count 2
		.amdhsa_user_sgpr_dispatch_ptr 0
		.amdhsa_user_sgpr_queue_ptr 0
		.amdhsa_user_sgpr_kernarg_segment_ptr 1
		.amdhsa_user_sgpr_dispatch_id 0
		.amdhsa_user_sgpr_kernarg_preload_length 0
		.amdhsa_user_sgpr_kernarg_preload_offset 0
		.amdhsa_user_sgpr_private_segment_size 0
		.amdhsa_uses_dynamic_stack 0
		.amdhsa_enable_private_segment 0
		.amdhsa_system_sgpr_workgroup_id_x 1
		.amdhsa_system_sgpr_workgroup_id_y 1
		.amdhsa_system_sgpr_workgroup_id_z 0
		.amdhsa_system_sgpr_workgroup_info 0
		.amdhsa_system_vgpr_workitem_id 1
		.amdhsa_next_free_vgpr 65
		.amdhsa_next_free_sgpr 28
		.amdhsa_accum_offset 68
		.amdhsa_reserve_vcc 1
		.amdhsa_float_round_mode_32 0
		.amdhsa_float_round_mode_16_64 0
		.amdhsa_float_denorm_mode_32 3
		.amdhsa_float_denorm_mode_16_64 3
		.amdhsa_dx10_clamp 1
		.amdhsa_ieee_mode 1
		.amdhsa_fp16_overflow 0
		.amdhsa_tg_split 0
		.amdhsa_exception_fp_ieee_invalid_op 0
		.amdhsa_exception_fp_denorm_src 0
		.amdhsa_exception_fp_ieee_div_zero 0
		.amdhsa_exception_fp_ieee_overflow 0
		.amdhsa_exception_fp_ieee_underflow 0
		.amdhsa_exception_fp_ieee_inexact 0
		.amdhsa_exception_int_div_zero 0
	.end_amdhsa_kernel
	.section	.text._ZL17mul_mat_vec_q_moeIL9ggml_type10ELi2EEvPKvS2_PKiPfj15HIP_vector_typeIjLj3EEjjjjjjjjj,"axG",@progbits,_ZL17mul_mat_vec_q_moeIL9ggml_type10ELi2EEvPKvS2_PKiPfj15HIP_vector_typeIjLj3EEjjjjjjjjj,comdat
.Lfunc_end96:
	.size	_ZL17mul_mat_vec_q_moeIL9ggml_type10ELi2EEvPKvS2_PKiPfj15HIP_vector_typeIjLj3EEjjjjjjjjj, .Lfunc_end96-_ZL17mul_mat_vec_q_moeIL9ggml_type10ELi2EEvPKvS2_PKiPfj15HIP_vector_typeIjLj3EEjjjjjjjjj
                                        ; -- End function
	.section	.AMDGPU.csdata,"",@progbits
; Kernel info:
; codeLenInByte = 1712
; NumSgprs: 34
; NumVgprs: 65
; NumAgprs: 0
; TotalNumVgprs: 65
; ScratchSize: 0
; MemoryBound: 0
; FloatMode: 240
; IeeeMode: 1
; LDSByteSize: 0 bytes/workgroup (compile time only)
; SGPRBlocks: 4
; VGPRBlocks: 8
; NumSGPRsForWavesPerEU: 34
; NumVGPRsForWavesPerEU: 65
; AccumOffset: 68
; Occupancy: 7
; WaveLimiterHint : 1
; COMPUTE_PGM_RSRC2:SCRATCH_EN: 0
; COMPUTE_PGM_RSRC2:USER_SGPR: 2
; COMPUTE_PGM_RSRC2:TRAP_HANDLER: 0
; COMPUTE_PGM_RSRC2:TGID_X_EN: 1
; COMPUTE_PGM_RSRC2:TGID_Y_EN: 1
; COMPUTE_PGM_RSRC2:TGID_Z_EN: 0
; COMPUTE_PGM_RSRC2:TIDIG_COMP_CNT: 1
; COMPUTE_PGM_RSRC3_GFX90A:ACCUM_OFFSET: 16
; COMPUTE_PGM_RSRC3_GFX90A:TG_SPLIT: 0
	.section	.text._ZL13mul_mat_vec_qIL9ggml_type10ELi1ELb1ELb1EEvPKvS2_PKi31ggml_cuda_mm_fusion_args_devicePfj15HIP_vector_typeIjLj3EEjjjS8_jjjS8_jjjj,"axG",@progbits,_ZL13mul_mat_vec_qIL9ggml_type10ELi1ELb1ELb1EEvPKvS2_PKi31ggml_cuda_mm_fusion_args_devicePfj15HIP_vector_typeIjLj3EEjjjS8_jjjS8_jjjj,comdat
	.globl	_ZL13mul_mat_vec_qIL9ggml_type10ELi1ELb1ELb1EEvPKvS2_PKi31ggml_cuda_mm_fusion_args_devicePfj15HIP_vector_typeIjLj3EEjjjS8_jjjS8_jjjj ; -- Begin function _ZL13mul_mat_vec_qIL9ggml_type10ELi1ELb1ELb1EEvPKvS2_PKi31ggml_cuda_mm_fusion_args_devicePfj15HIP_vector_typeIjLj3EEjjjS8_jjjS8_jjjj
	.p2align	8
	.type	_ZL13mul_mat_vec_qIL9ggml_type10ELi1ELb1ELb1EEvPKvS2_PKi31ggml_cuda_mm_fusion_args_devicePfj15HIP_vector_typeIjLj3EEjjjS8_jjjS8_jjjj,@function
_ZL13mul_mat_vec_qIL9ggml_type10ELi1ELb1ELb1EEvPKvS2_PKi31ggml_cuda_mm_fusion_args_devicePfj15HIP_vector_typeIjLj3EEjjjS8_jjjS8_jjjj: ; @_ZL13mul_mat_vec_qIL9ggml_type10ELi1ELb1ELb1EEvPKvS2_PKi31ggml_cuda_mm_fusion_args_devicePfj15HIP_vector_typeIjLj3EEjjjS8_jjjS8_jjjj
; %bb.0:
	s_load_dwordx8 s[16:23], s[2:3], 0x0
	s_load_dwordx4 s[36:39], s[2:3], 0x20
	s_load_dwordx4 s[40:43], s[2:3], 0x40
	;; [unrolled: 1-line block ×3, first 2 shown]
	s_mov_b32 s14, s5
	s_waitcnt lgkmcnt(0)
	s_cmp_lg_u64 s[20:21], 0
	s_cselect_b64 s[8:9], -1, 0
	s_cmp_eq_u64 s[20:21], 0
	s_mov_b64 s[10:11], 0
	s_cbranch_scc1 .LBB97_5
; %bb.1:
	s_mov_b32 s15, 0
	s_lshl_b64 s[12:13], s[14:15], 2
	s_add_u32 s12, s20, s12
	s_addc_u32 s13, s21, s13
	s_load_dword s44, s[12:13], 0x0
	s_load_dword s33, s[2:3], 0x50
	;; [unrolled: 1-line block ×3, first 2 shown]
	s_andn2_b64 vcc, exec, s[10:11]
	s_cbranch_vccnz .LBB97_3
.LBB97_2:
	s_load_dwordx2 s[10:11], s[2:3], 0x5c
	s_waitcnt lgkmcnt(0)
	s_mul_hi_u32 s5, s10, s14
	s_add_i32 s5, s14, s5
	s_lshr_b32 s44, s5, s11
.LBB97_3:
	s_andn2_b64 vcc, exec, s[8:9]
	s_cbranch_vccnz .LBB97_6
; %bb.4:
	s_mul_hi_u32 s5, s41, s14
	s_add_i32 s5, s14, s5
	s_lshr_b32 s5, s5, s42
	s_mul_i32 s5, s5, s43
	s_sub_i32 s41, s14, s5
	s_waitcnt lgkmcnt(0)
	s_mov_b32 s15, s44
	s_branch .LBB97_7
.LBB97_5:
                                        ; implicit-def: $sgpr44
	s_load_dword s33, s[2:3], 0x50
	s_load_dword s45, s[2:3], 0x78
	s_branch .LBB97_2
.LBB97_6:
	s_mov_b32 s15, s14
	s_mov_b32 s41, s14
.LBB97_7:
	s_load_dword s7, s[2:3], 0x58
	s_load_dwordx4 s[28:31], s[2:3], 0x80
	s_lshl_b32 s20, s4, 1
	s_cmp_eq_u64 s[22:23], 0
	v_and_b32_e32 v18, 0x3ff, v0
	v_bfe_u32 v23, v0, 10, 10
	s_cselect_b64 s[8:9], -1, 0
	s_and_b64 vcc, exec, s[8:9]
	v_mov_b32_e32 v19, 0
	v_cmp_gt_u32_e64 s[4:5], 2, v18
	v_cmp_eq_u32_e64 s[10:11], 0, v23
	v_or_b32_e32 v1, s20, v18
	v_mov_b32_e32 v20, 0
	s_cbranch_vccnz .LBB97_11
; %bb.8:
	s_waitcnt lgkmcnt(0)
	v_cmp_gt_u32_e32 vcc, s7, v1
	s_and_b64 s[4:5], s[4:5], vcc
	s_mov_b32 s13, 0
	s_and_b64 s[10:11], s[4:5], s[10:11]
	v_mov_b32_e32 v20, 0
	s_and_saveexec_b64 s[4:5], s[10:11]
	s_cbranch_execz .LBB97_10
; %bb.9:
	s_mul_i32 s12, s6, s30
	s_lshl_b64 s[10:11], s[12:13], 2
	s_add_u32 s21, s22, s10
	s_mul_i32 s12, s15, s26
	s_addc_u32 s22, s23, s11
	s_lshl_b64 s[10:11], s[12:13], 2
	s_add_u32 s12, s21, s10
	s_addc_u32 s13, s22, s11
	s_ashr_i32 s21, s20, 31
	s_lshl_b64 s[10:11], s[20:21], 2
	s_add_u32 s10, s12, s10
	s_addc_u32 s11, s13, s11
	v_lshlrev_b32_e32 v2, 2, v18
	global_load_dword v20, v2, s[10:11]
.LBB97_10:
	s_or_b64 exec, exec, s[4:5]
.LBB97_11:
	s_cmp_lg_u64 s[36:37], 0
	s_cselect_b64 s[34:35], -1, 0
	s_cmp_eq_u64 s[36:37], 0
	s_cselect_b64 s[22:23], -1, 0
	s_cmp_lg_u64 s[38:39], 0
	s_cselect_b64 s[4:5], -1, 0
	s_and_b64 s[10:11], s[4:5], s[34:35]
	s_andn2_b64 vcc, exec, s[10:11]
	s_cbranch_vccnz .LBB97_15
; %bb.12:
	v_cmp_gt_u32_e32 vcc, 2, v18
	s_waitcnt lgkmcnt(0)
	v_cmp_gt_u32_e64 s[12:13], s7, v1
	v_cmp_eq_u32_e64 s[10:11], 0, v23
	s_and_b64 s[12:13], vcc, s[12:13]
	s_mov_b32 s43, 0
	s_and_b64 s[12:13], s[12:13], s[10:11]
	v_mov_b32_e32 v19, 0
	s_and_saveexec_b64 s[10:11], s[12:13]
	s_cbranch_execz .LBB97_14
; %bb.13:
	s_mul_i32 s42, s6, s30
	s_lshl_b64 s[12:13], s[42:43], 2
	s_add_u32 s21, s38, s12
	s_mul_i32 s42, s15, s26
	s_addc_u32 s31, s39, s13
	s_lshl_b64 s[12:13], s[42:43], 2
	s_add_u32 s15, s21, s12
	s_addc_u32 s31, s31, s13
	s_ashr_i32 s21, s20, 31
	s_lshl_b64 s[12:13], s[20:21], 2
	s_add_u32 s12, s15, s12
	s_addc_u32 s13, s31, s13
	v_lshlrev_b32_e32 v1, 2, v18
	global_load_dword v19, v1, s[12:13]
.LBB97_14:
	s_or_b64 exec, exec, s[10:11]
.LBB97_15:
	s_load_dwordx2 s[0:1], s[0:1], 0x4
	v_bfe_u32 v1, v0, 20, 10
	v_lshl_add_u32 v0, v23, 6, v18
	s_lshr_b32 s15, s40, 8
	v_lshrrev_b32_e32 v24, 4, v0
	s_waitcnt lgkmcnt(0)
	s_lshr_b32 s0, s0, 16
	v_mul_u32_u24_e32 v2, s1, v23
	s_mul_i32 s0, s0, s1
	v_mad_u32_u24 v2, s0, v18, v2
	v_add_lshl_u32 v1, v2, v1, 3
	v_add_u32_e32 v22, 0x800, v1
	v_add_u32_e32 v21, 0x400, v1
	v_cndmask_b32_e64 v1, 0, 1, s[34:35]
	v_mov_b32_e32 v28, 0
	v_cmp_gt_u32_e32 vcc, s15, v24
	v_cmp_ne_u32_e64 s[10:11], 1, v1
	v_mov_b32_e32 v25, 0
	v_mov_b32_e32 v27, 0
	;; [unrolled: 1-line block ×3, first 2 shown]
	ds_write2_b32 v22, v28, v28 offset1:1
	ds_write2_b32 v21, v28, v28 offset1:1
	s_and_saveexec_b64 s[0:1], vcc
	s_cbranch_execz .LBB97_23
; %bb.16:
	s_mul_hi_u32 s12, s27, s6
	s_add_i32 s12, s6, s12
	s_lshr_b32 s12, s12, s45
	s_mul_i32 s13, s44, s24
	s_mul_i32 s12, s12, s28
	v_bfe_u32 v6, v18, 3, 1
	s_add_i32 s24, s12, s13
	v_lshrrev_b32_e32 v0, 4, v0
	v_mul_hi_u32_u24_e32 v7, 0x90, v6
	v_mul_u32_u24_e32 v6, 0x90, v6
	s_movk_i32 s12, 0x120
	s_mul_i32 s29, s6, s29
	s_mul_i32 s21, s20, s33
	v_mad_u64_u32 v[6:7], s[12:13], v0, s12, v[6:7]
	s_add_i32 s21, s24, s21
	s_mul_hi_u32 s12, s29, 36
	s_mul_i32 s29, s29, 36
	s_mul_i32 s25, s41, s25
	s_add_u32 s18, s18, s29
	s_mul_hi_u32 s13, s25, 36
	s_mul_i32 s25, s25, 36
	s_addc_u32 s19, s19, s12
	s_add_u32 s12, s18, s25
	v_and_b32_e32 v10, 15, v18
	v_and_b32_e32 v4, 7, v18
	s_addc_u32 s13, s19, s13
	v_sub_u32_e32 v2, v10, v4
	v_bfe_u32 v3, v18, 2, 1
	v_lshl_add_u64 v[6:7], s[12:13], 0, v[6:7]
	s_add_i32 s12, s20, 1
	v_mov_b32_e32 v1, 0
	v_add_u32_e32 v2, v2, v3
	s_mul_i32 s33, s33, s12
	v_ashrrev_i32_e32 v3, 31, v2
	v_lshlrev_b32_e32 v4, 2, v4
	v_mov_b32_e32 v5, v1
	s_add_i32 s24, s24, s33
	s_mov_b64 s[12:13], 0
	s_movk_i32 s25, 0x54
	v_mov_b64_e32 v[8:9], s[16:17]
	v_lshlrev_b32_e32 v0, 2, v10
	s_mov_b32 s27, 0x1010101
	s_mov_b64 s[18:19], 0x900
	v_mov_b32_e32 v26, v1
	v_mov_b32_e32 v25, v1
	;; [unrolled: 1-line block ×4, first 2 shown]
	s_branch .LBB97_18
.LBB97_17:                              ;   in Loop: Header=BB97_18 Depth=1
	s_waitcnt vmcnt(1)
	v_and_b32_e32 v45, 0x3030303, v41
	v_mov_b32_e32 v46, v1
	v_dot4c_i32_i8_e32 v46, v45, v34
	v_and_b32_e32 v45, 15, v44
	v_bfe_u32 v44, v44, 4, 4
	v_mul_lo_u32 v44, v44, s27
	v_mul_lo_u32 v45, v45, v46
	v_mov_b32_e32 v46, v1
	v_dot4c_i32_i8_e32 v46, v44, v34
	v_mov_b32_e32 v47, v1
	v_mov_b32_e32 v48, v1
	v_cvt_f32_i32_e32 v45, v45
	v_cvt_f32_i32_e32 v44, v46
	v_lshrrev_b32_e32 v46, 2, v41
	v_and_b32_e32 v46, 0x3030303, v46
	v_dot4c_i32_i8_e32 v47, v46, v32
	v_and_b32_e32 v46, 15, v43
	v_bfe_u32 v43, v43, 4, 4
	v_mul_lo_u32 v43, v43, s27
	v_mul_lo_u32 v46, v46, v47
	v_mov_b32_e32 v47, v1
	v_dot4c_i32_i8_e32 v47, v43, v32
	v_fma_f32 v44, v16, v44, 0
	v_cvt_f32_i32_e32 v46, v46
	v_fma_f32 v45, v16, v45, 0
	v_cvt_f32_i32_e32 v43, v47
	v_lshrrev_b32_e32 v47, 4, v41
	v_and_b32_e32 v47, 0x3030303, v47
	v_dot4c_i32_i8_e32 v48, v47, v31
	v_and_b32_e32 v47, 15, v42
	v_bfe_u32 v42, v42, 4, 4
	v_fmac_f32_e32 v44, v14, v43
	v_mul_lo_u32 v42, v42, s27
	v_mov_b32_e32 v43, v1
	v_dot4c_i32_i8_e32 v43, v42, v31
	v_lshrrev_b32_e32 v41, 6, v41
	v_and_b32_e32 v41, 0x3030303, v41
	v_mul_lo_u32 v47, v47, v48
	v_cvt_f32_i32_e32 v42, v43
	v_mov_b32_e32 v43, v1
	v_dot4c_i32_i8_e32 v43, v41, v30
	v_and_b32_e32 v41, 15, v40
	v_bfe_u32 v40, v40, 4, 4
	v_mul_lo_u32 v40, v40, s27
	v_mul_lo_u32 v41, v41, v43
	v_mov_b32_e32 v43, v1
	v_dot4c_i32_i8_e32 v43, v40, v30
	v_cvt_f32_i32_e32 v47, v47
	v_cvt_f32_i32_e32 v41, v41
	v_fmac_f32_e32 v45, v14, v46
	v_cvt_f32_i32_e32 v40, v43
	s_waitcnt vmcnt(0)
	v_cvt_f32_f16_sdwa v43, v39 dst_sel:DWORD dst_unused:UNUSED_PAD src0_sel:WORD_1
	v_fmac_f32_e32 v44, v12, v42
	v_fmac_f32_e32 v45, v12, v47
	;; [unrolled: 1-line block ×4, first 2 shown]
	v_mul_f32_e32 v40, v44, v43
	v_fma_mix_f32 v39, v45, v39, -v40 op_sel_hi:[0,1,0]
	v_add_f32_e32 v25, v25, v39
	v_and_b32_e32 v39, 0x3030303, v35
	v_mov_b32_e32 v40, v1
	v_dot4c_i32_i8_e32 v40, v39, v34
	v_and_b32_e32 v39, 15, v38
	v_bfe_u32 v38, v38, 4, 4
	v_mul_lo_u32 v38, v38, s27
	v_mul_lo_u32 v39, v39, v40
	v_mov_b32_e32 v40, v1
	v_dot4c_i32_i8_e32 v40, v38, v34
	v_lshrrev_b32_e32 v34, 2, v35
	v_and_b32_e32 v34, 0x3030303, v34
	v_mov_b32_e32 v38, v1
	v_dot4c_i32_i8_e32 v38, v34, v32
	v_and_b32_e32 v34, 15, v37
	v_bfe_u32 v37, v37, 4, 4
	v_mul_lo_u32 v37, v37, s27
	v_mul_lo_u32 v34, v34, v38
	v_mov_b32_e32 v38, v1
	v_dot4c_i32_i8_e32 v38, v37, v32
	v_lshrrev_b32_e32 v32, 4, v35
	v_and_b32_e32 v32, 0x3030303, v32
	v_mov_b32_e32 v37, v1
	v_dot4c_i32_i8_e32 v37, v32, v31
	v_and_b32_e32 v32, 15, v36
	v_add_u32_e32 v24, 8, v24
	v_cmp_le_u32_e32 vcc, s15, v24
	v_mul_lo_u32 v37, v32, v37
	v_bfe_u32 v32, v36, 4, 4
	v_mul_lo_u32 v32, v32, s27
	v_mov_b32_e32 v36, v1
	v_dot4c_i32_i8_e32 v36, v32, v31
	v_lshrrev_b32_e32 v31, 6, v35
	v_and_b32_e32 v31, 0x3030303, v31
	v_mov_b32_e32 v32, v1
	v_dot4c_i32_i8_e32 v32, v31, v30
	v_and_b32_e32 v31, 15, v33
	s_or_b64 s[12:13], vcc, s[12:13]
	v_lshl_add_u64 v[6:7], v[6:7], 0, s[18:19]
	v_mul_lo_u32 v35, v31, v32
	v_bfe_u32 v31, v33, 4, 4
	v_cvt_f32_i32_e32 v32, v39
	v_cvt_f32_i32_e32 v33, v40
	v_mul_lo_u32 v31, v31, s27
	v_mov_b32_e32 v39, v1
	v_dot4c_i32_i8_e32 v39, v31, v30
	v_cvt_f32_i32_e32 v30, v34
	v_cvt_f32_i32_e32 v31, v38
	v_pk_fma_f32 v[16:17], v[16:17], v[32:33], 0 op_sel_hi:[1,1,0]
	v_cvt_f32_i32_e32 v32, v37
	v_cvt_f32_i32_e32 v33, v36
	;; [unrolled: 1-line block ×4, first 2 shown]
	v_cvt_f32_f16_sdwa v37, v29 dst_sel:DWORD dst_unused:UNUSED_PAD src0_sel:WORD_1
	v_cvt_f32_f16_e32 v36, v29
	v_pk_fma_f32 v[14:15], v[14:15], v[30:31], v[16:17]
	s_nop 0
	v_pk_fma_f32 v[12:13], v[12:13], v[32:33], v[14:15]
	s_nop 0
	;; [unrolled: 2-line block ×3, first 2 shown]
	v_pk_mul_f32 v[10:11], v[10:11], v[36:37]
	s_nop 0
	v_sub_f32_e32 v10, v10, v11
	v_add_f32_e32 v28, v28, v10
	s_andn2_b64 exec, exec, s[12:13]
	s_cbranch_execz .LBB97_22
.LBB97_18:                              ; =>This Inner Loop Header: Depth=1
	v_lshl_add_u64 v[10:11], v[6:7], 0, v[4:5]
	v_add_u32_e32 v39, s21, v24
	global_load_dword v34, v[10:11], off offset:4
	global_load_dword v32, v[10:11], off offset:40
	;; [unrolled: 1-line block ×4, first 2 shown]
	global_load_dword v16, v[6:7], off
	global_load_dword v17, v[6:7], off offset:36
	global_load_dword v40, v[6:7], off offset:72
	;; [unrolled: 1-line block ×3, first 2 shown]
	v_mad_i64_i32 v[10:11], s[28:29], v39, s25, v[8:9]
	v_lshl_add_u64 v[14:15], v[10:11], 0, v[2:3]
	v_lshl_add_u64 v[12:13], v[10:11], 0, v[0:1]
	global_load_ubyte v38, v[14:15], off
	global_load_ubyte v37, v[14:15], off offset:2
	global_load_ubyte v36, v[14:15], off offset:4
	;; [unrolled: 1-line block ×3, first 2 shown]
	global_load_dword v35, v[12:13], off offset:16
	global_load_dword v29, v[10:11], off offset:80
	s_and_b64 vcc, exec, s[10:11]
	s_waitcnt vmcnt(9)
	v_cvt_f32_f16_e32 v16, v16
	s_waitcnt vmcnt(8)
	v_cvt_f32_f16_e32 v14, v17
	s_waitcnt vmcnt(7)
	v_cvt_f32_f16_e32 v12, v40
	s_waitcnt vmcnt(6)
	v_cvt_f32_f16_e32 v10, v41
	v_mov_b32_e32 v17, v16
	v_mov_b32_e32 v15, v14
	;; [unrolled: 1-line block ×4, first 2 shown]
	s_cbranch_vccnz .LBB97_20
; %bb.19:                               ;   in Loop: Header=BB97_18 Depth=1
	v_mov_b64_e32 v[40:41], s[36:37]
	v_mad_i64_i32 v[40:41], s[28:29], v39, s25, v[40:41]
	v_lshl_add_u64 v[42:43], v[40:41], 0, v[0:1]
	v_lshl_add_u64 v[44:45], v[40:41], 0, v[2:3]
	global_load_dword v39, v[42:43], off offset:16
	global_load_ubyte v46, v[44:45], off
	global_load_ubyte v47, v[44:45], off offset:2
	global_load_ubyte v48, v[44:45], off offset:4
	;; [unrolled: 1-line block ×3, first 2 shown]
	global_load_dword v50, v[40:41], off offset:80
	v_mov_b32_e32 v41, v1
	v_mov_b32_e32 v43, v1
	;; [unrolled: 1-line block ×8, first 2 shown]
	s_waitcnt vmcnt(5)
	v_and_b32_e32 v54, 0x3030303, v39
	s_waitcnt vmcnt(4)
	v_and_b32_e32 v55, 15, v46
	v_lshrrev_b32_e32 v46, 4, v46
	v_lshrrev_b32_e32 v56, 2, v39
	s_waitcnt vmcnt(3)
	v_and_b32_e32 v57, 15, v47
	v_lshrrev_b32_e32 v47, 4, v47
	v_lshrrev_b32_e32 v58, 4, v39
	;; [unrolled: 1-line block ×3, first 2 shown]
	v_dot4c_i32_i8_e32 v41, v54, v34
	v_mul_lo_u32 v46, v46, s27
	v_and_b32_e32 v54, 0x3030303, v56
	s_waitcnt vmcnt(2)
	v_and_b32_e32 v59, 15, v48
	v_lshrrev_b32_e32 v48, 4, v48
	v_mul_lo_u32 v47, v47, s27
	v_and_b32_e32 v56, 0x3030303, v58
	v_and_b32_e32 v39, 0x3030303, v39
	v_mul_lo_u32 v41, v55, v41
	v_dot4c_i32_i8_e32 v43, v46, v34
	v_dot4c_i32_i8_e32 v42, v54, v32
	s_waitcnt vmcnt(1)
	v_and_b32_e32 v60, 15, v49
	v_lshrrev_b32_e32 v49, 4, v49
	v_mul_lo_u32 v48, v48, s27
	v_dot4c_i32_i8_e32 v44, v47, v32
	v_dot4c_i32_i8_e32 v45, v56, v31
	;; [unrolled: 1-line block ×3, first 2 shown]
	v_mul_lo_u32 v39, v57, v42
	v_cvt_f32_i32_e32 v42, v41
	v_cvt_f32_i32_e32 v43, v43
	v_mul_lo_u32 v49, v49, s27
	v_dot4c_i32_i8_e32 v51, v48, v31
	v_mul_lo_u32 v46, v59, v45
	v_cvt_f32_i32_e32 v45, v44
	v_cvt_f32_i32_e32 v44, v39
	v_dot4c_i32_i8_e32 v53, v49, v30
	v_mul_lo_u32 v48, v60, v52
	v_cvt_f32_i32_e32 v47, v51
	v_cvt_f32_i32_e32 v46, v46
	;; [unrolled: 1-line block ×4, first 2 shown]
	s_waitcnt vmcnt(0)
	v_cvt_f32_f16_e32 v40, v50
	v_pk_fma_f32 v[42:43], v[16:17], v[42:43], 0 op_sel_hi:[1,1,0]
	v_cvt_f32_f16_sdwa v41, v50 dst_sel:DWORD dst_unused:UNUSED_PAD src0_sel:WORD_1
	v_pk_fma_f32 v[42:43], v[14:15], v[44:45], v[42:43]
	s_nop 0
	v_pk_fma_f32 v[42:43], v[12:13], v[46:47], v[42:43]
	s_nop 0
	;; [unrolled: 2-line block ×3, first 2 shown]
	v_pk_mul_f32 v[40:41], v[42:43], v[40:41]
	s_nop 0
	v_sub_f32_e32 v39, v40, v41
	v_add_f32_e32 v27, v27, v39
.LBB97_20:                              ;   in Loop: Header=BB97_18 Depth=1
	v_add_u32_e32 v45, s24, v24
	v_mov_b64_e32 v[40:41], s[16:17]
	v_mad_i64_i32 v[46:47], s[28:29], v45, s25, v[40:41]
	v_lshl_add_u64 v[50:51], v[46:47], 0, v[2:3]
	v_lshl_add_u64 v[48:49], v[46:47], 0, v[0:1]
	global_load_ubyte v44, v[50:51], off
	global_load_ubyte v43, v[50:51], off offset:2
	global_load_ubyte v42, v[50:51], off offset:4
	;; [unrolled: 1-line block ×3, first 2 shown]
	global_load_dword v41, v[48:49], off offset:16
	global_load_dword v39, v[46:47], off offset:80
	s_and_b64 vcc, exec, s[10:11]
	s_cbranch_vccnz .LBB97_17
; %bb.21:                               ;   in Loop: Header=BB97_18 Depth=1
	v_mov_b64_e32 v[46:47], s[36:37]
	v_mad_i64_i32 v[46:47], s[28:29], v45, s25, v[46:47]
	v_lshl_add_u64 v[48:49], v[46:47], 0, v[0:1]
	global_load_dword v45, v[48:49], off offset:16
	v_lshl_add_u64 v[48:49], v[46:47], 0, v[2:3]
	global_load_dword v50, v[46:47], off offset:80
	global_load_ubyte v51, v[48:49], off
	v_mov_b32_e32 v47, v1
	v_mov_b32_e32 v53, v1
	;; [unrolled: 1-line block ×4, first 2 shown]
	s_waitcnt vmcnt(2)
	v_and_b32_e32 v46, 0x3030303, v45
	v_dot4c_i32_i8_e32 v47, v46, v34
	s_waitcnt vmcnt(0)
	v_and_b32_e32 v46, 15, v51
	v_lshrrev_b32_e32 v52, 2, v45
	v_and_b32_e32 v52, 0x3030303, v52
	v_mul_lo_u32 v46, v46, v47
	v_lshrrev_b32_e32 v47, 4, v51
	v_mul_lo_u32 v47, v47, s27
	v_mov_b32_e32 v51, v1
	v_dot4c_i32_i8_e32 v51, v47, v34
	global_load_ubyte v47, v[48:49], off offset:2
	v_dot4c_i32_i8_e32 v53, v52, v32
	v_lshrrev_b32_e32 v54, 4, v45
	v_and_b32_e32 v54, 0x3030303, v54
	v_dot4c_i32_i8_e32 v55, v54, v31
	v_lshrrev_b32_e32 v45, 6, v45
	v_and_b32_e32 v45, 0x3030303, v45
	v_cvt_f32_i32_e32 v46, v46
	s_waitcnt vmcnt(0)
	v_and_b32_e32 v52, 15, v47
	v_lshrrev_b32_e32 v47, 4, v47
	v_mul_lo_u32 v52, v52, v53
	v_mul_lo_u32 v47, v47, s27
	v_mov_b32_e32 v53, v1
	v_dot4c_i32_i8_e32 v53, v47, v32
	global_load_ubyte v47, v[48:49], off offset:4
	s_waitcnt vmcnt(0)
	v_and_b32_e32 v54, 15, v47
	v_lshrrev_b32_e32 v47, 4, v47
	v_mul_lo_u32 v54, v54, v55
	v_mul_lo_u32 v47, v47, s27
	v_mov_b32_e32 v55, v1
	v_dot4c_i32_i8_e32 v55, v47, v31
	global_load_ubyte v47, v[48:49], off offset:6
	v_mov_b32_e32 v48, v1
	v_dot4c_i32_i8_e32 v48, v45, v30
	v_cvt_f32_i32_e32 v49, v53
	s_waitcnt vmcnt(0)
	v_and_b32_e32 v45, 15, v47
	v_lshrrev_b32_e32 v47, 4, v47
	v_mul_lo_u32 v47, v47, s27
	v_dot4c_i32_i8_e32 v56, v47, v30
	v_cvt_f32_i32_e32 v47, v51
	v_mul_lo_u32 v45, v45, v48
	v_cvt_f32_i32_e32 v48, v52
	v_pk_fma_f32 v[46:47], v[16:17], v[46:47], 0 op_sel_hi:[1,1,0]
	s_nop 0
	v_pk_fma_f32 v[46:47], v[14:15], v[48:49], v[46:47]
	v_cvt_f32_i32_e32 v48, v54
	v_cvt_f32_i32_e32 v49, v55
	v_pk_fma_f32 v[46:47], v[12:13], v[48:49], v[46:47]
	v_cvt_f32_i32_e32 v48, v45
	v_cvt_f32_i32_e32 v49, v56
	v_pk_fma_f32 v[46:47], v[10:11], v[48:49], v[46:47]
	v_cvt_f32_f16_e32 v48, v50
	v_cvt_f32_f16_sdwa v49, v50 dst_sel:DWORD dst_unused:UNUSED_PAD src0_sel:WORD_1
	v_pk_mul_f32 v[46:47], v[46:47], v[48:49]
	s_nop 0
	v_sub_f32_e32 v45, v46, v47
	v_add_f32_e32 v26, v26, v45
	s_branch .LBB97_17
.LBB97_22:
	s_or_b64 exec, exec, s[12:13]
	ds_write2_b32 v22, v28, v25 offset1:1
	ds_write2_b32 v21, v27, v26 offset1:1
.LBB97_23:
	s_or_b64 exec, exec, s[0:1]
	s_load_dword s15, s[2:3], 0x30
	v_cmp_eq_u32_e64 s[0:1], 0, v23
	v_cmp_ne_u32_e32 vcc, 0, v23
	v_lshlrev_b32_e32 v0, 2, v18
	s_and_saveexec_b64 s[12:13], vcc
	s_cbranch_execz .LBB97_28
; %bb.24:
	v_add_u32_e32 v1, -1, v23
	v_lshl_or_b32 v1, v1, 9, v0
	s_mov_b64 s[16:17], -1
	s_and_b64 vcc, exec, s[22:23]
	ds_write_b32 v1, v28
	s_cbranch_vccz .LBB97_26
; %bb.25:
	ds_write_b32 v1, v25 offset:256
	s_mov_b64 s[16:17], 0
.LBB97_26:
	s_andn2_b64 vcc, exec, s[16:17]
	s_cbranch_vccnz .LBB97_28
; %bb.27:
	ds_write_b32 v1, v25 offset:256
	ds_write2st64_b32 v1, v27, v26 offset0:2 offset1:3
.LBB97_28:
	s_or_b64 exec, exec, s[12:13]
	s_waitcnt lgkmcnt(0)
	s_barrier
	s_and_saveexec_b64 s[12:13], s[0:1]
	s_cbranch_execz .LBB97_61
; %bb.29:
	ds_read_b32 v2, v0
	ds_read_b32 v3, v22
	s_and_b64 vcc, exec, s[10:11]
	s_cbranch_vccnz .LBB97_31
; %bb.30:
	ds_read_b32 v1, v0 offset:512
	ds_read_b32 v4, v21
	s_waitcnt lgkmcnt(0)
	v_add_f32_e32 v1, v1, v4
	ds_write_b32 v21, v1
.LBB97_31:
	v_mbcnt_lo_u32_b32 v1, -1, 0
	v_mbcnt_hi_u32_b32 v6, -1, v1
	v_and_b32_e32 v1, 64, v6
	v_add_u32_e32 v7, 64, v1
	v_xor_b32_e32 v1, 32, v6
	v_cmp_lt_i32_e32 vcc, v1, v7
	s_waitcnt lgkmcnt(0)
	v_add_f32_e32 v3, v2, v3
	v_xor_b32_e32 v2, 16, v6
	v_cndmask_b32_e32 v1, v6, v1, vcc
	v_lshlrev_b32_e32 v1, 2, v1
	ds_bpermute_b32 v4, v1, v3
	v_cmp_lt_i32_e32 vcc, v2, v7
	v_xor_b32_e32 v10, 1, v6
	s_waitcnt lgkmcnt(0)
	v_add_f32_e32 v4, v3, v4
	v_cndmask_b32_e32 v2, v6, v2, vcc
	v_lshlrev_b32_e32 v2, 2, v2
	ds_bpermute_b32 v5, v2, v4
	v_xor_b32_e32 v3, 8, v6
	v_cmp_lt_i32_e32 vcc, v3, v7
	s_waitcnt lgkmcnt(0)
	v_add_f32_e32 v5, v4, v5
	v_cndmask_b32_e32 v3, v6, v3, vcc
	v_lshlrev_b32_e32 v3, 2, v3
	ds_bpermute_b32 v8, v3, v5
	v_xor_b32_e32 v4, 4, v6
	v_cmp_lt_i32_e32 vcc, v4, v7
	;; [unrolled: 7-line block ×3, first 2 shown]
	s_waitcnt lgkmcnt(0)
	v_add_f32_e32 v8, v8, v9
	v_cndmask_b32_e32 v5, v6, v5, vcc
	v_lshlrev_b32_e32 v5, 2, v5
	ds_bpermute_b32 v9, v5, v8
	v_cmp_lt_i32_e32 vcc, v10, v7
	s_waitcnt lgkmcnt(0)
	v_add_f32_e32 v7, v8, v9
	v_cndmask_b32_e32 v6, v6, v10, vcc
	v_lshlrev_b32_e32 v6, 2, v6
	ds_bpermute_b32 v8, v6, v7
	s_and_b64 vcc, exec, s[10:11]
	s_waitcnt lgkmcnt(0)
	v_add_f32_e32 v7, v7, v8
	ds_write_b32 v22, v7
	s_cbranch_vccnz .LBB97_33
; %bb.32:
	ds_read_b32 v7, v21
	s_waitcnt lgkmcnt(0)
	ds_bpermute_b32 v8, v1, v7
	s_waitcnt lgkmcnt(0)
	v_add_f32_e32 v7, v7, v8
	ds_bpermute_b32 v8, v2, v7
	s_waitcnt lgkmcnt(0)
	v_add_f32_e32 v7, v7, v8
	;; [unrolled: 3-line block ×6, first 2 shown]
	ds_write_b32 v21, v7
.LBB97_33:
	ds_read_b32 v7, v0 offset:256
	ds_read_b32 v8, v22 offset:4
	s_and_b64 vcc, exec, s[10:11]
	s_cbranch_vccnz .LBB97_35
; %bb.34:
	ds_read_b32 v9, v0 offset:768
	ds_read_b32 v10, v21 offset:4
	s_waitcnt lgkmcnt(0)
	v_add_f32_e32 v9, v9, v10
	ds_write_b32 v21, v9 offset:4
.LBB97_35:
	s_waitcnt lgkmcnt(0)
	v_add_f32_e32 v7, v7, v8
	ds_bpermute_b32 v8, v1, v7
	s_and_b64 vcc, exec, s[10:11]
	s_waitcnt lgkmcnt(0)
	v_add_f32_e32 v7, v7, v8
	ds_bpermute_b32 v8, v2, v7
	s_waitcnt lgkmcnt(0)
	v_add_f32_e32 v7, v7, v8
	ds_bpermute_b32 v8, v3, v7
	;; [unrolled: 3-line block ×5, first 2 shown]
	s_waitcnt lgkmcnt(0)
	v_add_f32_e32 v7, v7, v8
	ds_write_b32 v22, v7 offset:4
	s_cbranch_vccnz .LBB97_37
; %bb.36:
	ds_read_b32 v7, v21 offset:4
	s_waitcnt lgkmcnt(0)
	ds_bpermute_b32 v1, v1, v7
	s_waitcnt lgkmcnt(0)
	v_add_f32_e32 v1, v7, v1
	ds_bpermute_b32 v2, v2, v1
	s_waitcnt lgkmcnt(0)
	v_add_f32_e32 v1, v1, v2
	;; [unrolled: 3-line block ×6, first 2 shown]
	ds_write_b32 v21, v1 offset:4
.LBB97_37:
	v_add_u32_e32 v1, s20, v18
	v_cmp_gt_u32_e32 vcc, 2, v18
	v_cmp_gt_u32_e64 s[0:1], s7, v1
	s_and_b64 s[0:1], vcc, s[0:1]
	s_and_b64 exec, exec, s[0:1]
	s_cbranch_execz .LBB97_61
; %bb.38:
	v_lshl_add_u32 v1, v18, 2, v22
	ds_read_b32 v1, v1
	s_and_b64 vcc, exec, s[10:11]
	s_waitcnt vmcnt(0) lgkmcnt(0)
	v_add_f32_e32 v2, v20, v1
	v_cndmask_b32_e64 v1, v2, v1, s[8:9]
	s_cbranch_vccnz .LBB97_60
; %bb.39:
	v_lshl_add_u32 v2, v18, 2, v21
	ds_read_b32 v2, v2
	s_cmp_lt_i32 s15, 2
	s_mov_b64 s[0:1], 0
	s_waitcnt lgkmcnt(0)
	v_add_f32_e32 v3, v19, v2
	v_cndmask_b32_e64 v2, v2, v3, s[4:5]
	s_cbranch_scc1 .LBB97_43
; %bb.40:
	s_cmp_gt_i32 s15, 2
	s_cbranch_scc0 .LBB97_44
; %bb.41:
	s_cmp_eq_u32 s15, 3
	s_cbranch_scc0 .LBB97_45
; %bb.42:
	v_max_f32_e32 v3, v2, v2
	v_min_f32_e32 v3, 0x40e00000, v3
	v_mul_f32_e32 v5, 0xbfd9db23, v3
	s_mov_b32 s4, 0x3fb8aa3b
	v_mul_f32_e32 v4, 0x3fb8aa3b, v5
	v_fma_f32 v6, v5, s4, -v4
	v_rndne_f32_e32 v7, v4
	v_fmamk_f32 v6, v5, 0x32a5705f, v6
	v_sub_f32_e32 v4, v4, v7
	v_add_f32_e32 v4, v4, v6
	v_exp_f32_e32 v6, v4
	v_cvt_i32_f32_e32 v7, v7
	s_mov_b32 s4, 0xc2ce8ed0
	v_max_f32_e32 v4, v1, v1
	v_cmp_ngt_f32_e32 vcc, s4, v5
	v_ldexp_f32 v6, v6, v7
	s_mov_b32 s4, 0x42b17218
	v_min_f32_e32 v4, 0x40e00000, v4
	v_cndmask_b32_e32 v6, 0, v6, vcc
	v_mov_b32_e32 v7, 0x7f800000
	v_cmp_nlt_f32_e32 vcc, s4, v5
	v_max_f32_e32 v4, 0xc0e00000, v4
	s_nop 0
	v_cndmask_b32_e32 v5, v7, v6, vcc
	v_pk_add_f32 v[4:5], v[4:5], 1.0 op_sel_hi:[1,0]
	s_nop 0
	v_div_scale_f32 v6, s[4:5], v5, v5, v3
	v_rcp_f32_e32 v7, v6
	s_mov_b64 s[4:5], 0
	v_fma_f32 v8, -v6, v7, 1.0
	v_fmac_f32_e32 v7, v8, v7
	v_div_scale_f32 v8, vcc, v3, v5, v3
	v_mul_f32_e32 v9, v8, v7
	v_fma_f32 v10, -v6, v9, v8
	v_fmac_f32_e32 v9, v10, v7
	v_fma_f32 v6, -v6, v9, v8
	v_div_fmas_f32 v6, v6, v7, v9
	v_div_fixup_f32 v3, v6, v5, v3
	v_mul_f32_e32 v3, v4, v3
	s_branch .LBB97_46
.LBB97_43:
                                        ; implicit-def: $vgpr3
	s_mov_b64 s[4:5], 0
	s_cbranch_execnz .LBB97_50
	s_branch .LBB97_51
.LBB97_44:
	s_mov_b64 s[8:9], -1
	s_mov_b64 s[4:5], 0
                                        ; implicit-def: $vgpr3
	s_branch .LBB97_47
.LBB97_45:
	s_mov_b64 s[4:5], -1
                                        ; implicit-def: $vgpr3
.LBB97_46:
	s_mov_b64 s[8:9], 0
.LBB97_47:
	s_and_b64 vcc, exec, s[8:9]
	s_cbranch_vccz .LBB97_49
; %bb.48:
	v_mul_f32_e32 v3, 0xbfb8aa3b, v2
	s_mov_b32 s7, 0xbfb8aa3b
	v_rndne_f32_e32 v4, v3
	v_sub_f32_e32 v5, v3, v4
	v_fma_f32 v3, v2, s7, -v3
	v_fmamk_f32 v3, v2, 0xb2a5705f, v3
	v_add_f32_e32 v3, v5, v3
	v_exp_f32_e32 v3, v3
	v_cvt_i32_f32_e32 v4, v4
	s_mov_b32 s7, 0x42ce8ed0
	v_cmp_nlt_f32_e32 vcc, s7, v2
	s_mov_b32 s7, 0xc2b17218
	v_ldexp_f32 v3, v3, v4
	v_cndmask_b32_e32 v3, 0, v3, vcc
	v_mov_b32_e32 v4, 0x7f800000
	v_cmp_ngt_f32_e32 vcc, s7, v2
	s_nop 1
	v_cndmask_b32_e32 v3, v4, v3, vcc
	v_add_f32_e32 v3, 1.0, v3
	v_div_scale_f32 v4, s[8:9], v3, v3, v2
	v_rcp_f32_e32 v5, v4
	s_nop 0
	v_fma_f32 v6, -v4, v5, 1.0
	v_fmac_f32_e32 v5, v6, v5
	v_div_scale_f32 v6, vcc, v2, v3, v2
	v_mul_f32_e32 v7, v6, v5
	v_fma_f32 v8, -v4, v7, v6
	v_fmac_f32_e32 v7, v8, v5
	v_fma_f32 v4, -v4, v7, v6
	v_div_fmas_f32 v4, v4, v5, v7
	v_div_fixup_f32 v3, v4, v3, v2
	v_mul_f32_e32 v3, v1, v3
.LBB97_49:
	s_branch .LBB97_51
.LBB97_50:
	s_cmp_lg_u32 s15, 1
	s_mov_b64 s[0:1], -1
	s_cselect_b64 s[4:5], -1, 0
                                        ; implicit-def: $vgpr3
.LBB97_51:
	s_andn2_b64 vcc, exec, s[4:5]
	s_cbranch_vccz .LBB97_53
; %bb.52:
	s_andn2_b64 vcc, exec, s[0:1]
	s_cbranch_vccz .LBB97_54
	s_branch .LBB97_59
.LBB97_53:
	v_mul_f32_e32 v3, v1, v2
	s_cbranch_execnz .LBB97_59
.LBB97_54:
	v_mul_f32_e32 v4, 0x3d372713, v2
	v_mul_f32_e32 v3, 0x3f4c422a, v2
	v_fma_f32 v4, v2, v4, 1.0
	v_mul_f32_e32 v3, v3, v4
	s_mov_b32 s0, 0x3f200000
	v_cmp_nlt_f32_e64 s[0:1], |v3|, s0
                                        ; implicit-def: $vgpr4
	s_and_saveexec_b64 s[4:5], s[0:1]
	s_xor_b64 s[0:1], exec, s[4:5]
	s_cbranch_execz .LBB97_56
; %bb.55:
	v_add_f32_e64 v4, |v3|, |v3|
	v_mul_f32_e32 v5, 0x3fb8aa3b, v4
	s_mov_b32 s4, 0x3fb8aa3b
	v_rndne_f32_e32 v6, v5
	v_sub_f32_e32 v7, v5, v6
	v_fma_f32 v5, v4, s4, -v5
	v_fmamk_f32 v5, v4, 0x32a5705f, v5
	v_add_f32_e32 v5, v7, v5
	v_exp_f32_e32 v5, v5
	v_cvt_i32_f32_e32 v6, v6
	s_mov_b32 s4, 0xc2ce8ed0
	v_cmp_ngt_f32_e32 vcc, s4, v4
	s_mov_b32 s4, 0x42b17218
	v_ldexp_f32 v5, v5, v6
	v_cndmask_b32_e32 v5, 0, v5, vcc
	v_mov_b32_e32 v6, 0x7f800000
	v_cmp_nlt_f32_e32 vcc, s4, v4
	s_nop 1
	v_cndmask_b32_e32 v4, v6, v5, vcc
	v_add_f32_e32 v4, 1.0, v4
	v_rcp_f32_e32 v4, v4
	s_nop 0
	v_fma_f32 v4, v4, -2.0, 1.0
.LBB97_56:
	s_andn2_saveexec_b64 s[0:1], s[0:1]
; %bb.57:
	v_mul_f32_e32 v4, v3, v3
	v_mov_b32_e32 v5, 0x3ca908c9
	v_fmac_f32_e32 v5, 0xbbbac73d, v4
	v_fmaak_f32 v5, v4, v5, 0xbd5c1c4e
	v_fmaak_f32 v5, v4, v5, 0x3e088382
	;; [unrolled: 1-line block ×3, first 2 shown]
	v_mul_f32_e64 v5, |v3|, v5
	v_fma_f32 v4, v4, v5, |v3|
; %bb.58:
	s_or_b64 exec, exec, s[0:1]
	s_brev_b32 s0, -2
	v_bfi_b32 v3, s0, v4, v3
	v_mul_f32_e32 v2, 0.5, v2
	v_add_f32_e32 v3, 1.0, v3
	v_mul_f32_e32 v2, v2, v3
	v_mul_f32_e32 v3, v1, v2
.LBB97_59:
	v_mov_b32_e32 v1, v3
.LBB97_60:
	s_load_dwordx2 s[0:1], s[2:3], 0x38
	s_mul_i32 s4, s14, s26
	s_mul_i32 s6, s6, s30
	s_add_i32 s2, s4, s20
	s_add_i32 s2, s2, s6
	s_mov_b32 s3, 0
	s_lshl_b64 s[2:3], s[2:3], 2
	s_waitcnt lgkmcnt(0)
	s_add_u32 s0, s0, s2
	s_addc_u32 s1, s1, s3
	global_store_dword v0, v1, s[0:1]
.LBB97_61:
	s_endpgm
	.section	.rodata,"a",@progbits
	.p2align	6, 0x0
	.amdhsa_kernel _ZL13mul_mat_vec_qIL9ggml_type10ELi1ELb1ELb1EEvPKvS2_PKi31ggml_cuda_mm_fusion_args_devicePfj15HIP_vector_typeIjLj3EEjjjS8_jjjS8_jjjj
		.amdhsa_group_segment_fixed_size 3072
		.amdhsa_private_segment_fixed_size 0
		.amdhsa_kernarg_size 144
		.amdhsa_user_sgpr_count 4
		.amdhsa_user_sgpr_dispatch_ptr 1
		.amdhsa_user_sgpr_queue_ptr 0
		.amdhsa_user_sgpr_kernarg_segment_ptr 1
		.amdhsa_user_sgpr_dispatch_id 0
		.amdhsa_user_sgpr_kernarg_preload_length 0
		.amdhsa_user_sgpr_kernarg_preload_offset 0
		.amdhsa_user_sgpr_private_segment_size 0
		.amdhsa_uses_dynamic_stack 0
		.amdhsa_enable_private_segment 0
		.amdhsa_system_sgpr_workgroup_id_x 1
		.amdhsa_system_sgpr_workgroup_id_y 1
		.amdhsa_system_sgpr_workgroup_id_z 1
		.amdhsa_system_sgpr_workgroup_info 0
		.amdhsa_system_vgpr_workitem_id 2
		.amdhsa_next_free_vgpr 61
		.amdhsa_next_free_sgpr 46
		.amdhsa_accum_offset 64
		.amdhsa_reserve_vcc 1
		.amdhsa_float_round_mode_32 0
		.amdhsa_float_round_mode_16_64 0
		.amdhsa_float_denorm_mode_32 3
		.amdhsa_float_denorm_mode_16_64 3
		.amdhsa_dx10_clamp 1
		.amdhsa_ieee_mode 1
		.amdhsa_fp16_overflow 0
		.amdhsa_tg_split 0
		.amdhsa_exception_fp_ieee_invalid_op 0
		.amdhsa_exception_fp_denorm_src 0
		.amdhsa_exception_fp_ieee_div_zero 0
		.amdhsa_exception_fp_ieee_overflow 0
		.amdhsa_exception_fp_ieee_underflow 0
		.amdhsa_exception_fp_ieee_inexact 0
		.amdhsa_exception_int_div_zero 0
	.end_amdhsa_kernel
	.section	.text._ZL13mul_mat_vec_qIL9ggml_type10ELi1ELb1ELb1EEvPKvS2_PKi31ggml_cuda_mm_fusion_args_devicePfj15HIP_vector_typeIjLj3EEjjjS8_jjjS8_jjjj,"axG",@progbits,_ZL13mul_mat_vec_qIL9ggml_type10ELi1ELb1ELb1EEvPKvS2_PKi31ggml_cuda_mm_fusion_args_devicePfj15HIP_vector_typeIjLj3EEjjjS8_jjjS8_jjjj,comdat
.Lfunc_end97:
	.size	_ZL13mul_mat_vec_qIL9ggml_type10ELi1ELb1ELb1EEvPKvS2_PKi31ggml_cuda_mm_fusion_args_devicePfj15HIP_vector_typeIjLj3EEjjjS8_jjjS8_jjjj, .Lfunc_end97-_ZL13mul_mat_vec_qIL9ggml_type10ELi1ELb1ELb1EEvPKvS2_PKi31ggml_cuda_mm_fusion_args_devicePfj15HIP_vector_typeIjLj3EEjjjS8_jjjS8_jjjj
                                        ; -- End function
	.section	.AMDGPU.csdata,"",@progbits
; Kernel info:
; codeLenInByte = 4508
; NumSgprs: 52
; NumVgprs: 61
; NumAgprs: 0
; TotalNumVgprs: 61
; ScratchSize: 0
; MemoryBound: 0
; FloatMode: 240
; IeeeMode: 1
; LDSByteSize: 3072 bytes/workgroup (compile time only)
; SGPRBlocks: 6
; VGPRBlocks: 7
; NumSGPRsForWavesPerEU: 52
; NumVGPRsForWavesPerEU: 61
; AccumOffset: 64
; Occupancy: 8
; WaveLimiterHint : 0
; COMPUTE_PGM_RSRC2:SCRATCH_EN: 0
; COMPUTE_PGM_RSRC2:USER_SGPR: 4
; COMPUTE_PGM_RSRC2:TRAP_HANDLER: 0
; COMPUTE_PGM_RSRC2:TGID_X_EN: 1
; COMPUTE_PGM_RSRC2:TGID_Y_EN: 1
; COMPUTE_PGM_RSRC2:TGID_Z_EN: 1
; COMPUTE_PGM_RSRC2:TIDIG_COMP_CNT: 2
; COMPUTE_PGM_RSRC3_GFX90A:ACCUM_OFFSET: 15
; COMPUTE_PGM_RSRC3_GFX90A:TG_SPLIT: 0
	.section	.text._ZL13mul_mat_vec_qIL9ggml_type10ELi1ELb0ELb1EEvPKvS2_PKi31ggml_cuda_mm_fusion_args_devicePfj15HIP_vector_typeIjLj3EEjjjS8_jjjS8_jjjj,"axG",@progbits,_ZL13mul_mat_vec_qIL9ggml_type10ELi1ELb0ELb1EEvPKvS2_PKi31ggml_cuda_mm_fusion_args_devicePfj15HIP_vector_typeIjLj3EEjjjS8_jjjS8_jjjj,comdat
	.globl	_ZL13mul_mat_vec_qIL9ggml_type10ELi1ELb0ELb1EEvPKvS2_PKi31ggml_cuda_mm_fusion_args_devicePfj15HIP_vector_typeIjLj3EEjjjS8_jjjS8_jjjj ; -- Begin function _ZL13mul_mat_vec_qIL9ggml_type10ELi1ELb0ELb1EEvPKvS2_PKi31ggml_cuda_mm_fusion_args_devicePfj15HIP_vector_typeIjLj3EEjjjS8_jjjS8_jjjj
	.p2align	8
	.type	_ZL13mul_mat_vec_qIL9ggml_type10ELi1ELb0ELb1EEvPKvS2_PKi31ggml_cuda_mm_fusion_args_devicePfj15HIP_vector_typeIjLj3EEjjjS8_jjjS8_jjjj,@function
_ZL13mul_mat_vec_qIL9ggml_type10ELi1ELb0ELb1EEvPKvS2_PKi31ggml_cuda_mm_fusion_args_devicePfj15HIP_vector_typeIjLj3EEjjjS8_jjjS8_jjjj: ; @_ZL13mul_mat_vec_qIL9ggml_type10ELi1ELb0ELb1EEvPKvS2_PKi31ggml_cuda_mm_fusion_args_devicePfj15HIP_vector_typeIjLj3EEjjjS8_jjjS8_jjjj
; %bb.0:
	s_load_dwordx2 s[8:9], s[2:3], 0x10
	s_load_dwordx4 s[16:19], s[2:3], 0x40
	s_mov_b32 s20, s5
	s_mov_b64 s[14:15], 0
	s_waitcnt lgkmcnt(0)
	s_cmp_lg_u64 s[8:9], 0
	s_cselect_b64 s[12:13], -1, 0
	s_cmp_eq_u64 s[8:9], 0
	s_cbranch_scc1 .LBB98_5
; %bb.1:
	s_mov_b32 s21, 0
	s_lshl_b64 s[10:11], s[20:21], 2
	s_add_u32 s8, s8, s10
	s_addc_u32 s9, s9, s11
	s_load_dword s21, s[8:9], 0x0
	s_nop 0
	s_load_dwordx4 s[8:11], s[2:3], 0x68
	s_load_dword s5, s[2:3], 0x50
	s_andn2_b64 vcc, exec, s[14:15]
	s_cbranch_vccnz .LBB98_3
.LBB98_2:
	s_load_dwordx2 s[14:15], s[2:3], 0x5c
	s_waitcnt lgkmcnt(0)
	s_mul_hi_u32 s7, s14, s20
	s_add_i32 s7, s20, s7
	s_lshr_b32 s21, s7, s15
.LBB98_3:
	s_load_dword s22, s[2:3], 0x78
	s_andn2_b64 vcc, exec, s[12:13]
	s_cbranch_vccnz .LBB98_6
; %bb.4:
	s_mul_hi_u32 s7, s17, s20
	s_add_i32 s7, s20, s7
	s_lshr_b32 s7, s7, s18
	s_mul_i32 s7, s7, s19
	s_sub_i32 s23, s20, s7
	s_branch .LBB98_7
.LBB98_5:
                                        ; implicit-def: $sgpr21
	s_load_dwordx4 s[8:11], s[2:3], 0x68
	s_load_dword s5, s[2:3], 0x50
	s_branch .LBB98_2
.LBB98_6:
	s_mov_b32 s23, s20
.LBB98_7:
	s_load_dwordx2 s[18:19], s[0:1], 0x4
	s_load_dwordx4 s[12:15], s[2:3], 0x80
	v_bfe_u32 v14, v0, 10, 10
	v_and_b32_e32 v13, 0x3ff, v0
	v_bfe_u32 v0, v0, 20, 10
	s_waitcnt lgkmcnt(0)
	s_lshr_b32 s0, s18, 16
	v_mul_u32_u24_e32 v1, s19, v14
	s_mul_i32 s0, s0, s19
	v_mad_u32_u24 v1, s0, v13, v1
	v_lshl_add_u32 v6, v14, 6, v13
	v_add_lshl_u32 v0, v1, v0, 3
	s_lshr_b32 s15, s16, 8
	v_mov_b32_e32 v5, 0
	v_lshrrev_b32_e32 v15, 4, v6
	v_add_u32_e32 v12, 0x200, v0
	s_lshl_b32 s7, s4, 1
	v_cmp_gt_u32_e32 vcc, s15, v15
	v_mov_b32_e32 v4, v5
	ds_write2_b32 v0, v5, v5 offset0:128 offset1:129
	s_and_saveexec_b64 s[0:1], vcc
	s_cbranch_execz .LBB98_11
; %bb.8:
	s_mul_i32 s4, s6, s13
	s_mul_i32 s13, s23, s9
	s_mul_hi_u32 s9, s11, s6
	s_add_i32 s9, s6, s9
	s_load_dwordx4 s[16:19], s[2:3], 0x0
	s_lshr_b32 s9, s9, s22
	s_mul_i32 s8, s21, s8
	s_mul_i32 s9, s9, s12
	v_lshrrev_b32_e32 v5, 4, v6
	v_bfe_u32 v6, v13, 3, 1
	s_add_i32 s12, s9, s8
	v_mul_hi_u32_u24_e32 v7, 0x90, v6
	v_mul_u32_u24_e32 v6, 0x90, v6
	s_movk_i32 s8, 0x120
	s_mul_i32 s11, s7, s5
	v_mad_u64_u32 v[6:7], s[8:9], v5, s8, v[6:7]
	s_add_i32 s11, s12, s11
	s_mul_hi_u32 s8, s4, 36
	s_mul_i32 s4, s4, 36
	s_waitcnt lgkmcnt(0)
	s_add_u32 s4, s18, s4
	s_mul_hi_u32 s9, s13, 36
	s_mul_i32 s13, s13, 36
	s_addc_u32 s18, s19, s8
	v_and_b32_e32 v4, 15, v13
	v_and_b32_e32 v0, 7, v13
	s_add_u32 s8, s4, s13
	v_sub_u32_e32 v2, v4, v0
	v_bfe_u32 v3, v13, 2, 1
	s_addc_u32 s9, s18, s9
	s_add_i32 s4, s7, 1
	v_mov_b32_e32 v1, 0
	v_add_u32_e32 v2, v2, v3
	s_mul_i32 s5, s5, s4
	v_ashrrev_i32_e32 v3, 31, v2
	v_lshlrev_b32_e32 v0, 2, v0
	v_lshl_add_u64 v[6:7], s[8:9], 0, v[6:7]
	s_add_i32 s12, s12, s5
	s_mov_b64 s[4:5], 0
	s_movk_i32 s13, 0x54
	v_mov_b64_e32 v[8:9], s[16:17]
	v_lshlrev_b32_e32 v10, 2, v4
	v_mov_b32_e32 v11, v1
	s_mov_b32 s16, 0x1010101
	s_mov_b64 s[8:9], 0x900
	v_mov_b32_e32 v4, v1
	v_mov_b32_e32 v5, v1
.LBB98_9:                               ; =>This Inner Loop Header: Depth=1
	v_lshl_add_u64 v[16:17], v[6:7], 0, v[0:1]
	v_add_u32_e32 v18, s11, v15
	global_load_dword v28, v[6:7], off
	global_load_dword v29, v[6:7], off offset:36
	global_load_dword v30, v[6:7], off offset:72
	global_load_dword v31, v[6:7], off offset:108
	v_add_u32_e32 v19, s12, v15
	global_load_dword v48, v[16:17], off offset:4
	global_load_dword v49, v[16:17], off offset:40
	;; [unrolled: 1-line block ×4, first 2 shown]
	v_mad_i64_i32 v[16:17], s[18:19], v18, s13, v[8:9]
	v_mad_i64_i32 v[18:19], s[18:19], v19, s13, v[8:9]
	v_lshl_add_u64 v[20:21], v[16:17], 0, v[10:11]
	v_lshl_add_u64 v[22:23], v[16:17], 0, v[2:3]
	;; [unrolled: 1-line block ×4, first 2 shown]
	global_load_dword v52, v[20:21], off offset:16
	global_load_ubyte v53, v[22:23], off
	global_load_dword v54, v[24:25], off offset:16
	global_load_ubyte v55, v[26:27], off
	global_load_ubyte v56, v[22:23], off offset:2
	global_load_ubyte v57, v[22:23], off offset:4
	global_load_dword v58, v[18:19], off offset:80
	global_load_ubyte v59, v[22:23], off offset:6
	global_load_dword v60, v[16:17], off offset:80
	global_load_ubyte v61, v[26:27], off offset:2
	global_load_ubyte v62, v[26:27], off offset:4
	global_load_ubyte v63, v[26:27], off offset:6
	v_mov_b32_e32 v32, 0
	v_mov_b32_e32 v33, 0
	v_mov_b32_e32 v37, 0
	v_mov_b32_e32 v36, 0
	v_mov_b32_e32 v38, 0
	v_mov_b32_e32 v39, 0
	v_mov_b32_e32 v40, 0
	v_mov_b32_e32 v43, 0
	v_mov_b32_e32 v34, 0
	v_mov_b32_e32 v35, 0
	v_mov_b32_e32 v41, 0
	v_mov_b32_e32 v42, 0
	v_mov_b32_e32 v45, 0
	v_mov_b32_e32 v46, 0
	v_mov_b32_e32 v47, 0
	v_mov_b32_e32 v44, 0
	v_add_u32_e32 v15, 8, v15
	v_cmp_le_u32_e32 vcc, s15, v15
	v_lshl_add_u64 v[6:7], v[6:7], 0, s[8:9]
	s_or_b64 s[4:5], vcc, s[4:5]
	s_waitcnt vmcnt(19)
	v_cvt_f32_f16_e32 v16, v28
	s_waitcnt vmcnt(18)
	v_cvt_f32_f16_e32 v18, v29
	;; [unrolled: 2-line block ×3, first 2 shown]
	s_waitcnt vmcnt(11)
	v_and_b32_e32 v17, 0x3030303, v52
	s_waitcnt vmcnt(10)
	v_lshrrev_b32_e32 v19, 4, v53
	v_lshrrev_b32_e32 v28, 6, v52
	s_waitcnt vmcnt(9)
	v_and_b32_e32 v24, 0x3030303, v54
	s_waitcnt vmcnt(8)
	v_lshrrev_b32_e32 v25, 4, v55
	v_lshrrev_b32_e32 v29, 2, v54
	v_mul_lo_u32 v19, v19, s16
	v_dot4c_i32_i8_e32 v32, v17, v48
	v_lshrrev_b32_e32 v17, 4, v54
	v_dot4c_i32_i8_e32 v37, v24, v48
	v_mul_lo_u32 v24, v25, s16
	v_dot4c_i32_i8_e32 v33, v19, v48
	s_waitcnt vmcnt(6)
	v_lshrrev_b32_e32 v19, 4, v57
	v_and_b32_e32 v28, 0x3030303, v28
	v_and_b32_e32 v29, 0x3030303, v29
	v_cvt_f32_f16_e32 v22, v31
	v_lshrrev_b32_e32 v21, 2, v52
	v_lshrrev_b32_e32 v23, 4, v52
	;; [unrolled: 1-line block ×4, first 2 shown]
	v_dot4c_i32_i8_e32 v38, v24, v48
	v_and_b32_e32 v48, 15, v55
	v_and_b32_e32 v52, 15, v53
	s_waitcnt vmcnt(2)
	v_lshrrev_b32_e32 v54, 4, v61
	v_dot4c_i32_i8_e32 v36, v28, v51
	s_waitcnt vmcnt(1)
	v_lshrrev_b32_e32 v28, 4, v62
	v_dot4c_i32_i8_e32 v39, v29, v49
	s_waitcnt vmcnt(0)
	v_lshrrev_b32_e32 v29, 4, v63
	v_and_b32_e32 v17, 0x3030303, v17
	v_mul_lo_u32 v19, v19, s16
	v_and_b32_e32 v21, 0x3030303, v21
	v_and_b32_e32 v23, 0x3030303, v23
	;; [unrolled: 1-line block ×3, first 2 shown]
	v_mul_lo_u32 v31, v31, s16
	v_mul_lo_u32 v54, v54, s16
	;; [unrolled: 1-line block ×4, first 2 shown]
	v_dot4c_i32_i8_e32 v40, v17, v50
	v_dot4c_i32_i8_e32 v43, v19, v50
	v_mul_lo_u32 v17, v52, v32
	v_mul_lo_u32 v19, v48, v37
	v_dot4c_i32_i8_e32 v34, v21, v49
	v_lshrrev_b32_e32 v21, 4, v59
	v_dot4c_i32_i8_e32 v35, v23, v50
	v_and_b32_e32 v23, 15, v61
	v_and_b32_e32 v53, 15, v56
	v_dot4c_i32_i8_e32 v41, v30, v51
	v_dot4c_i32_i8_e32 v42, v31, v49
	;; [unrolled: 1-line block ×5, first 2 shown]
	v_cvt_f32_i32_e32 v29, v19
	v_cvt_f32_i32_e32 v28, v17
	;; [unrolled: 1-line block ×4, first 2 shown]
	v_and_b32_e32 v55, 15, v62
	v_and_b32_e32 v56, 15, v57
	v_mul_lo_u32 v21, v21, s16
	v_mul_lo_u32 v17, v53, v34
	;; [unrolled: 1-line block ×3, first 2 shown]
	v_cvt_f32_i32_e32 v33, v45
	v_cvt_f32_i32_e32 v32, v42
	v_cvt_f32_f16_e32 v25, v58
	v_cvt_f32_f16_sdwa v27, v58 dst_sel:DWORD dst_unused:UNUSED_PAD src0_sel:WORD_1
	v_and_b32_e32 v57, 15, v63
	v_and_b32_e32 v58, 15, v59
	v_dot4c_i32_i8_e32 v44, v21, v51
	v_mul_lo_u32 v21, v56, v35
	v_mul_lo_u32 v23, v55, v40
	v_cvt_f32_i32_e32 v35, v46
	v_cvt_f32_i32_e32 v34, v43
	;; [unrolled: 1-line block ×4, first 2 shown]
	v_mul_lo_u32 v42, v58, v36
	v_mul_lo_u32 v43, v57, v41
	v_cvt_f32_i32_e32 v37, v47
	v_cvt_f32_i32_e32 v36, v44
	;; [unrolled: 1-line block ×4, first 2 shown]
	v_cvt_f32_f16_sdwa v26, v60 dst_sel:DWORD dst_unused:UNUSED_PAD src0_sel:WORD_1
	v_cvt_f32_i32_e32 v43, v43
	v_cvt_f32_i32_e32 v42, v42
	v_pk_fma_f32 v[28:29], v[16:17], v[28:29], 0 op_sel_hi:[0,1,0]
	v_pk_fma_f32 v[16:17], v[16:17], v[30:31], 0 op_sel_hi:[0,1,0]
	v_cvt_f32_f16_e32 v24, v60
	v_pk_fma_f32 v[16:17], v[18:19], v[32:33], v[16:17] op_sel_hi:[0,1,1]
	v_pk_fma_f32 v[28:29], v[18:19], v[38:39], v[28:29] op_sel_hi:[0,1,1]
	;; [unrolled: 1-line block ×6, first 2 shown]
	v_pk_mul_f32 v[16:17], v[16:17], v[26:27]
	s_nop 0
	v_pk_fma_f32 v[16:17], v[18:19], v[24:25], v[16:17] neg_lo:[0,0,1] neg_hi:[0,0,1]
	s_nop 0
	v_pk_add_f32 v[4:5], v[4:5], v[16:17]
	s_andn2_b64 exec, exec, s[4:5]
	s_cbranch_execnz .LBB98_9
; %bb.10:
	s_or_b64 exec, exec, s[4:5]
	ds_write2_b32 v12, v4, v5 offset1:1
.LBB98_11:
	s_or_b64 exec, exec, s[0:1]
	v_cmp_eq_u32_e32 vcc, 0, v14
	v_cmp_ne_u32_e64 s[0:1], 0, v14
	v_lshlrev_b32_e32 v0, 2, v13
	s_and_saveexec_b64 s[4:5], s[0:1]
	s_cbranch_execz .LBB98_13
; %bb.12:
	v_lshl_or_b32 v1, v14, 9, v0
	v_add_u32_e32 v1, 0xfffffe00, v1
	ds_write2st64_b32 v1, v4, v5 offset1:1
.LBB98_13:
	s_or_b64 exec, exec, s[4:5]
	s_waitcnt lgkmcnt(0)
	s_barrier
	s_and_saveexec_b64 s[0:1], vcc
	s_cbranch_execz .LBB98_16
; %bb.14:
	v_mbcnt_lo_u32_b32 v1, -1, 0
	v_mbcnt_hi_u32_b32 v1, -1, v1
	v_and_b32_e32 v2, 64, v1
	v_add_u32_e32 v6, 64, v2
	ds_read2st64_b32 v[2:3], v0 offset1:1
	ds_read2_b32 v[4:5], v12 offset1:1
	v_xor_b32_e32 v7, 32, v1
	v_cmp_lt_i32_e32 vcc, v7, v6
	s_load_dword s0, s[2:3], 0x58
	s_mov_b32 s5, 0
	v_cndmask_b32_e32 v7, v1, v7, vcc
	v_lshlrev_b32_e32 v7, 2, v7
	s_waitcnt lgkmcnt(0)
	v_pk_add_f32 v[2:3], v[2:3], v[4:5]
	ds_bpermute_b32 v4, v7, v2
	ds_bpermute_b32 v5, v7, v3
	v_xor_b32_e32 v7, 16, v1
	v_cmp_lt_i32_e32 vcc, v7, v6
	s_waitcnt lgkmcnt(0)
	v_pk_add_f32 v[2:3], v[2:3], v[4:5]
	v_cndmask_b32_e32 v7, v1, v7, vcc
	v_lshlrev_b32_e32 v7, 2, v7
	ds_bpermute_b32 v4, v7, v2
	ds_bpermute_b32 v5, v7, v3
	v_xor_b32_e32 v7, 8, v1
	v_cmp_lt_i32_e32 vcc, v7, v6
	s_waitcnt lgkmcnt(0)
	v_pk_add_f32 v[2:3], v[2:3], v[4:5]
	v_cndmask_b32_e32 v7, v1, v7, vcc
	v_lshlrev_b32_e32 v7, 2, v7
	ds_bpermute_b32 v4, v7, v2
	ds_bpermute_b32 v5, v7, v3
	v_xor_b32_e32 v7, 4, v1
	v_cmp_lt_i32_e32 vcc, v7, v6
	s_waitcnt lgkmcnt(0)
	v_pk_add_f32 v[2:3], v[2:3], v[4:5]
	v_cndmask_b32_e32 v7, v1, v7, vcc
	v_lshlrev_b32_e32 v7, 2, v7
	ds_bpermute_b32 v4, v7, v2
	ds_bpermute_b32 v5, v7, v3
	v_xor_b32_e32 v7, 2, v1
	v_cmp_lt_i32_e32 vcc, v7, v6
	s_waitcnt lgkmcnt(0)
	v_pk_add_f32 v[2:3], v[2:3], v[4:5]
	v_cndmask_b32_e32 v7, v1, v7, vcc
	v_lshlrev_b32_e32 v7, 2, v7
	ds_bpermute_b32 v4, v7, v2
	ds_bpermute_b32 v5, v7, v3
	v_xor_b32_e32 v7, 1, v1
	v_cmp_lt_i32_e32 vcc, v7, v6
	s_waitcnt lgkmcnt(0)
	v_pk_add_f32 v[2:3], v[2:3], v[4:5]
	v_cndmask_b32_e32 v1, v1, v7, vcc
	v_lshlrev_b32_e32 v1, 2, v1
	ds_bpermute_b32 v4, v1, v2
	ds_bpermute_b32 v5, v1, v3
	v_or_b32_e32 v1, s7, v13
	v_cmp_gt_u32_e32 vcc, 2, v13
	v_cmp_gt_u32_e64 s[0:1], s0, v1
	s_and_b64 s[0:1], vcc, s[0:1]
	s_waitcnt lgkmcnt(0)
	v_pk_add_f32 v[2:3], v[2:3], v[4:5]
	ds_write2_b32 v12, v2, v3 offset1:1
	s_and_b64 exec, exec, s[0:1]
	s_cbranch_execz .LBB98_16
; %bb.15:
	s_load_dwordx2 s[0:1], s[2:3], 0x38
	s_mul_i32 s2, s20, s10
	v_add_u32_e32 v1, v12, v0
	s_add_i32 s2, s2, s7
	s_mul_i32 s6, s6, s14
	ds_read_b32 v1, v1
	s_add_i32 s4, s2, s6
	s_lshl_b64 s[2:3], s[4:5], 2
	s_waitcnt lgkmcnt(0)
	s_add_u32 s0, s0, s2
	s_addc_u32 s1, s1, s3
	global_store_dword v0, v1, s[0:1]
.LBB98_16:
	s_endpgm
	.section	.rodata,"a",@progbits
	.p2align	6, 0x0
	.amdhsa_kernel _ZL13mul_mat_vec_qIL9ggml_type10ELi1ELb0ELb1EEvPKvS2_PKi31ggml_cuda_mm_fusion_args_devicePfj15HIP_vector_typeIjLj3EEjjjS8_jjjS8_jjjj
		.amdhsa_group_segment_fixed_size 1536
		.amdhsa_private_segment_fixed_size 0
		.amdhsa_kernarg_size 144
		.amdhsa_user_sgpr_count 4
		.amdhsa_user_sgpr_dispatch_ptr 1
		.amdhsa_user_sgpr_queue_ptr 0
		.amdhsa_user_sgpr_kernarg_segment_ptr 1
		.amdhsa_user_sgpr_dispatch_id 0
		.amdhsa_user_sgpr_kernarg_preload_length 0
		.amdhsa_user_sgpr_kernarg_preload_offset 0
		.amdhsa_user_sgpr_private_segment_size 0
		.amdhsa_uses_dynamic_stack 0
		.amdhsa_enable_private_segment 0
		.amdhsa_system_sgpr_workgroup_id_x 1
		.amdhsa_system_sgpr_workgroup_id_y 1
		.amdhsa_system_sgpr_workgroup_id_z 1
		.amdhsa_system_sgpr_workgroup_info 0
		.amdhsa_system_vgpr_workitem_id 2
		.amdhsa_next_free_vgpr 64
		.amdhsa_next_free_sgpr 24
		.amdhsa_accum_offset 64
		.amdhsa_reserve_vcc 1
		.amdhsa_float_round_mode_32 0
		.amdhsa_float_round_mode_16_64 0
		.amdhsa_float_denorm_mode_32 3
		.amdhsa_float_denorm_mode_16_64 3
		.amdhsa_dx10_clamp 1
		.amdhsa_ieee_mode 1
		.amdhsa_fp16_overflow 0
		.amdhsa_tg_split 0
		.amdhsa_exception_fp_ieee_invalid_op 0
		.amdhsa_exception_fp_denorm_src 0
		.amdhsa_exception_fp_ieee_div_zero 0
		.amdhsa_exception_fp_ieee_overflow 0
		.amdhsa_exception_fp_ieee_underflow 0
		.amdhsa_exception_fp_ieee_inexact 0
		.amdhsa_exception_int_div_zero 0
	.end_amdhsa_kernel
	.section	.text._ZL13mul_mat_vec_qIL9ggml_type10ELi1ELb0ELb1EEvPKvS2_PKi31ggml_cuda_mm_fusion_args_devicePfj15HIP_vector_typeIjLj3EEjjjS8_jjjS8_jjjj,"axG",@progbits,_ZL13mul_mat_vec_qIL9ggml_type10ELi1ELb0ELb1EEvPKvS2_PKi31ggml_cuda_mm_fusion_args_devicePfj15HIP_vector_typeIjLj3EEjjjS8_jjjS8_jjjj,comdat
.Lfunc_end98:
	.size	_ZL13mul_mat_vec_qIL9ggml_type10ELi1ELb0ELb1EEvPKvS2_PKi31ggml_cuda_mm_fusion_args_devicePfj15HIP_vector_typeIjLj3EEjjjS8_jjjS8_jjjj, .Lfunc_end98-_ZL13mul_mat_vec_qIL9ggml_type10ELi1ELb0ELb1EEvPKvS2_PKi31ggml_cuda_mm_fusion_args_devicePfj15HIP_vector_typeIjLj3EEjjjS8_jjjS8_jjjj
                                        ; -- End function
	.section	.AMDGPU.csdata,"",@progbits
; Kernel info:
; codeLenInByte = 1952
; NumSgprs: 30
; NumVgprs: 64
; NumAgprs: 0
; TotalNumVgprs: 64
; ScratchSize: 0
; MemoryBound: 0
; FloatMode: 240
; IeeeMode: 1
; LDSByteSize: 1536 bytes/workgroup (compile time only)
; SGPRBlocks: 3
; VGPRBlocks: 7
; NumSGPRsForWavesPerEU: 30
; NumVGPRsForWavesPerEU: 64
; AccumOffset: 64
; Occupancy: 8
; WaveLimiterHint : 0
; COMPUTE_PGM_RSRC2:SCRATCH_EN: 0
; COMPUTE_PGM_RSRC2:USER_SGPR: 4
; COMPUTE_PGM_RSRC2:TRAP_HANDLER: 0
; COMPUTE_PGM_RSRC2:TGID_X_EN: 1
; COMPUTE_PGM_RSRC2:TGID_Y_EN: 1
; COMPUTE_PGM_RSRC2:TGID_Z_EN: 1
; COMPUTE_PGM_RSRC2:TIDIG_COMP_CNT: 2
; COMPUTE_PGM_RSRC3_GFX90A:ACCUM_OFFSET: 15
; COMPUTE_PGM_RSRC3_GFX90A:TG_SPLIT: 0
	.section	.text._ZL13mul_mat_vec_qIL9ggml_type10ELi1ELb1ELb0EEvPKvS2_PKi31ggml_cuda_mm_fusion_args_devicePfj15HIP_vector_typeIjLj3EEjjjS8_jjjS8_jjjj,"axG",@progbits,_ZL13mul_mat_vec_qIL9ggml_type10ELi1ELb1ELb0EEvPKvS2_PKi31ggml_cuda_mm_fusion_args_devicePfj15HIP_vector_typeIjLj3EEjjjS8_jjjS8_jjjj,comdat
	.globl	_ZL13mul_mat_vec_qIL9ggml_type10ELi1ELb1ELb0EEvPKvS2_PKi31ggml_cuda_mm_fusion_args_devicePfj15HIP_vector_typeIjLj3EEjjjS8_jjjS8_jjjj ; -- Begin function _ZL13mul_mat_vec_qIL9ggml_type10ELi1ELb1ELb0EEvPKvS2_PKi31ggml_cuda_mm_fusion_args_devicePfj15HIP_vector_typeIjLj3EEjjjS8_jjjS8_jjjj
	.p2align	8
	.type	_ZL13mul_mat_vec_qIL9ggml_type10ELi1ELb1ELb0EEvPKvS2_PKi31ggml_cuda_mm_fusion_args_devicePfj15HIP_vector_typeIjLj3EEjjjS8_jjjS8_jjjj,@function
_ZL13mul_mat_vec_qIL9ggml_type10ELi1ELb1ELb0EEvPKvS2_PKi31ggml_cuda_mm_fusion_args_devicePfj15HIP_vector_typeIjLj3EEjjjS8_jjjS8_jjjj: ; @_ZL13mul_mat_vec_qIL9ggml_type10ELi1ELb1ELb0EEvPKvS2_PKi31ggml_cuda_mm_fusion_args_devicePfj15HIP_vector_typeIjLj3EEjjjS8_jjjS8_jjjj
; %bb.0:
	s_load_dwordx8 s[16:23], s[0:1], 0x0
	s_load_dwordx4 s[36:39], s[0:1], 0x20
	s_load_dwordx4 s[8:11], s[0:1], 0x40
	;; [unrolled: 1-line block ×3, first 2 shown]
	s_mov_b32 s14, s3
	s_waitcnt lgkmcnt(0)
	s_cmp_lg_u64 s[20:21], 0
	s_cselect_b64 s[6:7], -1, 0
	s_cmp_eq_u64 s[20:21], 0
	s_mov_b64 s[12:13], 0
	s_cbranch_scc1 .LBB99_5
; %bb.1:
	s_mov_b32 s15, 0
	s_lshl_b64 s[28:29], s[14:15], 2
	s_add_u32 s20, s20, s28
	s_addc_u32 s21, s21, s29
	s_load_dword s5, s[20:21], 0x0
	s_load_dword s15, s[0:1], 0x50
	;; [unrolled: 1-line block ×3, first 2 shown]
	s_andn2_b64 vcc, exec, s[12:13]
	s_cbranch_vccnz .LBB99_3
.LBB99_2:
	s_load_dwordx2 s[12:13], s[0:1], 0x5c
	s_waitcnt lgkmcnt(0)
	s_mul_hi_u32 s3, s12, s14
	s_add_i32 s3, s14, s3
	s_lshr_b32 s5, s3, s13
.LBB99_3:
	s_andn2_b64 vcc, exec, s[6:7]
	s_cbranch_vccnz .LBB99_6
; %bb.4:
	s_mul_hi_u32 s3, s9, s14
	s_add_i32 s3, s14, s3
	s_lshr_b32 s3, s3, s10
	s_mul_i32 s3, s3, s11
	s_sub_i32 s34, s14, s3
	s_waitcnt lgkmcnt(0)
	s_mov_b32 s3, s5
	s_branch .LBB99_7
.LBB99_5:
                                        ; implicit-def: $sgpr5
	s_load_dword s15, s[0:1], 0x50
	s_load_dword s33, s[0:1], 0x78
	s_branch .LBB99_2
.LBB99_6:
	s_mov_b32 s3, s14
	s_mov_b32 s34, s14
.LBB99_7:
	s_load_dwordx4 s[28:31], s[0:1], 0x80
	v_bfe_u32 v22, v0, 10, 10
	v_and_b32_e32 v19, 0x3ff, v0
	s_cmp_lg_u64 s[22:23], 0
	v_or_b32_e32 v0, v22, v19
	s_cselect_b64 s[12:13], -1, 0
	v_cmp_eq_u32_e32 vcc, 0, v0
	s_mov_b32 s21, 0
	s_and_b64 s[40:41], vcc, s[12:13]
	v_mov_b32_e32 v20, 0
	s_mul_i32 s10, s3, s26
	v_lshlrev_b32_e32 v18, 2, v19
	v_mov_b32_e32 v21, 0
	s_and_saveexec_b64 s[6:7], s[40:41]
	s_cbranch_execz .LBB99_9
; %bb.8:
	s_waitcnt lgkmcnt(0)
	s_mul_i32 s20, s4, s30
	s_lshl_b64 s[40:41], s[20:21], 2
	s_add_u32 s3, s22, s40
	s_mov_b32 s11, s21
	s_addc_u32 s9, s23, s41
	s_lshl_b64 s[20:21], s[10:11], 2
	s_add_u32 s11, s3, s20
	s_addc_u32 s9, s9, s21
	s_ashr_i32 s3, s2, 31
	s_lshl_b64 s[20:21], s[2:3], 2
	s_add_u32 s20, s11, s20
	s_addc_u32 s21, s9, s21
	global_load_dword v21, v18, s[20:21]
.LBB99_9:
	s_or_b64 exec, exec, s[6:7]
	s_cmp_lg_u64 s[36:37], 0
	s_cselect_b64 s[20:21], -1, 0
	s_cmp_lg_u64 s[38:39], 0
	s_cselect_b64 s[6:7], -1, 0
	s_and_b64 s[22:23], s[6:7], s[20:21]
	s_and_b64 s[40:41], vcc, s[22:23]
	s_and_saveexec_b64 s[22:23], s[40:41]
	s_cbranch_execz .LBB99_11
; %bb.10:
	s_waitcnt lgkmcnt(0)
	s_mul_i32 s40, s4, s30
	s_mov_b32 s41, 0
	s_lshl_b64 s[42:43], s[40:41], 2
	s_add_u32 s3, s38, s42
	s_mov_b32 s11, s41
	s_addc_u32 s9, s39, s43
	s_lshl_b64 s[10:11], s[10:11], 2
	s_add_u32 s31, s3, s10
	s_addc_u32 s9, s9, s11
	s_ashr_i32 s3, s2, 31
	s_lshl_b64 s[10:11], s[2:3], 2
	s_add_u32 s10, s31, s10
	s_addc_u32 s11, s9, s11
	global_load_dword v20, v18, s[10:11]
.LBB99_11:
	s_or_b64 exec, exec, s[22:23]
	v_lshl_add_u32 v4, v22, 6, v19
	s_lshr_b32 s3, s8, 8
	v_lshrrev_b32_e32 v24, 4, v4
	v_cndmask_b32_e64 v0, 0, 1, s[20:21]
	v_cmp_gt_u32_e32 vcc, s3, v24
	v_mov_b32_e32 v25, 0
	v_cmp_ne_u32_e64 s[8:9], 1, v0
	v_mov_b32_e32 v23, 0
	s_and_saveexec_b64 s[10:11], vcc
	s_cbranch_execz .LBB99_17
; %bb.12:
	s_mul_hi_u32 s20, s27, s4
	s_add_i32 s20, s4, s20
	v_and_b32_e32 v10, 15, v19
	s_waitcnt lgkmcnt(0)
	s_lshr_b32 s20, s20, s33
	v_cmp_lt_u32_e32 vcc, 7, v10
	s_mul_i32 s5, s5, s24
	s_mul_i32 s20, s20, s28
	v_cndmask_b32_e64 v0, 0, 1, vcc
	s_mul_i32 s15, s2, s15
	v_lshlrev_b32_e32 v6, 2, v0
	s_add_i32 s5, s20, s5
	s_add_i32 s5, s5, s15
	v_lshrrev_b32_e32 v7, 4, v4
	v_mul_hi_u32_u24_e32 v5, 36, v6
	v_mul_u32_u24_e32 v4, 36, v6
	s_movk_i32 s15, 0x120
	s_mul_i32 s22, s4, s29
	v_mad_u64_u32 v[4:5], s[20:21], v7, s15, v[4:5]
	s_mul_hi_u32 s20, s22, 36
	s_mul_i32 s22, s22, 36
	s_mul_i32 s23, s34, s25
	v_add_u32_e32 v0, -8, v10
	v_cmp_gt_u32_e32 vcc, 8, v10
	s_add_u32 s18, s18, s22
	s_mul_hi_u32 s15, s23, 36
	v_cndmask_b32_e32 v0, v0, v10, vcc
	s_mul_i32 s23, s23, 36
	s_addc_u32 s19, s19, s20
	v_sub_u32_e32 v2, v10, v0
	v_cmp_lt_u32_e32 vcc, 3, v0
	s_add_u32 s18, s18, s23
	v_mov_b32_e32 v1, 0
	v_addc_co_u32_e32 v2, vcc, 0, v2, vcc
	s_addc_u32 s19, s19, s15
	v_ashrrev_i32_e32 v3, 31, v2
	v_lshl_add_u64 v[4:5], s[18:19], 0, v[4:5]
	v_lshlrev_b64 v[6:7], 2, v[0:1]
	s_mov_b64 s[18:19], 0
	s_movk_i32 s15, 0x54
	v_mov_b64_e32 v[8:9], s[16:17]
	v_lshlrev_b32_e32 v0, 2, v10
	s_mov_b32 s20, 0x1010101
	s_mov_b64 s[16:17], 0x900
	v_mov_b32_e32 v25, v1
	v_mov_b32_e32 v23, v1
	s_branch .LBB99_14
.LBB99_13:                              ;   in Loop: Header=BB99_14 Depth=1
	s_waitcnt vmcnt(5)
	v_and_b32_e32 v36, 0x3030303, v31
	v_mov_b32_e32 v37, 0
	v_dot4c_i32_i8_e32 v37, v36, v32
	s_waitcnt vmcnt(3)
	v_and_b32_e32 v36, 15, v35
	v_bfe_u32 v35, v35, 4, 4
	v_mul_lo_u32 v35, v35, s20
	v_mul_lo_u32 v36, v36, v37
	v_mov_b32_e32 v37, 0
	v_dot4c_i32_i8_e32 v37, v35, v32
	v_lshrrev_b32_e32 v32, 2, v31
	v_and_b32_e32 v32, 0x3030303, v32
	v_mov_b32_e32 v35, 0
	v_dot4c_i32_i8_e32 v35, v32, v29
	s_waitcnt vmcnt(2)
	v_and_b32_e32 v32, 15, v34
	v_bfe_u32 v34, v34, 4, 4
	v_mul_lo_u32 v34, v34, s20
	v_mul_lo_u32 v32, v32, v35
	v_mov_b32_e32 v35, 0
	v_dot4c_i32_i8_e32 v35, v34, v29
	v_lshrrev_b32_e32 v29, 4, v31
	v_and_b32_e32 v29, 0x3030303, v29
	v_mov_b32_e32 v34, 0
	v_dot4c_i32_i8_e32 v34, v29, v28
	s_waitcnt vmcnt(1)
	v_and_b32_e32 v29, 15, v33
	v_add_u32_e32 v24, 8, v24
	v_cmp_le_u32_e32 vcc, s3, v24
	v_mul_lo_u32 v34, v29, v34
	v_bfe_u32 v29, v33, 4, 4
	v_mul_lo_u32 v29, v29, s20
	v_mov_b32_e32 v33, 0
	v_dot4c_i32_i8_e32 v33, v29, v28
	v_lshrrev_b32_e32 v28, 6, v31
	v_and_b32_e32 v28, 0x3030303, v28
	v_mov_b32_e32 v29, 0
	v_dot4c_i32_i8_e32 v29, v28, v27
	s_waitcnt vmcnt(0)
	v_and_b32_e32 v28, 15, v30
	v_bfe_u32 v30, v30, 4, 4
	v_mul_lo_u32 v30, v30, s20
	v_mul_lo_u32 v38, v28, v29
	v_cvt_f32_i32_e32 v28, v36
	v_cvt_f32_i32_e32 v29, v37
	v_mov_b32_e32 v36, 0
	v_dot4c_i32_i8_e32 v36, v30, v27
	v_cvt_f32_i32_e32 v30, v34
	v_pk_fma_f32 v[16:17], v[16:17], v[28:29], 0 op_sel_hi:[1,1,0]
	v_cvt_f32_i32_e32 v28, v32
	v_cvt_f32_i32_e32 v29, v35
	;; [unrolled: 1-line block ×5, first 2 shown]
	v_cvt_f32_f16_sdwa v27, v26 dst_sel:DWORD dst_unused:UNUSED_PAD src0_sel:WORD_1
	v_cvt_f32_f16_e32 v26, v26
	v_pk_fma_f32 v[14:15], v[14:15], v[28:29], v[16:17]
	s_or_b64 s[18:19], vcc, s[18:19]
	v_pk_fma_f32 v[12:13], v[12:13], v[30:31], v[14:15]
	v_lshl_add_u64 v[4:5], v[4:5], 0, s[16:17]
	v_pk_fma_f32 v[10:11], v[10:11], v[32:33], v[12:13]
	s_nop 0
	v_pk_mul_f32 v[10:11], v[10:11], v[26:27]
	s_nop 0
	v_sub_f32_e32 v10, v10, v11
	v_add_f32_e32 v25, v25, v10
	s_andn2_b64 exec, exec, s[18:19]
	s_cbranch_execz .LBB99_16
.LBB99_14:                              ; =>This Inner Loop Header: Depth=1
	v_add_u32_e32 v36, s5, v24
	v_mad_i64_i32 v[10:11], s[22:23], v36, s15, v[8:9]
	v_lshl_add_u64 v[14:15], v[4:5], 0, v[6:7]
	v_lshl_add_u64 v[12:13], v[10:11], 0, v[0:1]
	global_load_dword v32, v[14:15], off offset:4
	global_load_dword v29, v[14:15], off offset:40
	;; [unrolled: 1-line block ×4, first 2 shown]
	global_load_dword v16, v[4:5], off
	global_load_dword v17, v[4:5], off offset:36
	global_load_dword v37, v[4:5], off offset:72
	;; [unrolled: 1-line block ×3, first 2 shown]
	v_lshl_add_u64 v[14:15], v[10:11], 0, v[2:3]
	global_load_dword v31, v[12:13], off offset:16
	global_load_dword v26, v[10:11], off offset:80
	global_load_ubyte v35, v[14:15], off
	global_load_ubyte v34, v[14:15], off offset:2
	global_load_ubyte v33, v[14:15], off offset:4
	;; [unrolled: 1-line block ×3, first 2 shown]
	s_and_b64 vcc, exec, s[8:9]
	s_waitcnt vmcnt(9)
	v_cvt_f32_f16_e32 v16, v16
	s_waitcnt vmcnt(8)
	v_cvt_f32_f16_e32 v14, v17
	;; [unrolled: 2-line block ×4, first 2 shown]
	v_mov_b32_e32 v17, v16
	v_mov_b32_e32 v15, v14
	;; [unrolled: 1-line block ×4, first 2 shown]
	s_cbranch_vccnz .LBB99_13
; %bb.15:                               ;   in Loop: Header=BB99_14 Depth=1
	v_mov_b64_e32 v[38:39], s[36:37]
	v_mad_i64_i32 v[36:37], s[22:23], v36, s15, v[38:39]
	v_lshl_add_u64 v[38:39], v[36:37], 0, v[0:1]
	v_lshl_add_u64 v[40:41], v[36:37], 0, v[2:3]
	global_load_dword v42, v[38:39], off offset:16
	global_load_ubyte v43, v[40:41], off
	global_load_ubyte v44, v[40:41], off offset:2
	global_load_ubyte v45, v[40:41], off offset:4
	;; [unrolled: 1-line block ×3, first 2 shown]
	global_load_dword v47, v[36:37], off offset:80
	v_mov_b32_e32 v37, 0
	v_mov_b32_e32 v39, 0
	;; [unrolled: 1-line block ×8, first 2 shown]
	s_waitcnt vmcnt(5)
	v_and_b32_e32 v51, 0x3030303, v42
	s_waitcnt vmcnt(4)
	v_and_b32_e32 v52, 15, v43
	v_lshrrev_b32_e32 v43, 4, v43
	v_lshrrev_b32_e32 v53, 2, v42
	s_waitcnt vmcnt(3)
	v_and_b32_e32 v54, 15, v44
	v_lshrrev_b32_e32 v44, 4, v44
	v_lshrrev_b32_e32 v55, 4, v42
	;; [unrolled: 1-line block ×3, first 2 shown]
	v_dot4c_i32_i8_e32 v37, v51, v32
	v_mul_lo_u32 v43, v43, s20
	v_and_b32_e32 v51, 0x3030303, v53
	s_waitcnt vmcnt(2)
	v_and_b32_e32 v56, 15, v45
	v_lshrrev_b32_e32 v45, 4, v45
	v_mul_lo_u32 v44, v44, s20
	v_and_b32_e32 v53, 0x3030303, v55
	v_and_b32_e32 v42, 0x3030303, v42
	v_mul_lo_u32 v37, v52, v37
	v_dot4c_i32_i8_e32 v39, v43, v32
	v_dot4c_i32_i8_e32 v38, v51, v29
	s_waitcnt vmcnt(1)
	v_and_b32_e32 v57, 15, v46
	v_lshrrev_b32_e32 v46, 4, v46
	v_mul_lo_u32 v45, v45, s20
	v_dot4c_i32_i8_e32 v40, v44, v29
	v_dot4c_i32_i8_e32 v41, v53, v28
	;; [unrolled: 1-line block ×3, first 2 shown]
	v_mul_lo_u32 v42, v54, v38
	v_cvt_f32_i32_e32 v38, v37
	v_cvt_f32_i32_e32 v39, v39
	v_mul_lo_u32 v46, v46, s20
	v_dot4c_i32_i8_e32 v48, v45, v28
	v_mul_lo_u32 v44, v56, v41
	v_cvt_f32_i32_e32 v41, v40
	v_cvt_f32_i32_e32 v40, v42
	v_dot4c_i32_i8_e32 v50, v46, v27
	v_mul_lo_u32 v46, v57, v49
	v_cvt_f32_i32_e32 v43, v48
	v_cvt_f32_i32_e32 v42, v44
	;; [unrolled: 1-line block ×4, first 2 shown]
	s_waitcnt vmcnt(0)
	v_cvt_f32_f16_e32 v36, v47
	v_pk_fma_f32 v[38:39], v[16:17], v[38:39], 0 op_sel_hi:[1,1,0]
	v_cvt_f32_f16_sdwa v37, v47 dst_sel:DWORD dst_unused:UNUSED_PAD src0_sel:WORD_1
	v_pk_fma_f32 v[38:39], v[14:15], v[40:41], v[38:39]
	s_nop 0
	v_pk_fma_f32 v[38:39], v[12:13], v[42:43], v[38:39]
	s_nop 0
	;; [unrolled: 2-line block ×3, first 2 shown]
	v_pk_mul_f32 v[36:37], v[38:39], v[36:37]
	s_nop 0
	v_sub_f32_e32 v36, v36, v37
	v_add_f32_e32 v23, v23, v36
	s_branch .LBB99_13
.LBB99_16:
	s_or_b64 exec, exec, s[18:19]
.LBB99_17:
	s_or_b64 exec, exec, s[10:11]
	s_load_dword s3, s[0:1], 0x30
	v_cmp_eq_u32_e64 s[10:11], 0, v22
	v_cmp_ne_u32_e32 vcc, 0, v22
	s_and_saveexec_b64 s[16:17], vcc
	s_cbranch_execz .LBB99_20
; %bb.18:
	v_add_u32_e32 v0, -1, v22
	v_lshl_add_u32 v0, v0, 8, v18
	s_and_b64 vcc, exec, s[8:9]
	ds_write_b32 v0, v25
	s_cbranch_vccnz .LBB99_20
; %bb.19:
	ds_write_b32 v0, v23 offset:256
.LBB99_20:
	s_or_b64 exec, exec, s[16:17]
	s_waitcnt lgkmcnt(0)
	s_barrier
	s_and_saveexec_b64 s[16:17], s[10:11]
	s_cbranch_execz .LBB99_49
; %bb.21:
	ds_read_b32 v0, v18
	s_and_b64 vcc, exec, s[8:9]
	s_cbranch_vccnz .LBB99_23
; %bb.22:
	ds_read_b32 v1, v18 offset:256
	s_waitcnt lgkmcnt(0)
	v_add_f32_e32 v23, v23, v1
.LBB99_23:
	s_waitcnt lgkmcnt(0)
	v_add_f32_e32 v1, v25, v0
	v_mbcnt_lo_u32_b32 v0, -1, 0
	v_mbcnt_hi_u32_b32 v4, -1, v0
	v_and_b32_e32 v0, 64, v4
	v_add_u32_e32 v7, 64, v0
	v_xor_b32_e32 v0, 32, v4
	v_cmp_lt_i32_e32 vcc, v0, v7
	v_xor_b32_e32 v3, 16, v4
	v_xor_b32_e32 v5, 8, v4
	v_cndmask_b32_e32 v0, v4, v0, vcc
	v_lshlrev_b32_e32 v0, 2, v0
	ds_bpermute_b32 v2, v0, v1
	v_cmp_lt_i32_e32 vcc, v3, v7
	v_xor_b32_e32 v6, 4, v4
	v_xor_b32_e32 v8, 2, v4
	;; [unrolled: 1-line block ×3, first 2 shown]
	s_waitcnt lgkmcnt(0)
	v_add_f32_e32 v2, v1, v2
	v_cndmask_b32_e32 v1, v4, v3, vcc
	v_lshlrev_b32_e32 v1, 2, v1
	ds_bpermute_b32 v3, v1, v2
	v_cmp_lt_i32_e32 vcc, v5, v7
	s_waitcnt lgkmcnt(0)
	v_add_f32_e32 v2, v2, v3
	v_cndmask_b32_e32 v3, v4, v5, vcc
	v_lshlrev_b32_e32 v3, 2, v3
	ds_bpermute_b32 v5, v3, v2
	v_cmp_lt_i32_e32 vcc, v6, v7
	s_waitcnt lgkmcnt(0)
	v_add_f32_e32 v2, v2, v5
	v_cndmask_b32_e32 v5, v4, v6, vcc
	v_lshlrev_b32_e32 v5, 2, v5
	ds_bpermute_b32 v6, v5, v2
	v_cmp_lt_i32_e32 vcc, v8, v7
	s_waitcnt lgkmcnt(0)
	v_add_f32_e32 v2, v2, v6
	v_cndmask_b32_e32 v6, v4, v8, vcc
	v_lshlrev_b32_e32 v6, 2, v6
	ds_bpermute_b32 v8, v6, v2
	v_cmp_lt_i32_e32 vcc, v9, v7
	s_waitcnt lgkmcnt(0)
	v_add_f32_e32 v2, v2, v8
	v_cndmask_b32_e32 v4, v4, v9, vcc
	v_lshlrev_b32_e32 v7, 2, v4
	ds_bpermute_b32 v4, v7, v2
	s_and_b64 vcc, exec, s[8:9]
	s_cbranch_vccnz .LBB99_25
; %bb.24:
	ds_bpermute_b32 v0, v0, v23
	s_waitcnt lgkmcnt(0)
	v_add_f32_e32 v0, v23, v0
	ds_bpermute_b32 v1, v1, v0
	s_waitcnt lgkmcnt(0)
	v_add_f32_e32 v0, v0, v1
	;; [unrolled: 3-line block ×6, first 2 shown]
.LBB99_25:
	v_cmp_eq_u32_e32 vcc, 0, v19
	s_and_b64 exec, exec, vcc
	s_cbranch_execz .LBB99_49
; %bb.26:
	s_waitcnt lgkmcnt(0)
	v_add_f32_e32 v0, v2, v4
	s_waitcnt vmcnt(0)
	v_add_f32_e32 v1, v21, v0
	s_and_b64 vcc, exec, s[8:9]
	v_cndmask_b32_e64 v0, v0, v1, s[12:13]
	s_cbranch_vccnz .LBB99_48
; %bb.27:
	v_add_f32_e32 v1, v20, v23
	v_cndmask_b32_e64 v1, v23, v1, s[6:7]
	s_cmp_lt_i32 s3, 2
	s_mov_b64 s[6:7], 0
	s_cbranch_scc1 .LBB99_31
; %bb.28:
	s_cmp_gt_i32 s3, 2
	s_cbranch_scc0 .LBB99_32
; %bb.29:
	s_cmp_eq_u32 s3, 3
	s_cbranch_scc0 .LBB99_33
; %bb.30:
	v_max_f32_e32 v2, v1, v1
	v_min_f32_e32 v4, 0x40e00000, v2
	v_mul_f32_e32 v3, 0xbfd9db23, v4
	s_mov_b32 s5, 0x3fb8aa3b
	v_mul_f32_e32 v2, 0x3fb8aa3b, v3
	v_fma_f32 v5, v3, s5, -v2
	v_rndne_f32_e32 v6, v2
	v_fmamk_f32 v5, v3, 0x32a5705f, v5
	v_sub_f32_e32 v2, v2, v6
	v_add_f32_e32 v2, v2, v5
	v_exp_f32_e32 v5, v2
	v_cvt_i32_f32_e32 v6, v6
	s_mov_b32 s5, 0xc2ce8ed0
	v_max_f32_e32 v2, v0, v0
	v_cmp_ngt_f32_e32 vcc, s5, v3
	v_ldexp_f32 v5, v5, v6
	s_mov_b32 s5, 0x42b17218
	v_min_f32_e32 v2, 0x40e00000, v2
	v_cndmask_b32_e32 v5, 0, v5, vcc
	v_mov_b32_e32 v6, 0x7f800000
	v_cmp_nlt_f32_e32 vcc, s5, v3
	v_max_f32_e32 v2, 0xc0e00000, v2
	s_nop 0
	v_cndmask_b32_e32 v3, v6, v5, vcc
	v_pk_add_f32 v[2:3], v[2:3], 1.0 op_sel_hi:[1,0]
	s_nop 0
	v_div_scale_f32 v5, s[8:9], v3, v3, v4
	v_rcp_f32_e32 v6, v5
	s_mov_b64 s[8:9], 0
	v_fma_f32 v7, -v5, v6, 1.0
	v_fmac_f32_e32 v6, v7, v6
	v_div_scale_f32 v7, vcc, v4, v3, v4
	v_mul_f32_e32 v8, v7, v6
	v_fma_f32 v9, -v5, v8, v7
	v_fmac_f32_e32 v8, v9, v6
	v_fma_f32 v5, -v5, v8, v7
	v_div_fmas_f32 v5, v5, v6, v8
	v_div_fixup_f32 v3, v5, v3, v4
	v_mul_f32_e32 v2, v2, v3
	s_branch .LBB99_34
.LBB99_31:
                                        ; implicit-def: $vgpr2
	s_mov_b64 s[8:9], 0
	s_cbranch_execnz .LBB99_38
	s_branch .LBB99_39
.LBB99_32:
	s_mov_b64 s[10:11], -1
	s_mov_b64 s[8:9], 0
                                        ; implicit-def: $vgpr2
	s_branch .LBB99_35
.LBB99_33:
	s_mov_b64 s[8:9], -1
                                        ; implicit-def: $vgpr2
.LBB99_34:
	s_mov_b64 s[10:11], 0
.LBB99_35:
	s_and_b64 vcc, exec, s[10:11]
	s_cbranch_vccz .LBB99_37
; %bb.36:
	v_mul_f32_e32 v2, 0xbfb8aa3b, v1
	s_mov_b32 s5, 0xbfb8aa3b
	v_rndne_f32_e32 v3, v2
	v_sub_f32_e32 v4, v2, v3
	v_fma_f32 v2, v1, s5, -v2
	v_fmamk_f32 v2, v1, 0xb2a5705f, v2
	v_add_f32_e32 v2, v4, v2
	v_exp_f32_e32 v2, v2
	v_cvt_i32_f32_e32 v3, v3
	s_mov_b32 s5, 0x42ce8ed0
	v_cmp_nlt_f32_e32 vcc, s5, v1
	s_mov_b32 s5, 0xc2b17218
	v_ldexp_f32 v2, v2, v3
	v_cndmask_b32_e32 v2, 0, v2, vcc
	v_mov_b32_e32 v3, 0x7f800000
	v_cmp_ngt_f32_e32 vcc, s5, v1
	s_nop 1
	v_cndmask_b32_e32 v2, v3, v2, vcc
	v_add_f32_e32 v2, 1.0, v2
	v_div_scale_f32 v3, s[10:11], v2, v2, v1
	v_rcp_f32_e32 v4, v3
	s_nop 0
	v_fma_f32 v5, -v3, v4, 1.0
	v_fmac_f32_e32 v4, v5, v4
	v_div_scale_f32 v5, vcc, v1, v2, v1
	v_mul_f32_e32 v6, v5, v4
	v_fma_f32 v7, -v3, v6, v5
	v_fmac_f32_e32 v6, v7, v4
	v_fma_f32 v3, -v3, v6, v5
	v_div_fmas_f32 v3, v3, v4, v6
	v_div_fixup_f32 v2, v3, v2, v1
	v_mul_f32_e32 v2, v0, v2
.LBB99_37:
	s_branch .LBB99_39
.LBB99_38:
	s_cmp_lg_u32 s3, 1
	s_mov_b64 s[6:7], -1
	s_cselect_b64 s[8:9], -1, 0
                                        ; implicit-def: $vgpr2
.LBB99_39:
	s_andn2_b64 vcc, exec, s[8:9]
	s_cbranch_vccz .LBB99_41
; %bb.40:
	s_andn2_b64 vcc, exec, s[6:7]
	s_cbranch_vccz .LBB99_42
	s_branch .LBB99_47
.LBB99_41:
	v_mul_f32_e32 v2, v0, v1
	s_cbranch_execnz .LBB99_47
.LBB99_42:
	v_mul_f32_e32 v3, 0x3d372713, v1
	v_mul_f32_e32 v2, 0x3f4c422a, v1
	v_fma_f32 v3, v1, v3, 1.0
	v_mul_f32_e32 v2, v2, v3
	s_mov_b32 s3, 0x3f200000
	v_cmp_nlt_f32_e64 s[6:7], |v2|, s3
                                        ; implicit-def: $vgpr3
	s_and_saveexec_b64 s[8:9], s[6:7]
	s_xor_b64 s[6:7], exec, s[8:9]
	s_cbranch_execz .LBB99_44
; %bb.43:
	v_add_f32_e64 v3, |v2|, |v2|
	v_mul_f32_e32 v4, 0x3fb8aa3b, v3
	s_mov_b32 s3, 0x3fb8aa3b
	v_rndne_f32_e32 v5, v4
	v_sub_f32_e32 v6, v4, v5
	v_fma_f32 v4, v3, s3, -v4
	v_fmamk_f32 v4, v3, 0x32a5705f, v4
	v_add_f32_e32 v4, v6, v4
	v_exp_f32_e32 v4, v4
	v_cvt_i32_f32_e32 v5, v5
	s_mov_b32 s3, 0xc2ce8ed0
	v_cmp_ngt_f32_e32 vcc, s3, v3
	s_mov_b32 s3, 0x42b17218
	v_ldexp_f32 v4, v4, v5
	v_cndmask_b32_e32 v4, 0, v4, vcc
	v_mov_b32_e32 v5, 0x7f800000
	v_cmp_nlt_f32_e32 vcc, s3, v3
	s_nop 1
	v_cndmask_b32_e32 v3, v5, v4, vcc
	v_add_f32_e32 v3, 1.0, v3
	v_rcp_f32_e32 v3, v3
	s_nop 0
	v_fma_f32 v3, v3, -2.0, 1.0
.LBB99_44:
	s_andn2_saveexec_b64 s[6:7], s[6:7]
; %bb.45:
	v_mul_f32_e32 v3, v2, v2
	v_mov_b32_e32 v4, 0x3ca908c9
	v_fmac_f32_e32 v4, 0xbbbac73d, v3
	v_fmaak_f32 v4, v3, v4, 0xbd5c1c4e
	v_fmaak_f32 v4, v3, v4, 0x3e088382
	;; [unrolled: 1-line block ×3, first 2 shown]
	v_mul_f32_e64 v4, |v2|, v4
	v_fma_f32 v3, v3, v4, |v2|
; %bb.46:
	s_or_b64 exec, exec, s[6:7]
	s_brev_b32 s3, -2
	v_bfi_b32 v2, s3, v3, v2
	v_mul_f32_e32 v1, 0.5, v1
	v_add_f32_e32 v2, 1.0, v2
	v_mul_f32_e32 v1, v1, v2
	v_mul_f32_e32 v2, v0, v1
.LBB99_47:
	v_mov_b32_e32 v0, v2
.LBB99_48:
	s_load_dwordx2 s[0:1], s[0:1], 0x38
	s_mul_i32 s3, s14, s26
	s_mul_i32 s4, s4, s30
	s_add_i32 s2, s3, s2
	s_add_i32 s2, s2, s4
	s_mov_b32 s3, 0
	s_lshl_b64 s[2:3], s[2:3], 2
	s_waitcnt lgkmcnt(0)
	s_add_u32 s0, s0, s2
	s_addc_u32 s1, s1, s3
	global_store_dword v18, v0, s[0:1]
.LBB99_49:
	s_endpgm
	.section	.rodata,"a",@progbits
	.p2align	6, 0x0
	.amdhsa_kernel _ZL13mul_mat_vec_qIL9ggml_type10ELi1ELb1ELb0EEvPKvS2_PKi31ggml_cuda_mm_fusion_args_devicePfj15HIP_vector_typeIjLj3EEjjjS8_jjjS8_jjjj
		.amdhsa_group_segment_fixed_size 512
		.amdhsa_private_segment_fixed_size 0
		.amdhsa_kernarg_size 144
		.amdhsa_user_sgpr_count 2
		.amdhsa_user_sgpr_dispatch_ptr 0
		.amdhsa_user_sgpr_queue_ptr 0
		.amdhsa_user_sgpr_kernarg_segment_ptr 1
		.amdhsa_user_sgpr_dispatch_id 0
		.amdhsa_user_sgpr_kernarg_preload_length 0
		.amdhsa_user_sgpr_kernarg_preload_offset 0
		.amdhsa_user_sgpr_private_segment_size 0
		.amdhsa_uses_dynamic_stack 0
		.amdhsa_enable_private_segment 0
		.amdhsa_system_sgpr_workgroup_id_x 1
		.amdhsa_system_sgpr_workgroup_id_y 1
		.amdhsa_system_sgpr_workgroup_id_z 1
		.amdhsa_system_sgpr_workgroup_info 0
		.amdhsa_system_vgpr_workitem_id 1
		.amdhsa_next_free_vgpr 58
		.amdhsa_next_free_sgpr 44
		.amdhsa_accum_offset 60
		.amdhsa_reserve_vcc 1
		.amdhsa_float_round_mode_32 0
		.amdhsa_float_round_mode_16_64 0
		.amdhsa_float_denorm_mode_32 3
		.amdhsa_float_denorm_mode_16_64 3
		.amdhsa_dx10_clamp 1
		.amdhsa_ieee_mode 1
		.amdhsa_fp16_overflow 0
		.amdhsa_tg_split 0
		.amdhsa_exception_fp_ieee_invalid_op 0
		.amdhsa_exception_fp_denorm_src 0
		.amdhsa_exception_fp_ieee_div_zero 0
		.amdhsa_exception_fp_ieee_overflow 0
		.amdhsa_exception_fp_ieee_underflow 0
		.amdhsa_exception_fp_ieee_inexact 0
		.amdhsa_exception_int_div_zero 0
	.end_amdhsa_kernel
	.section	.text._ZL13mul_mat_vec_qIL9ggml_type10ELi1ELb1ELb0EEvPKvS2_PKi31ggml_cuda_mm_fusion_args_devicePfj15HIP_vector_typeIjLj3EEjjjS8_jjjS8_jjjj,"axG",@progbits,_ZL13mul_mat_vec_qIL9ggml_type10ELi1ELb1ELb0EEvPKvS2_PKi31ggml_cuda_mm_fusion_args_devicePfj15HIP_vector_typeIjLj3EEjjjS8_jjjS8_jjjj,comdat
.Lfunc_end99:
	.size	_ZL13mul_mat_vec_qIL9ggml_type10ELi1ELb1ELb0EEvPKvS2_PKi31ggml_cuda_mm_fusion_args_devicePfj15HIP_vector_typeIjLj3EEjjjS8_jjjS8_jjjj, .Lfunc_end99-_ZL13mul_mat_vec_qIL9ggml_type10ELi1ELb1ELb0EEvPKvS2_PKi31ggml_cuda_mm_fusion_args_devicePfj15HIP_vector_typeIjLj3EEjjjS8_jjjS8_jjjj
                                        ; -- End function
	.section	.AMDGPU.csdata,"",@progbits
; Kernel info:
; codeLenInByte = 3072
; NumSgprs: 50
; NumVgprs: 58
; NumAgprs: 0
; TotalNumVgprs: 58
; ScratchSize: 0
; MemoryBound: 0
; FloatMode: 240
; IeeeMode: 1
; LDSByteSize: 512 bytes/workgroup (compile time only)
; SGPRBlocks: 6
; VGPRBlocks: 7
; NumSGPRsForWavesPerEU: 50
; NumVGPRsForWavesPerEU: 58
; AccumOffset: 60
; Occupancy: 8
; WaveLimiterHint : 0
; COMPUTE_PGM_RSRC2:SCRATCH_EN: 0
; COMPUTE_PGM_RSRC2:USER_SGPR: 2
; COMPUTE_PGM_RSRC2:TRAP_HANDLER: 0
; COMPUTE_PGM_RSRC2:TGID_X_EN: 1
; COMPUTE_PGM_RSRC2:TGID_Y_EN: 1
; COMPUTE_PGM_RSRC2:TGID_Z_EN: 1
; COMPUTE_PGM_RSRC2:TIDIG_COMP_CNT: 1
; COMPUTE_PGM_RSRC3_GFX90A:ACCUM_OFFSET: 14
; COMPUTE_PGM_RSRC3_GFX90A:TG_SPLIT: 0
	.section	.text._ZL13mul_mat_vec_qIL9ggml_type10ELi1ELb0ELb0EEvPKvS2_PKi31ggml_cuda_mm_fusion_args_devicePfj15HIP_vector_typeIjLj3EEjjjS8_jjjS8_jjjj,"axG",@progbits,_ZL13mul_mat_vec_qIL9ggml_type10ELi1ELb0ELb0EEvPKvS2_PKi31ggml_cuda_mm_fusion_args_devicePfj15HIP_vector_typeIjLj3EEjjjS8_jjjS8_jjjj,comdat
	.globl	_ZL13mul_mat_vec_qIL9ggml_type10ELi1ELb0ELb0EEvPKvS2_PKi31ggml_cuda_mm_fusion_args_devicePfj15HIP_vector_typeIjLj3EEjjjS8_jjjS8_jjjj ; -- Begin function _ZL13mul_mat_vec_qIL9ggml_type10ELi1ELb0ELb0EEvPKvS2_PKi31ggml_cuda_mm_fusion_args_devicePfj15HIP_vector_typeIjLj3EEjjjS8_jjjS8_jjjj
	.p2align	8
	.type	_ZL13mul_mat_vec_qIL9ggml_type10ELi1ELb0ELb0EEvPKvS2_PKi31ggml_cuda_mm_fusion_args_devicePfj15HIP_vector_typeIjLj3EEjjjS8_jjjS8_jjjj,@function
_ZL13mul_mat_vec_qIL9ggml_type10ELi1ELb0ELb0EEvPKvS2_PKi31ggml_cuda_mm_fusion_args_devicePfj15HIP_vector_typeIjLj3EEjjjS8_jjjS8_jjjj: ; @_ZL13mul_mat_vec_qIL9ggml_type10ELi1ELb0ELb0EEvPKvS2_PKi31ggml_cuda_mm_fusion_args_devicePfj15HIP_vector_typeIjLj3EEjjjS8_jjjS8_jjjj
; %bb.0:
	s_load_dwordx2 s[8:9], s[0:1], 0x10
	s_load_dwordx4 s[16:19], s[0:1], 0x40
	s_mov_b32 s20, s3
	s_mov_b64 s[12:13], 0
	s_waitcnt lgkmcnt(0)
	s_cmp_lg_u64 s[8:9], 0
	s_cselect_b64 s[6:7], -1, 0
	s_cmp_eq_u64 s[8:9], 0
	s_cbranch_scc1 .LBB100_5
; %bb.1:
	s_mov_b32 s21, 0
	s_lshl_b64 s[10:11], s[20:21], 2
	s_add_u32 s8, s8, s10
	s_addc_u32 s9, s9, s11
	s_load_dword s5, s[8:9], 0x0
	s_nop 0
	s_load_dwordx4 s[8:11], s[0:1], 0x68
	s_load_dword s21, s[0:1], 0x50
	s_andn2_b64 vcc, exec, s[12:13]
	s_cbranch_vccnz .LBB100_3
.LBB100_2:
	s_load_dwordx2 s[12:13], s[0:1], 0x5c
	s_waitcnt lgkmcnt(0)
	s_mul_hi_u32 s3, s12, s20
	s_add_i32 s3, s20, s3
	s_lshr_b32 s5, s3, s13
.LBB100_3:
	s_load_dword s22, s[0:1], 0x78
	s_andn2_b64 vcc, exec, s[6:7]
	s_cbranch_vccnz .LBB100_6
; %bb.4:
	s_mul_hi_u32 s3, s17, s20
	s_add_i32 s3, s20, s3
	s_lshr_b32 s3, s3, s18
	s_mul_i32 s3, s3, s19
	s_sub_i32 s23, s20, s3
	s_branch .LBB100_7
.LBB100_5:
                                        ; implicit-def: $sgpr5
	s_load_dwordx4 s[8:11], s[0:1], 0x68
	s_load_dword s21, s[0:1], 0x50
	s_branch .LBB100_2
.LBB100_6:
	s_mov_b32 s23, s20
.LBB100_7:
	s_load_dwordx4 s[12:15], s[0:1], 0x80
	v_bfe_u32 v11, v0, 10, 10
	v_and_b32_e32 v10, 0x3ff, v0
	v_lshl_add_u32 v4, v11, 6, v10
	s_lshr_b32 s3, s16, 8
	v_lshrrev_b32_e32 v12, 4, v4
	v_cmp_gt_u32_e32 vcc, s3, v12
	v_mov_b32_e32 v13, 0
	s_and_saveexec_b64 s[6:7], vcc
	s_cbranch_execz .LBB100_11
; %bb.8:
	s_waitcnt lgkmcnt(0)
	s_mul_i32 s5, s5, s8
	s_mul_hi_u32 s8, s11, s4
	v_and_b32_e32 v14, 15, v10
	s_add_i32 s8, s4, s8
	v_cmp_lt_u32_e32 vcc, 7, v14
	s_load_dwordx4 s[16:19], s[0:1], 0x0
	s_lshr_b32 s8, s8, s22
	v_cndmask_b32_e64 v0, 0, 1, vcc
	s_mul_i32 s8, s8, s12
	v_lshlrev_b32_e32 v6, 2, v0
	s_mul_i32 s15, s23, s9
	s_mul_i32 s9, s2, s21
	s_add_i32 s5, s8, s5
	v_lshrrev_b32_e32 v7, 4, v4
	v_mul_hi_u32_u24_e32 v5, 36, v6
	v_mul_u32_u24_e32 v4, 36, v6
	s_movk_i32 s8, 0x120
	s_mul_i32 s13, s4, s13
	s_add_i32 s5, s5, s9
	v_mad_u64_u32 v[4:5], s[8:9], v7, s8, v[4:5]
	s_mul_hi_u32 s8, s13, 36
	s_mul_i32 s13, s13, 36
	v_add_u32_e32 v0, -8, v14
	v_cmp_gt_u32_e32 vcc, 8, v14
	s_waitcnt lgkmcnt(0)
	s_add_u32 s11, s18, s13
	s_mul_hi_u32 s9, s15, 36
	v_cndmask_b32_e32 v0, v0, v14, vcc
	s_mul_i32 s15, s15, 36
	s_addc_u32 s12, s19, s8
	v_sub_u32_e32 v2, v14, v0
	v_cmp_lt_u32_e32 vcc, 3, v0
	s_add_u32 s8, s11, s15
	v_mov_b32_e32 v1, 0
	v_addc_co_u32_e32 v2, vcc, 0, v2, vcc
	s_addc_u32 s9, s12, s9
	v_ashrrev_i32_e32 v3, 31, v2
	v_lshl_add_u64 v[4:5], s[8:9], 0, v[4:5]
	v_lshlrev_b64 v[6:7], 2, v[0:1]
	s_mov_b64 s[8:9], 0
	s_movk_i32 s11, 0x54
	v_mov_b64_e32 v[8:9], s[16:17]
	v_lshlrev_b32_e32 v0, 2, v14
	s_mov_b32 s15, 0x1010101
	s_mov_b64 s[12:13], 0x900
	v_mov_b32_e32 v13, v1
.LBB100_9:                              ; =>This Inner Loop Header: Depth=1
	v_add_u32_e32 v16, s5, v12
	v_lshl_add_u64 v[14:15], v[4:5], 0, v[6:7]
	v_mad_i64_i32 v[16:17], s[16:17], v16, s11, v[8:9]
	global_load_dword v20, v[4:5], off
	global_load_dword v21, v[4:5], off offset:36
	global_load_dword v22, v[4:5], off offset:72
	;; [unrolled: 1-line block ×7, first 2 shown]
	v_lshl_add_u64 v[14:15], v[16:17], 0, v[0:1]
	v_lshl_add_u64 v[18:19], v[16:17], 0, v[2:3]
	global_load_dword v28, v[14:15], off offset:16
	global_load_ubyte v29, v[18:19], off
	global_load_ubyte v30, v[18:19], off offset:2
	global_load_ubyte v31, v[18:19], off offset:4
	;; [unrolled: 1-line block ×3, first 2 shown]
	global_load_dword v33, v[16:17], off offset:80
	v_mov_b32_e32 v15, 0
	v_mov_b32_e32 v17, 0
	v_mov_b32_e32 v19, 0
	v_mov_b32_e32 v34, 0
	v_mov_b32_e32 v35, 0
	v_mov_b32_e32 v36, 0
	v_mov_b32_e32 v37, 0
	v_mov_b32_e32 v38, 0
	v_add_u32_e32 v12, 8, v12
	v_cmp_le_u32_e32 vcc, s3, v12
	v_lshl_add_u64 v[4:5], v[4:5], 0, s[12:13]
	s_or_b64 s[8:9], vcc, s[8:9]
	s_waitcnt vmcnt(13)
	v_cvt_f32_f16_e32 v14, v20
	s_waitcnt vmcnt(12)
	v_cvt_f32_f16_e32 v16, v21
	s_waitcnt vmcnt(5)
	v_and_b32_e32 v21, 0x3030303, v28
	s_waitcnt vmcnt(4)
	v_and_b32_e32 v39, 15, v29
	v_lshrrev_b32_e32 v29, 4, v29
	v_lshrrev_b32_e32 v40, 2, v28
	s_waitcnt vmcnt(3)
	v_and_b32_e32 v41, 15, v30
	v_lshrrev_b32_e32 v30, 4, v30
	v_lshrrev_b32_e32 v42, 4, v28
	v_dot4c_i32_i8_e32 v15, v21, v24
	v_mul_lo_u32 v21, v29, s15
	v_and_b32_e32 v29, 0x3030303, v40
	v_cvt_f32_f16_e32 v18, v22
	v_cvt_f32_f16_e32 v20, v23
	s_waitcnt vmcnt(2)
	v_and_b32_e32 v43, 15, v31
	v_lshrrev_b32_e32 v31, 4, v31
	v_lshrrev_b32_e32 v28, 6, v28
	s_waitcnt vmcnt(1)
	v_and_b32_e32 v44, 15, v32
	v_lshrrev_b32_e32 v32, 4, v32
	s_waitcnt vmcnt(0)
	v_cvt_f32_f16_e32 v22, v33
	v_cvt_f32_f16_sdwa v23, v33 dst_sel:DWORD dst_unused:UNUSED_PAD src0_sel:WORD_1
	v_mul_lo_u32 v30, v30, s15
	v_and_b32_e32 v33, 0x3030303, v42
	v_mul_lo_u32 v15, v39, v15
	v_dot4c_i32_i8_e32 v17, v21, v24
	v_dot4c_i32_i8_e32 v19, v29, v25
	v_mul_lo_u32 v31, v31, s15
	v_and_b32_e32 v28, 0x3030303, v28
	v_mul_lo_u32 v32, v32, s15
	v_dot4c_i32_i8_e32 v34, v30, v25
	v_dot4c_i32_i8_e32 v35, v33, v26
	v_mul_lo_u32 v19, v41, v19
	v_cvt_f32_i32_e32 v25, v17
	v_cvt_f32_i32_e32 v24, v15
	v_dot4c_i32_i8_e32 v36, v31, v26
	v_dot4c_i32_i8_e32 v37, v28, v27
	;; [unrolled: 1-line block ×3, first 2 shown]
	v_mul_lo_u32 v21, v43, v35
	v_cvt_f32_i32_e32 v27, v34
	v_cvt_f32_i32_e32 v26, v19
	v_mul_lo_u32 v30, v44, v37
	v_cvt_f32_i32_e32 v29, v36
	v_cvt_f32_i32_e32 v28, v21
	;; [unrolled: 1-line block ×4, first 2 shown]
	v_pk_fma_f32 v[14:15], v[14:15], v[24:25], 0 op_sel_hi:[0,1,0]
	v_pk_fma_f32 v[14:15], v[16:17], v[26:27], v[14:15] op_sel_hi:[0,1,1]
	;; [unrolled: 1-line block ×4, first 2 shown]
	v_pk_mul_f32 v[14:15], v[14:15], v[22:23]
	s_nop 0
	v_sub_f32_e32 v14, v14, v15
	v_add_f32_e32 v13, v13, v14
	s_andn2_b64 exec, exec, s[8:9]
	s_cbranch_execnz .LBB100_9
; %bb.10:
	s_or_b64 exec, exec, s[8:9]
.LBB100_11:
	s_or_b64 exec, exec, s[6:7]
	v_cmp_eq_u32_e32 vcc, 0, v11
	v_cmp_ne_u32_e64 s[6:7], 0, v11
	v_lshlrev_b32_e32 v0, 2, v10
	s_waitcnt lgkmcnt(0)
	s_and_saveexec_b64 s[8:9], s[6:7]
	s_cbranch_execz .LBB100_13
; %bb.12:
	v_lshlrev_b32_e32 v1, 8, v11
	s_movk_i32 s3, 0xff00
	v_add3_u32 v1, v1, v0, s3
	ds_write_b32 v1, v13
.LBB100_13:
	s_or_b64 exec, exec, s[8:9]
	s_waitcnt lgkmcnt(0)
	s_barrier
	s_and_saveexec_b64 s[6:7], vcc
	s_cbranch_execz .LBB100_16
; %bb.14:
	v_mbcnt_lo_u32_b32 v1, -1, 0
	ds_read_b32 v0, v0
	v_mbcnt_hi_u32_b32 v1, -1, v1
	v_and_b32_e32 v2, 64, v1
	v_add_u32_e32 v2, 64, v2
	v_xor_b32_e32 v3, 32, v1
	v_cmp_lt_i32_e32 vcc, v3, v2
	s_waitcnt lgkmcnt(0)
	v_add_f32_e32 v0, v13, v0
	s_mov_b32 s3, 0
	v_cndmask_b32_e32 v3, v1, v3, vcc
	v_lshlrev_b32_e32 v3, 2, v3
	ds_bpermute_b32 v3, v3, v0
	s_waitcnt lgkmcnt(0)
	v_add_f32_e32 v0, v0, v3
	v_xor_b32_e32 v3, 16, v1
	v_cmp_lt_i32_e32 vcc, v3, v2
	s_nop 1
	v_cndmask_b32_e32 v3, v1, v3, vcc
	v_lshlrev_b32_e32 v3, 2, v3
	ds_bpermute_b32 v3, v3, v0
	s_waitcnt lgkmcnt(0)
	v_add_f32_e32 v0, v0, v3
	v_xor_b32_e32 v3, 8, v1
	v_cmp_lt_i32_e32 vcc, v3, v2
	s_nop 1
	;; [unrolled: 8-line block ×5, first 2 shown]
	v_cndmask_b32_e32 v1, v1, v3, vcc
	v_lshlrev_b32_e32 v1, 2, v1
	ds_bpermute_b32 v1, v1, v0
	v_cmp_eq_u32_e32 vcc, 0, v10
	s_and_b64 exec, exec, vcc
	s_cbranch_execz .LBB100_16
; %bb.15:
	s_load_dwordx2 s[0:1], s[0:1], 0x38
	s_mul_i32 s5, s20, s10
	s_mul_i32 s4, s4, s14
	s_add_i32 s2, s5, s2
	s_add_i32 s2, s2, s4
	s_lshl_b64 s[2:3], s[2:3], 2
	s_waitcnt lgkmcnt(0)
	s_add_u32 s0, s0, s2
	s_addc_u32 s1, s1, s3
	v_mov_b32_e32 v2, 0
	v_add_f32_e32 v0, v0, v1
	global_store_dword v2, v0, s[0:1]
.LBB100_16:
	s_endpgm
	.section	.rodata,"a",@progbits
	.p2align	6, 0x0
	.amdhsa_kernel _ZL13mul_mat_vec_qIL9ggml_type10ELi1ELb0ELb0EEvPKvS2_PKi31ggml_cuda_mm_fusion_args_devicePfj15HIP_vector_typeIjLj3EEjjjS8_jjjS8_jjjj
		.amdhsa_group_segment_fixed_size 256
		.amdhsa_private_segment_fixed_size 0
		.amdhsa_kernarg_size 144
		.amdhsa_user_sgpr_count 2
		.amdhsa_user_sgpr_dispatch_ptr 0
		.amdhsa_user_sgpr_queue_ptr 0
		.amdhsa_user_sgpr_kernarg_segment_ptr 1
		.amdhsa_user_sgpr_dispatch_id 0
		.amdhsa_user_sgpr_kernarg_preload_length 0
		.amdhsa_user_sgpr_kernarg_preload_offset 0
		.amdhsa_user_sgpr_private_segment_size 0
		.amdhsa_uses_dynamic_stack 0
		.amdhsa_enable_private_segment 0
		.amdhsa_system_sgpr_workgroup_id_x 1
		.amdhsa_system_sgpr_workgroup_id_y 1
		.amdhsa_system_sgpr_workgroup_id_z 1
		.amdhsa_system_sgpr_workgroup_info 0
		.amdhsa_system_vgpr_workitem_id 1
		.amdhsa_next_free_vgpr 45
		.amdhsa_next_free_sgpr 24
		.amdhsa_accum_offset 48
		.amdhsa_reserve_vcc 1
		.amdhsa_float_round_mode_32 0
		.amdhsa_float_round_mode_16_64 0
		.amdhsa_float_denorm_mode_32 3
		.amdhsa_float_denorm_mode_16_64 3
		.amdhsa_dx10_clamp 1
		.amdhsa_ieee_mode 1
		.amdhsa_fp16_overflow 0
		.amdhsa_tg_split 0
		.amdhsa_exception_fp_ieee_invalid_op 0
		.amdhsa_exception_fp_denorm_src 0
		.amdhsa_exception_fp_ieee_div_zero 0
		.amdhsa_exception_fp_ieee_overflow 0
		.amdhsa_exception_fp_ieee_underflow 0
		.amdhsa_exception_fp_ieee_inexact 0
		.amdhsa_exception_int_div_zero 0
	.end_amdhsa_kernel
	.section	.text._ZL13mul_mat_vec_qIL9ggml_type10ELi1ELb0ELb0EEvPKvS2_PKi31ggml_cuda_mm_fusion_args_devicePfj15HIP_vector_typeIjLj3EEjjjS8_jjjS8_jjjj,"axG",@progbits,_ZL13mul_mat_vec_qIL9ggml_type10ELi1ELb0ELb0EEvPKvS2_PKi31ggml_cuda_mm_fusion_args_devicePfj15HIP_vector_typeIjLj3EEjjjS8_jjjS8_jjjj,comdat
.Lfunc_end100:
	.size	_ZL13mul_mat_vec_qIL9ggml_type10ELi1ELb0ELb0EEvPKvS2_PKi31ggml_cuda_mm_fusion_args_devicePfj15HIP_vector_typeIjLj3EEjjjS8_jjjS8_jjjj, .Lfunc_end100-_ZL13mul_mat_vec_qIL9ggml_type10ELi1ELb0ELb0EEvPKvS2_PKi31ggml_cuda_mm_fusion_args_devicePfj15HIP_vector_typeIjLj3EEjjjS8_jjjS8_jjjj
                                        ; -- End function
	.section	.AMDGPU.csdata,"",@progbits
; Kernel info:
; codeLenInByte = 1380
; NumSgprs: 30
; NumVgprs: 45
; NumAgprs: 0
; TotalNumVgprs: 45
; ScratchSize: 0
; MemoryBound: 0
; FloatMode: 240
; IeeeMode: 1
; LDSByteSize: 256 bytes/workgroup (compile time only)
; SGPRBlocks: 3
; VGPRBlocks: 5
; NumSGPRsForWavesPerEU: 30
; NumVGPRsForWavesPerEU: 45
; AccumOffset: 48
; Occupancy: 8
; WaveLimiterHint : 0
; COMPUTE_PGM_RSRC2:SCRATCH_EN: 0
; COMPUTE_PGM_RSRC2:USER_SGPR: 2
; COMPUTE_PGM_RSRC2:TRAP_HANDLER: 0
; COMPUTE_PGM_RSRC2:TGID_X_EN: 1
; COMPUTE_PGM_RSRC2:TGID_Y_EN: 1
; COMPUTE_PGM_RSRC2:TGID_Z_EN: 1
; COMPUTE_PGM_RSRC2:TIDIG_COMP_CNT: 1
; COMPUTE_PGM_RSRC3_GFX90A:ACCUM_OFFSET: 11
; COMPUTE_PGM_RSRC3_GFX90A:TG_SPLIT: 0
	.section	.text._ZL13mul_mat_vec_qIL9ggml_type10ELi2ELb0ELb0EEvPKvS2_PKi31ggml_cuda_mm_fusion_args_devicePfj15HIP_vector_typeIjLj3EEjjjS8_jjjS8_jjjj,"axG",@progbits,_ZL13mul_mat_vec_qIL9ggml_type10ELi2ELb0ELb0EEvPKvS2_PKi31ggml_cuda_mm_fusion_args_devicePfj15HIP_vector_typeIjLj3EEjjjS8_jjjS8_jjjj,comdat
	.globl	_ZL13mul_mat_vec_qIL9ggml_type10ELi2ELb0ELb0EEvPKvS2_PKi31ggml_cuda_mm_fusion_args_devicePfj15HIP_vector_typeIjLj3EEjjjS8_jjjS8_jjjj ; -- Begin function _ZL13mul_mat_vec_qIL9ggml_type10ELi2ELb0ELb0EEvPKvS2_PKi31ggml_cuda_mm_fusion_args_devicePfj15HIP_vector_typeIjLj3EEjjjS8_jjjS8_jjjj
	.p2align	8
	.type	_ZL13mul_mat_vec_qIL9ggml_type10ELi2ELb0ELb0EEvPKvS2_PKi31ggml_cuda_mm_fusion_args_devicePfj15HIP_vector_typeIjLj3EEjjjS8_jjjS8_jjjj,@function
_ZL13mul_mat_vec_qIL9ggml_type10ELi2ELb0ELb0EEvPKvS2_PKi31ggml_cuda_mm_fusion_args_devicePfj15HIP_vector_typeIjLj3EEjjjS8_jjjS8_jjjj: ; @_ZL13mul_mat_vec_qIL9ggml_type10ELi2ELb0ELb0EEvPKvS2_PKi31ggml_cuda_mm_fusion_args_devicePfj15HIP_vector_typeIjLj3EEjjjS8_jjjS8_jjjj
; %bb.0:
	s_load_dwordx2 s[20:21], s[0:1], 0x4
	s_load_dword s7, s[2:3], 0x40
	s_load_dwordx4 s[8:11], s[2:3], 0x50
	s_load_dword s25, s[2:3], 0x60
	s_load_dwordx4 s[12:15], s[2:3], 0x68
	;; [unrolled: 2-line block ×3, first 2 shown]
	s_waitcnt lgkmcnt(0)
	s_lshr_b32 s0, s20, 16
	v_bfe_u32 v22, v0, 10, 10
	v_and_b32_e32 v20, 0x3ff, v0
	s_mul_i32 s0, s0, s21
	v_mul_u32_u24_e32 v1, s21, v22
	v_mad_u32_u24 v1, s0, v20, v1
	v_bfe_u32 v0, v0, 20, 10
	v_lshl_add_u32 v5, v22, 6, v20
	v_add_lshl_u32 v4, v1, v0, 4
	s_lshr_b32 s7, s7, 8
	v_mov_b32_e32 v0, 0
	v_lshrrev_b32_e32 v23, 4, v5
	v_add_u32_e32 v21, 0x400, v4
	s_lshl_b32 s4, s4, 1
	v_mov_b32_e32 v1, v0
	v_mov_b32_e32 v2, v0
	;; [unrolled: 1-line block ×3, first 2 shown]
	v_cmp_gt_u32_e32 vcc, s7, v23
	ds_write_b128 v4, v[0:3] offset:1024
	s_and_saveexec_b64 s[0:1], vcc
	s_cbranch_execz .LBB101_4
; %bb.1:
	s_load_dwordx4 s[20:23], s[2:3], 0x0
	s_mul_i32 s17, s6, s17
	s_mul_hi_u32 s19, s17, 36
	s_mul_i32 s17, s17, 36
	s_mul_i32 s13, s5, s13
	s_waitcnt lgkmcnt(0)
	s_add_u32 s17, s22, s17
	s_addc_u32 s19, s23, s19
	s_mul_hi_u32 s23, s13, 36
	s_mul_i32 s13, s13, 36
	s_add_u32 s22, s17, s13
	s_mul_hi_u32 s11, s11, s5
	s_addc_u32 s23, s19, s23
	s_add_i32 s11, s5, s11
	s_lshr_b32 s11, s11, s25
	s_mul_i32 s11, s11, s12
	s_mul_hi_u32 s12, s15, s6
	s_add_i32 s12, s6, s12
	v_lshrrev_b32_e32 v1, 1, v20
	s_lshr_b32 s12, s12, s24
	v_and_b32_e32 v1, 4, v1
	s_mul_i32 s15, s12, s16
	v_mad_u64_u32 v[8:9], s[12:13], v1, 36, s[22:23]
	v_bfe_u32 v1, v20, 3, 1
	v_mul_hi_u32_u24_e32 v11, 0x90, v1
	v_mul_u32_u24_e32 v10, 0x90, v1
	s_movk_i32 s12, 0x120
	v_and_b32_e32 v0, 15, v20
	v_and_b32_e32 v2, 7, v20
	v_mad_u64_u32 v[10:11], s[12:13], v23, s12, v[10:11]
	v_sub_u32_e32 v3, v0, v2
	v_bfe_u32 v4, v20, 2, 1
	s_add_i32 s12, s4, 1
	v_mov_b32_e32 v5, 0
	v_add_u32_e32 v6, v3, v4
	s_mul_i32 s16, s4, s8
	s_add_i32 s15, s15, s11
	s_mul_i32 s8, s8, s12
	v_ashrrev_i32_e32 v7, 31, v6
	s_add_i32 s11, s15, s16
	v_lshlrev_b32_e32 v4, 2, v2
	v_lshl_add_u64 v[10:11], s[22:23], 0, v[10:11]
	s_add_i32 s15, s15, s8
	v_lshl_add_u32 v24, v23, 3, s9
	s_mov_b64 s[8:9], 0
	s_movk_i32 s19, 0x54
	v_mov_b64_e32 v[12:13], s[20:21]
	v_lshlrev_b32_e32 v14, 2, v0
	s_mov_b32 s22, 0x1010101
	v_lshlrev_b32_e32 v16, 2, v2
	s_mov_b64 s[12:13], 0x48
	s_mov_b64 s[16:17], 0x6c
	;; [unrolled: 1-line block ×3, first 2 shown]
	v_mov_b32_e32 v15, v5
	v_mov_b32_e32 v17, v5
	;; [unrolled: 1-line block ×6, first 2 shown]
.LBB101_2:                              ; =>This Inner Loop Header: Depth=1
	v_lshl_add_u64 v[18:19], v[10:11], 0, v[4:5]
	global_load_dword v36, v[10:11], off
	global_load_dword v37, v[10:11], off offset:36
	global_load_dword v40, v[10:11], off offset:72
	;; [unrolled: 1-line block ×7, first 2 shown]
	v_add_u32_e32 v25, s11, v23
	v_add_u32_e32 v26, s15, v23
	v_mad_i64_i32 v[18:19], s[24:25], v25, s19, v[12:13]
	v_mad_i64_i32 v[26:27], s[24:25], v26, s19, v[12:13]
	v_lshl_add_u64 v[28:29], v[18:19], 0, v[14:15]
	v_lshl_add_u64 v[30:31], v[18:19], 0, v[6:7]
	;; [unrolled: 1-line block ×4, first 2 shown]
	global_load_dword v25, v[28:29], off offset:16
	global_load_ubyte v53, v[30:31], off
	global_load_dword v54, v[32:33], off offset:16
	global_load_ubyte v55, v[34:35], off
	global_load_ubyte v56, v[34:35], off offset:2
	global_load_ubyte v57, v[30:31], off offset:2
	;; [unrolled: 1-line block ×3, first 2 shown]
	global_load_dword v59, v[26:27], off offset:80
	global_load_ubyte v60, v[30:31], off offset:6
	global_load_dword v61, v[18:19], off offset:80
	global_load_ubyte v62, v[34:35], off offset:4
	global_load_ubyte v63, v[34:35], off offset:6
	v_mov_b32_e32 v38, 0
	v_mov_b32_e32 v44, 0
	;; [unrolled: 1-line block ×9, first 2 shown]
	v_add_u32_e32 v23, 8, v23
	v_cmp_le_u32_e32 vcc, s7, v23
	v_lshl_add_u64 v[10:11], v[10:11], 0, s[20:21]
	s_or_b64 s[8:9], vcc, s[8:9]
	s_waitcnt vmcnt(19)
	v_cvt_f32_f16_e32 v18, v36
	s_waitcnt vmcnt(17)
	v_cvt_f32_f16_e32 v40, v40
	s_waitcnt vmcnt(11)
	v_and_b32_e32 v34, 0x3030303, v25
	s_waitcnt vmcnt(10)
	v_lshrrev_b32_e32 v19, 4, v53
	s_waitcnt vmcnt(9)
	v_and_b32_e32 v35, 0x3030303, v54
	s_waitcnt vmcnt(8)
	v_lshrrev_b32_e32 v26, 4, v55
	v_and_b32_e32 v36, 15, v55
	v_and_b32_e32 v53, 15, v53
	v_dot4c_i32_i8_e32 v38, v34, v49
	v_mul_lo_u32 v55, v19, s22
	v_dot4c_i32_i8_e32 v44, v35, v49
	v_mul_lo_u32 v64, v26, s22
	v_dot4c_i32_i8_e32 v39, v55, v49
	v_dot4c_i32_i8_e32 v45, v64, v49
	v_mul_lo_u32 v19, v53, v38
	v_mul_lo_u32 v26, v36, v44
	v_cvt_f32_i32_e32 v27, v26
	v_cvt_f32_i32_e32 v26, v19
	;; [unrolled: 1-line block ×4, first 2 shown]
	v_lshrrev_b32_e32 v30, 2, v25
	v_lshrrev_b32_e32 v31, 2, v54
	v_and_b32_e32 v44, 0x3030303, v30
	v_and_b32_e32 v45, 0x3030303, v31
	s_waitcnt vmcnt(7)
	v_and_b32_e32 v38, 15, v56
	s_waitcnt vmcnt(6)
	v_and_b32_e32 v39, 15, v57
	v_dot4c_i32_i8_e32 v42, v44, v50
	v_dot4c_i32_i8_e32 v46, v45, v50
	v_pk_fma_f32 v[26:27], v[18:19], v[26:27], 0 op_sel_hi:[0,1,0]
	v_pk_fma_f32 v[28:29], v[18:19], v[28:29], 0 op_sel_hi:[0,1,0]
	v_mul_lo_u32 v18, v39, v42
	v_mul_lo_u32 v19, v38, v46
	v_cvt_f32_i32_e32 v19, v19
	v_cvt_f32_i32_e32 v18, v18
	v_cvt_f32_f16_e32 v30, v37
	v_lshrrev_b32_e32 v32, 4, v56
	v_mul_lo_u32 v42, v32, s22
	v_dot4c_i32_i8_e32 v48, v42, v50
	v_pk_fma_f32 v[18:19], v[30:31], v[18:19], v[26:27] op_sel_hi:[0,1,1]
	v_lshrrev_b32_e32 v31, 4, v57
	v_mul_lo_u32 v37, v31, s22
	v_dot4c_i32_i8_e32 v47, v37, v50
	v_cvt_f32_i32_e32 v33, v48
	v_mad_u64_u32 v[26:27], s[24:25], v24, 36, v[8:9]
	s_nop 0
	v_cvt_f32_i32_e32 v32, v47
	v_mov_b32_e32 v49, 0
	v_mov_b32_e32 v46, 0
	v_add_u32_e32 v24, 64, v24
	v_pk_fma_f32 v[28:29], v[30:31], v[32:33], v[28:29] op_sel_hi:[0,1,1]
	v_lshl_add_u64 v[30:31], v[26:27], 0, v[16:17]
	v_lshl_add_u64 v[32:33], v[26:27], 0, 36
	global_load_dword v47, v[30:31], off offset:4
	v_lshl_add_u64 v[30:31], v[32:33], 0, v[16:17]
	global_load_dword v32, v[30:31], off offset:4
	v_lshl_add_u64 v[30:31], v[26:27], 0, s[12:13]
	v_lshl_add_u64 v[30:31], v[30:31], 0, v[16:17]
	global_load_dword v48, v[30:31], off offset:4
	global_load_dword v65, v[26:27], off offset:108
	v_mov_b32_e32 v33, 0
	v_lshl_add_u64 v[30:31], v[26:27], 0, s[16:17]
	v_lshl_add_u64 v[30:31], v[30:31], 0, v[16:17]
	s_waitcnt vmcnt(3)
	v_dot4c_i32_i8_e32 v46, v34, v47
	v_dot4c_i32_i8_e32 v33, v35, v47
	s_waitcnt vmcnt(2)
	v_dot4c_i32_i8_e32 v49, v44, v32
	v_mov_b32_e32 v44, 0
	v_dot4c_i32_i8_e32 v44, v45, v32
	v_mov_b32_e32 v45, 0
	v_mov_b32_e32 v34, 0
	;; [unrolled: 1-line block ×3, first 2 shown]
	v_dot4c_i32_i8_e32 v45, v37, v32
	v_mov_b32_e32 v37, 0
	v_dot4c_i32_i8_e32 v34, v55, v47
	v_dot4c_i32_i8_e32 v35, v64, v47
	global_load_dword v47, v[30:31], off offset:4
	v_dot4c_i32_i8_e32 v37, v42, v32
	global_load_dword v32, v[26:27], off
	global_load_dword v42, v[26:27], off offset:36
	global_load_dword v50, v[26:27], off offset:72
	v_mul_lo_u32 v26, v53, v46
	v_mul_lo_u32 v27, v36, v33
	v_cvt_f32_i32_e32 v27, v27
	v_cvt_f32_i32_e32 v26, v26
	;; [unrolled: 1-line block ×4, first 2 shown]
	v_mov_b32_e32 v46, 0
	v_mov_b32_e32 v36, 0
	;; [unrolled: 1-line block ×4, first 2 shown]
	s_waitcnt vmcnt(2)
	v_cvt_f32_f16_e32 v32, v32
	s_waitcnt vmcnt(1)
	v_cvt_f32_f16_e32 v34, v42
	v_mov_b32_e32 v42, 0
	v_pk_fma_f32 v[26:27], v[32:33], v[26:27], 0 op_sel_hi:[0,1,0]
	v_pk_fma_f32 v[30:31], v[32:33], v[30:31], 0 op_sel_hi:[0,1,0]
	v_mul_lo_u32 v32, v39, v49
	v_mul_lo_u32 v33, v38, v44
	v_cvt_f32_i32_e32 v33, v33
	v_cvt_f32_i32_e32 v32, v32
	v_mov_b32_e32 v38, 0
	v_mov_b32_e32 v44, 0
	;; [unrolled: 1-line block ×3, first 2 shown]
	v_pk_fma_f32 v[26:27], v[34:35], v[32:33], v[26:27] op_sel_hi:[0,1,1]
	v_cvt_f32_i32_e32 v33, v37
	v_cvt_f32_i32_e32 v32, v45
	v_mov_b32_e32 v45, 0
	v_mov_b32_e32 v39, 0
	v_pk_fma_f32 v[30:31], v[34:35], v[32:33], v[30:31] op_sel_hi:[0,1,1]
	v_lshrrev_b32_e32 v32, 4, v25
	v_lshrrev_b32_e32 v33, 4, v54
	;; [unrolled: 1-line block ×4, first 2 shown]
	v_and_b32_e32 v32, 0x3030303, v32
	v_and_b32_e32 v33, 0x3030303, v33
	v_mul_lo_u32 v34, v34, s22
	v_mul_lo_u32 v35, v35, s22
	v_dot4c_i32_i8_e32 v43, v32, v51
	v_dot4c_i32_i8_e32 v46, v33, v51
	;; [unrolled: 1-line block ×7, first 2 shown]
	v_mov_b32_e32 v51, 0
	v_lshrrev_b32_e32 v25, 6, v25
	v_lshrrev_b32_e32 v32, 6, v54
	;; [unrolled: 1-line block ×4, first 2 shown]
	v_dot4c_i32_i8_e32 v51, v35, v48
	v_and_b32_e32 v25, 0x3030303, v25
	v_and_b32_e32 v32, 0x3030303, v32
	v_mul_lo_u32 v33, v33, s22
	v_mul_lo_u32 v34, v34, s22
	v_mov_b32_e32 v48, 0
	v_dot4c_i32_i8_e32 v55, v25, v52
	v_dot4c_i32_i8_e32 v53, v32, v52
	;; [unrolled: 1-line block ×5, first 2 shown]
	v_mov_b32_e32 v25, 0
	v_mov_b32_e32 v52, 0
	;; [unrolled: 1-line block ×3, first 2 shown]
	v_dot4c_i32_i8_e32 v25, v32, v47
	v_dot4c_i32_i8_e32 v52, v33, v47
	;; [unrolled: 1-line block ×3, first 2 shown]
	v_and_b32_e32 v47, 15, v58
	v_mul_lo_u32 v56, v47, v43
	v_mul_lo_u32 v47, v47, v42
	v_and_b32_e32 v42, 15, v62
	v_mul_lo_u32 v58, v42, v44
	v_cvt_f32_f16_e32 v44, v41
	v_and_b32_e32 v41, 15, v60
	v_cvt_f32_i32_e32 v37, v38
	v_cvt_f32_i32_e32 v36, v36
	v_mul_lo_u32 v57, v42, v46
	v_cvt_f32_i32_e32 v43, v51
	v_cvt_f32_i32_e32 v42, v45
	v_mul_lo_u32 v45, v41, v55
	v_mul_lo_u32 v41, v41, v48
	s_waitcnt vmcnt(0)
	v_cvt_f32_f16_e32 v46, v50
	v_and_b32_e32 v48, 15, v63
	v_cvt_f32_i32_e32 v39, v39
	v_cvt_f32_i32_e32 v38, v49
	v_mul_lo_u32 v53, v48, v53
	v_mul_lo_u32 v25, v48, v25
	v_cvt_f32_i32_e32 v49, v54
	v_cvt_f32_i32_e32 v48, v52
	;; [unrolled: 1-line block ×6, first 2 shown]
	v_cvt_f32_f16_e32 v58, v65
	v_cvt_f32_f16_sdwa v35, v59 dst_sel:DWORD dst_unused:UNUSED_PAD src0_sel:WORD_1
	v_cvt_f32_f16_sdwa v34, v61 dst_sel:DWORD dst_unused:UNUSED_PAD src0_sel:WORD_1
	v_cvt_f32_i32_e32 v53, v53
	v_cvt_f32_i32_e32 v52, v45
	;; [unrolled: 1-line block ×4, first 2 shown]
	v_cvt_f32_f16_e32 v33, v59
	v_cvt_f32_f16_e32 v32, v61
	v_pk_fma_f32 v[28:29], v[40:41], v[36:37], v[28:29] op_sel_hi:[0,1,1]
	v_pk_fma_f32 v[30:31], v[46:47], v[42:43], v[30:31] op_sel_hi:[0,1,1]
	;; [unrolled: 1-line block ×8, first 2 shown]
	v_pk_mul_f32 v[28:29], v[28:29], v[34:35]
	v_pk_mul_f32 v[30:31], v[30:31], v[34:35]
	v_pk_fma_f32 v[18:19], v[18:19], v[32:33], v[28:29] neg_lo:[0,0,1] neg_hi:[0,0,1]
	v_pk_fma_f32 v[26:27], v[26:27], v[32:33], v[30:31] neg_lo:[0,0,1] neg_hi:[0,0,1]
	v_pk_add_f32 v[2:3], v[2:3], v[18:19]
	v_pk_add_f32 v[0:1], v[0:1], v[26:27]
	s_andn2_b64 exec, exec, s[8:9]
	s_cbranch_execnz .LBB101_2
; %bb.3:
	s_or_b64 exec, exec, s[8:9]
	v_mov_b32_e32 v4, v0
	v_mov_b32_e32 v5, v1
	ds_write_b128 v21, v[2:5]
.LBB101_4:
	s_or_b64 exec, exec, s[0:1]
	v_cmp_eq_u32_e32 vcc, 0, v22
	v_cmp_ne_u32_e64 s[0:1], 0, v22
	v_lshlrev_b32_e32 v4, 2, v20
	s_and_saveexec_b64 s[8:9], s[0:1]
	s_cbranch_execz .LBB101_6
; %bb.5:
	v_lshl_or_b32 v5, v22, 10, v4
	v_add_u32_e32 v5, 0xfffffc00, v5
	ds_write2st64_b32 v5, v2, v3 offset1:1
	ds_write2st64_b32 v5, v0, v1 offset0:2 offset1:3
.LBB101_6:
	s_or_b64 exec, exec, s[8:9]
	s_waitcnt lgkmcnt(0)
	s_barrier
	s_and_saveexec_b64 s[0:1], vcc
	s_cbranch_execz .LBB101_11
; %bb.7:
	v_mbcnt_lo_u32_b32 v0, -1, 0
	v_mbcnt_hi_u32_b32 v12, -1, v0
	ds_read2st64_b32 v[2:3], v4 offset1:1
	ds_read_b64 v[6:7], v21
	v_and_b32_e32 v0, 64, v12
	v_add_u32_e32 v13, 64, v0
	v_xor_b32_e32 v0, 32, v12
	v_cmp_lt_i32_e32 vcc, v0, v13
	s_waitcnt lgkmcnt(0)
	v_pk_add_f32 v[2:3], v[2:3], v[6:7]
	v_xor_b32_e32 v1, 16, v12
	v_cndmask_b32_e32 v0, v12, v0, vcc
	v_lshlrev_b32_e32 v0, 2, v0
	ds_bpermute_b32 v6, v0, v2
	ds_bpermute_b32 v7, v0, v3
	v_cmp_lt_i32_e32 vcc, v1, v13
	v_xor_b32_e32 v5, 2, v12
	s_load_dwordx2 s[0:1], s[2:3], 0x38
	v_cndmask_b32_e32 v1, v12, v1, vcc
	v_lshlrev_b32_e32 v1, 2, v1
	s_waitcnt lgkmcnt(0)
	v_pk_add_f32 v[6:7], v[2:3], v[6:7]
	ds_bpermute_b32 v8, v1, v6
	ds_bpermute_b32 v9, v1, v7
	v_xor_b32_e32 v2, 8, v12
	v_cmp_lt_i32_e32 vcc, v2, v13
	v_xor_b32_e32 v3, 4, v12
	s_mul_i32 s2, s5, s14
	v_cndmask_b32_e32 v2, v12, v2, vcc
	v_lshlrev_b32_e32 v2, 2, v2
	s_waitcnt lgkmcnt(0)
	v_pk_add_f32 v[6:7], v[6:7], v[8:9]
	ds_bpermute_b32 v8, v2, v6
	ds_bpermute_b32 v9, v2, v7
	v_cmp_lt_i32_e32 vcc, v3, v13
	s_mul_i32 s6, s6, s18
	s_add_i32 s2, s2, s4
	v_cndmask_b32_e32 v3, v12, v3, vcc
	v_lshlrev_b32_e32 v3, 2, v3
	s_waitcnt lgkmcnt(0)
	v_pk_add_f32 v[6:7], v[6:7], v[8:9]
	ds_bpermute_b32 v8, v3, v6
	ds_bpermute_b32 v9, v3, v7
	v_cmp_lt_i32_e32 vcc, v5, v13
	s_add_i32 s2, s2, s6
	s_mov_b32 s3, 0
	v_cndmask_b32_e32 v5, v12, v5, vcc
	v_lshlrev_b32_e32 v5, 2, v5
	s_waitcnt lgkmcnt(0)
	v_pk_add_f32 v[8:9], v[6:7], v[8:9]
	ds_bpermute_b32 v10, v5, v8
	ds_bpermute_b32 v11, v5, v9
	v_xor_b32_e32 v6, 1, v12
	v_cmp_lt_i32_e32 vcc, v6, v13
	s_lshl_b64 s[2:3], s[2:3], 2
	s_add_u32 s2, s0, s2
	v_cndmask_b32_e32 v6, v12, v6, vcc
	v_lshlrev_b32_e32 v6, 2, v6
	s_waitcnt lgkmcnt(0)
	v_pk_add_f32 v[8:9], v[8:9], v[10:11]
	ds_bpermute_b32 v10, v6, v8
	ds_bpermute_b32 v11, v6, v9
	v_or_b32_e32 v7, s4, v20
	s_addc_u32 s3, s1, s3
	v_cmp_gt_u32_e32 vcc, 2, v20
	v_cmp_gt_u32_e64 s[0:1], s10, v7
	s_and_b64 s[0:1], vcc, s[0:1]
	s_waitcnt lgkmcnt(0)
	v_pk_add_f32 v[8:9], v[8:9], v[10:11]
	ds_write_b64 v21, v[8:9]
	s_and_saveexec_b64 s[4:5], s[0:1]
	s_cbranch_execz .LBB101_9
; %bb.8:
	v_add_u32_e32 v7, v21, v4
	ds_read_b32 v7, v7
	s_waitcnt lgkmcnt(0)
	global_store_dword v4, v7, s[2:3]
.LBB101_9:
	s_or_b64 exec, exec, s[4:5]
	ds_read2st64_b32 v[8:9], v4 offset0:2 offset1:3
	ds_read_b64 v[10:11], v21 offset:8
	s_waitcnt lgkmcnt(0)
	v_pk_add_f32 v[8:9], v[8:9], v[10:11]
	ds_bpermute_b32 v10, v0, v8
	ds_bpermute_b32 v11, v0, v9
	s_waitcnt lgkmcnt(0)
	v_pk_add_f32 v[8:9], v[8:9], v[10:11]
	ds_bpermute_b32 v0, v1, v8
	ds_bpermute_b32 v1, v1, v9
	s_waitcnt lgkmcnt(0)
	v_pk_add_f32 v[0:1], v[8:9], v[0:1]
	ds_bpermute_b32 v8, v2, v0
	ds_bpermute_b32 v9, v2, v1
	s_waitcnt lgkmcnt(0)
	v_pk_add_f32 v[0:1], v[0:1], v[8:9]
	ds_bpermute_b32 v2, v3, v0
	ds_bpermute_b32 v3, v3, v1
	s_waitcnt lgkmcnt(0)
	v_pk_add_f32 v[0:1], v[0:1], v[2:3]
	ds_bpermute_b32 v2, v5, v0
	ds_bpermute_b32 v3, v5, v1
	s_waitcnt lgkmcnt(0)
	v_pk_add_f32 v[0:1], v[0:1], v[2:3]
	ds_bpermute_b32 v2, v6, v0
	ds_bpermute_b32 v3, v6, v1
	s_waitcnt lgkmcnt(0)
	v_pk_add_f32 v[0:1], v[0:1], v[2:3]
	ds_write_b64 v21, v[0:1] offset:8
	s_and_b64 exec, exec, s[0:1]
	s_cbranch_execz .LBB101_11
; %bb.10:
	v_lshl_add_u32 v0, v20, 2, v21
	ds_read_b32 v2, v0 offset:8
	v_add_u32_e32 v0, s10, v20
	v_mov_b32_e32 v1, 0
	v_lshl_add_u64 v[0:1], v[0:1], 2, s[2:3]
	s_waitcnt lgkmcnt(0)
	global_store_dword v[0:1], v2, off
.LBB101_11:
	s_endpgm
	.section	.rodata,"a",@progbits
	.p2align	6, 0x0
	.amdhsa_kernel _ZL13mul_mat_vec_qIL9ggml_type10ELi2ELb0ELb0EEvPKvS2_PKi31ggml_cuda_mm_fusion_args_devicePfj15HIP_vector_typeIjLj3EEjjjS8_jjjS8_jjjj
		.amdhsa_group_segment_fixed_size 3072
		.amdhsa_private_segment_fixed_size 0
		.amdhsa_kernarg_size 144
		.amdhsa_user_sgpr_count 4
		.amdhsa_user_sgpr_dispatch_ptr 1
		.amdhsa_user_sgpr_queue_ptr 0
		.amdhsa_user_sgpr_kernarg_segment_ptr 1
		.amdhsa_user_sgpr_dispatch_id 0
		.amdhsa_user_sgpr_kernarg_preload_length 0
		.amdhsa_user_sgpr_kernarg_preload_offset 0
		.amdhsa_user_sgpr_private_segment_size 0
		.amdhsa_uses_dynamic_stack 0
		.amdhsa_enable_private_segment 0
		.amdhsa_system_sgpr_workgroup_id_x 1
		.amdhsa_system_sgpr_workgroup_id_y 1
		.amdhsa_system_sgpr_workgroup_id_z 1
		.amdhsa_system_sgpr_workgroup_info 0
		.amdhsa_system_vgpr_workitem_id 2
		.amdhsa_next_free_vgpr 66
		.amdhsa_next_free_sgpr 26
		.amdhsa_accum_offset 68
		.amdhsa_reserve_vcc 1
		.amdhsa_float_round_mode_32 0
		.amdhsa_float_round_mode_16_64 0
		.amdhsa_float_denorm_mode_32 3
		.amdhsa_float_denorm_mode_16_64 3
		.amdhsa_dx10_clamp 1
		.amdhsa_ieee_mode 1
		.amdhsa_fp16_overflow 0
		.amdhsa_tg_split 0
		.amdhsa_exception_fp_ieee_invalid_op 0
		.amdhsa_exception_fp_denorm_src 0
		.amdhsa_exception_fp_ieee_div_zero 0
		.amdhsa_exception_fp_ieee_overflow 0
		.amdhsa_exception_fp_ieee_underflow 0
		.amdhsa_exception_fp_ieee_inexact 0
		.amdhsa_exception_int_div_zero 0
	.end_amdhsa_kernel
	.section	.text._ZL13mul_mat_vec_qIL9ggml_type10ELi2ELb0ELb0EEvPKvS2_PKi31ggml_cuda_mm_fusion_args_devicePfj15HIP_vector_typeIjLj3EEjjjS8_jjjS8_jjjj,"axG",@progbits,_ZL13mul_mat_vec_qIL9ggml_type10ELi2ELb0ELb0EEvPKvS2_PKi31ggml_cuda_mm_fusion_args_devicePfj15HIP_vector_typeIjLj3EEjjjS8_jjjS8_jjjj,comdat
.Lfunc_end101:
	.size	_ZL13mul_mat_vec_qIL9ggml_type10ELi2ELb0ELb0EEvPKvS2_PKi31ggml_cuda_mm_fusion_args_devicePfj15HIP_vector_typeIjLj3EEjjjS8_jjjS8_jjjj, .Lfunc_end101-_ZL13mul_mat_vec_qIL9ggml_type10ELi2ELb0ELb0EEvPKvS2_PKi31ggml_cuda_mm_fusion_args_devicePfj15HIP_vector_typeIjLj3EEjjjS8_jjjS8_jjjj
                                        ; -- End function
	.section	.AMDGPU.csdata,"",@progbits
; Kernel info:
; codeLenInByte = 2644
; NumSgprs: 32
; NumVgprs: 66
; NumAgprs: 0
; TotalNumVgprs: 66
; ScratchSize: 0
; MemoryBound: 0
; FloatMode: 240
; IeeeMode: 1
; LDSByteSize: 3072 bytes/workgroup (compile time only)
; SGPRBlocks: 3
; VGPRBlocks: 8
; NumSGPRsForWavesPerEU: 32
; NumVGPRsForWavesPerEU: 66
; AccumOffset: 68
; Occupancy: 7
; WaveLimiterHint : 0
; COMPUTE_PGM_RSRC2:SCRATCH_EN: 0
; COMPUTE_PGM_RSRC2:USER_SGPR: 4
; COMPUTE_PGM_RSRC2:TRAP_HANDLER: 0
; COMPUTE_PGM_RSRC2:TGID_X_EN: 1
; COMPUTE_PGM_RSRC2:TGID_Y_EN: 1
; COMPUTE_PGM_RSRC2:TGID_Z_EN: 1
; COMPUTE_PGM_RSRC2:TIDIG_COMP_CNT: 2
; COMPUTE_PGM_RSRC3_GFX90A:ACCUM_OFFSET: 16
; COMPUTE_PGM_RSRC3_GFX90A:TG_SPLIT: 0
	.section	.text._ZL13mul_mat_vec_qIL9ggml_type10ELi3ELb0ELb0EEvPKvS2_PKi31ggml_cuda_mm_fusion_args_devicePfj15HIP_vector_typeIjLj3EEjjjS8_jjjS8_jjjj,"axG",@progbits,_ZL13mul_mat_vec_qIL9ggml_type10ELi3ELb0ELb0EEvPKvS2_PKi31ggml_cuda_mm_fusion_args_devicePfj15HIP_vector_typeIjLj3EEjjjS8_jjjS8_jjjj,comdat
	.globl	_ZL13mul_mat_vec_qIL9ggml_type10ELi3ELb0ELb0EEvPKvS2_PKi31ggml_cuda_mm_fusion_args_devicePfj15HIP_vector_typeIjLj3EEjjjS8_jjjS8_jjjj ; -- Begin function _ZL13mul_mat_vec_qIL9ggml_type10ELi3ELb0ELb0EEvPKvS2_PKi31ggml_cuda_mm_fusion_args_devicePfj15HIP_vector_typeIjLj3EEjjjS8_jjjS8_jjjj
	.p2align	8
	.type	_ZL13mul_mat_vec_qIL9ggml_type10ELi3ELb0ELb0EEvPKvS2_PKi31ggml_cuda_mm_fusion_args_devicePfj15HIP_vector_typeIjLj3EEjjjS8_jjjS8_jjjj,@function
_ZL13mul_mat_vec_qIL9ggml_type10ELi3ELb0ELb0EEvPKvS2_PKi31ggml_cuda_mm_fusion_args_devicePfj15HIP_vector_typeIjLj3EEjjjS8_jjjS8_jjjj: ; @_ZL13mul_mat_vec_qIL9ggml_type10ELi3ELb0ELb0EEvPKvS2_PKi31ggml_cuda_mm_fusion_args_devicePfj15HIP_vector_typeIjLj3EEjjjS8_jjjS8_jjjj
; %bb.0:
	v_bfe_u32 v33, v0, 10, 10
	v_and_b32_e32 v32, 0x3ff, v0
	v_lshl_add_u32 v4, v33, 6, v32
	s_load_dword s6, s[0:1], 0x40
	s_load_dwordx4 s[8:11], s[0:1], 0x50
	s_load_dword s25, s[0:1], 0x60
	s_load_dwordx4 s[12:15], s[0:1], 0x68
	;; [unrolled: 2-line block ×3, first 2 shown]
	s_lshl_b32 s5, s2, 1
	s_waitcnt lgkmcnt(0)
	s_lshr_b32 s2, s6, 8
	v_mov_b32_e32 v0, 0
	v_lshrrev_b32_e32 v34, 4, v4
	v_mov_b32_e32 v1, v0
	v_mov_b32_e32 v2, v0
	;; [unrolled: 1-line block ×3, first 2 shown]
	v_cmp_gt_u32_e32 vcc, s2, v34
	v_mov_b32_e32 v4, v0
	v_mov_b32_e32 v5, v0
	scratch_store_dwordx2 off, v[0:1], off offset:16
	scratch_store_dwordx4 off, v[0:3], off
	s_and_saveexec_b64 s[6:7], vcc
	s_cbranch_execz .LBB102_4
; %bb.1:
	s_load_dwordx4 s[20:23], s[0:1], 0x0
	s_mul_i32 s17, s4, s17
	s_mul_hi_u32 s19, s17, 36
	s_mul_i32 s17, s17, 36
	s_mul_i32 s13, s3, s13
	s_waitcnt lgkmcnt(0)
	s_add_u32 s17, s22, s17
	s_addc_u32 s19, s23, s19
	s_mul_hi_u32 s23, s13, 36
	s_mul_i32 s13, s13, 36
	s_add_u32 s22, s17, s13
	s_mul_hi_u32 s11, s11, s3
	s_addc_u32 s23, s19, s23
	s_add_i32 s11, s3, s11
	s_lshr_b32 s11, s11, s25
	s_mul_i32 s11, s11, s12
	s_mul_hi_u32 s12, s15, s4
	s_add_i32 s12, s4, s12
	v_lshrrev_b32_e32 v1, 1, v32
	s_lshr_b32 s12, s12, s24
	v_and_b32_e32 v0, 15, v32
	v_and_b32_e32 v1, 4, v1
	;; [unrolled: 1-line block ×3, first 2 shown]
	s_mul_i32 s15, s12, s16
	v_sub_u32_e32 v3, v0, v2
	v_bfe_u32 v4, v32, 2, 1
	v_mad_u64_u32 v[10:11], s[12:13], v1, 36, s[22:23]
	v_bfe_u32 v1, v32, 3, 1
	v_add_u32_e32 v8, v3, v4
	v_mul_hi_u32_u24_e32 v5, 0x90, v1
	v_mul_u32_u24_e32 v4, 0x90, v1
	s_movk_i32 s12, 0x120
	v_mad_u64_u32 v[4:5], s[12:13], v34, s12, v[4:5]
	s_add_i32 s12, s5, 1
	v_mov_b32_e32 v7, 0
	s_mul_i32 s16, s5, s8
	s_add_i32 s15, s15, s11
	s_mul_i32 s8, s8, s12
	v_lshlrev_b32_e32 v1, 3, v34
	v_ashrrev_i32_e32 v9, 31, v8
	s_add_i32 s11, s15, s16
	v_lshlrev_b32_e32 v6, 2, v2
	v_lshl_add_u64 v[12:13], s[22:23], 0, v[4:5]
	s_add_i32 s15, s15, s8
	v_lshl_add_u32 v35, s9, 1, v1
	v_add_u32_e32 v36, s9, v1
	s_mov_b64 s[8:9], 0
	s_movk_i32 s19, 0x54
	v_mov_b64_e32 v[14:15], s[20:21]
	v_lshlrev_b32_e32 v16, 2, v0
	s_mov_b32 s22, 0x1010101
	v_lshlrev_b32_e32 v18, 2, v2
	s_mov_b64 s[12:13], 0x48
	s_mov_b64 s[16:17], 0x6c
	;; [unrolled: 1-line block ×3, first 2 shown]
	v_mov_b32_e32 v17, v7
	v_mov_b32_e32 v19, v7
	;; [unrolled: 1-line block ×8, first 2 shown]
.LBB102_2:                              ; =>This Inner Loop Header: Depth=1
	v_lshl_add_u64 v[20:21], v[12:13], 0, v[6:7]
	global_load_dword v31, v[12:13], off
	global_load_dword v44, v[12:13], off offset:36
	global_load_dword v30, v[12:13], off offset:72
	;; [unrolled: 1-line block ×7, first 2 shown]
	v_add_u32_e32 v24, s11, v34
	v_add_u32_e32 v25, s15, v34
	v_mad_i64_i32 v[20:21], s[24:25], v24, s19, v[14:15]
	v_mad_i64_i32 v[24:25], s[24:25], v25, s19, v[14:15]
	v_lshl_add_u64 v[26:27], v[20:21], 0, v[16:17]
	v_lshl_add_u64 v[28:29], v[20:21], 0, v[8:9]
	;; [unrolled: 1-line block ×4, first 2 shown]
	global_load_dword v64, v[26:27], off offset:16
	global_load_ubyte v65, v[28:29], off
	global_load_dword v66, v[40:41], off offset:16
	global_load_ubyte v67, v[42:43], off
	global_load_ubyte v68, v[42:43], off offset:2
	global_load_ubyte v69, v[28:29], off offset:2
	;; [unrolled: 1-line block ×3, first 2 shown]
	global_load_dword v71, v[24:25], off offset:80
	global_load_ubyte v38, v[28:29], off offset:6
	global_load_dword v72, v[20:21], off offset:80
                                        ; kill: killed $vgpr24_vgpr25
                                        ; kill: killed $vgpr20_vgpr21
                                        ; kill: killed $vgpr40_vgpr41
                                        ; kill: killed $vgpr28_vgpr29
                                        ; kill: killed $vgpr26_vgpr27
	global_load_ubyte v73, v[42:43], off offset:4
	global_load_ubyte v39, v[42:43], off offset:6
	v_mov_b32_e32 v45, 0
	v_mov_b32_e32 v48, 0
	;; [unrolled: 1-line block ×8, first 2 shown]
	v_mad_u64_u32 v[22:23], s[24:25], v36, 36, v[10:11]
	v_mov_b32_e32 v53, 0
	v_mov_b32_e32 v55, 0
	;; [unrolled: 1-line block ×7, first 2 shown]
	v_add_u32_e32 v34, 8, v34
	v_cmp_le_u32_e32 vcc, s2, v34
	v_lshl_add_u64 v[12:13], v[12:13], 0, s[20:21]
	v_add_u32_e32 v36, 64, v36
	s_or_b64 s[8:9], vcc, s[8:9]
	s_waitcnt vmcnt(11)
	v_lshrrev_b32_e32 v28, 2, v64
	v_cvt_f32_f16_e32 v20, v31
	v_and_b32_e32 v31, 0x3030303, v64
	s_waitcnt vmcnt(10)
	v_lshrrev_b32_e32 v21, 4, v65
	s_waitcnt vmcnt(9)
	v_and_b32_e32 v74, 0x3030303, v66
	s_waitcnt vmcnt(8)
	v_lshrrev_b32_e32 v24, 4, v67
	v_and_b32_e32 v67, 15, v67
	v_and_b32_e32 v65, 15, v65
	v_dot4c_i32_i8_e32 v45, v31, v60
	v_mul_lo_u32 v75, v21, s22
	v_dot4c_i32_i8_e32 v48, v74, v60
	v_mul_lo_u32 v76, v24, s22
	v_dot4c_i32_i8_e32 v46, v75, v60
	v_dot4c_i32_i8_e32 v49, v76, v60
	v_mul_lo_u32 v21, v65, v45
	v_mul_lo_u32 v24, v67, v48
	v_cvt_f32_i32_e32 v25, v24
	v_cvt_f32_i32_e32 v24, v21
	;; [unrolled: 1-line block ×4, first 2 shown]
	v_lshrrev_b32_e32 v29, 2, v66
	v_and_b32_e32 v48, 0x3030303, v28
	v_and_b32_e32 v49, 0x3030303, v29
	v_pk_fma_f32 v[24:25], v[20:21], v[24:25], 0 op_sel_hi:[0,1,0]
	v_pk_fma_f32 v[20:21], v[20:21], v[26:27], 0 op_sel_hi:[0,1,0]
	s_waitcnt vmcnt(7)
	v_and_b32_e32 v45, 15, v68
	s_waitcnt vmcnt(6)
	v_and_b32_e32 v46, 15, v69
	v_lshrrev_b32_e32 v26, 4, v69
	v_lshrrev_b32_e32 v27, 4, v68
	v_dot4c_i32_i8_e32 v47, v48, v61
	v_dot4c_i32_i8_e32 v50, v49, v61
	v_mul_lo_u32 v60, v26, s22
	v_mul_lo_u32 v68, v27, s22
	;; [unrolled: 1-line block ×4, first 2 shown]
	v_dot4c_i32_i8_e32 v51, v60, v61
	v_dot4c_i32_i8_e32 v52, v68, v61
	v_cvt_f32_i32_e32 v29, v29
	v_cvt_f32_i32_e32 v28, v28
	v_cvt_f32_f16_e32 v40, v44
	v_cvt_f32_i32_e32 v27, v52
	v_cvt_f32_i32_e32 v26, v51
	v_mov_b32_e32 v44, 0
	v_pk_fma_f32 v[24:25], v[40:41], v[28:29], v[24:25] op_sel_hi:[0,1,1]
	v_lshl_add_u64 v[28:29], v[22:23], 0, v[18:19]
	v_pk_fma_f32 v[20:21], v[40:41], v[26:27], v[20:21] op_sel_hi:[0,1,1]
	global_load_dword v40, v[22:23], off
	global_load_dword v42, v[22:23], off offset:36
	v_lshl_add_u64 v[26:27], v[22:23], 0, 36
	global_load_dword v28, v[28:29], off offset:4
	v_lshl_add_u64 v[26:27], v[26:27], 0, v[18:19]
	global_load_dword v50, v[22:23], off offset:108
	global_load_dword v43, v[26:27], off offset:4
	;; [unrolled: 1-line block ×3, first 2 shown]
	v_mov_b32_e32 v61, 0
	v_cvt_f32_f16_e32 v30, v30
	v_mov_b32_e32 v69, 0
	s_waitcnt vmcnt(5)
	v_cvt_f32_f16_e32 v40, v40
	s_waitcnt vmcnt(3)
	v_dot4c_i32_i8_e32 v53, v31, v28
	v_dot4c_i32_i8_e32 v55, v74, v28
	;; [unrolled: 1-line block ×4, first 2 shown]
	v_mul_lo_u32 v26, v65, v53
	v_mul_lo_u32 v27, v67, v55
	v_cvt_f32_i32_e32 v27, v27
	v_cvt_f32_i32_e32 v26, v26
	;; [unrolled: 1-line block ×4, first 2 shown]
	s_waitcnt vmcnt(1)
	v_dot4c_i32_i8_e32 v57, v48, v43
	v_pk_fma_f32 v[26:27], v[40:41], v[26:27], 0 op_sel_hi:[0,1,0]
	v_dot4c_i32_i8_e32 v58, v49, v43
	v_pk_fma_f32 v[28:29], v[40:41], v[28:29], 0 op_sel_hi:[0,1,0]
	v_lshl_add_u64 v[40:41], v[22:23], 0, s[12:13]
	v_lshl_add_u64 v[22:23], v[22:23], 0, s[16:17]
	;; [unrolled: 1-line block ×4, first 2 shown]
	global_load_dword v51, v[40:41], off offset:4
	global_load_dword v52, v[22:23], off offset:4
	v_mul_lo_u32 v22, v46, v57
	v_mul_lo_u32 v23, v45, v58
	v_cvt_f32_i32_e32 v23, v23
	v_cvt_f32_i32_e32 v22, v22
	v_cvt_f32_f16_e32 v40, v42
	v_mov_b32_e32 v41, 0
	v_dot4c_i32_i8_e32 v59, v60, v43
	v_mov_b32_e32 v57, 0
	v_pk_fma_f32 v[22:23], v[40:41], v[22:23], v[26:27] op_sel_hi:[0,1,1]
	v_dot4c_i32_i8_e32 v41, v68, v43
	v_cvt_f32_i32_e32 v42, v59
	v_mad_u64_u32 v[26:27], s[24:25], v35, 36, v[10:11]
	s_nop 0
	v_cvt_f32_i32_e32 v43, v41
	v_mov_b32_e32 v56, 0
	v_mov_b32_e32 v58, 0
	v_add_u32_e32 v35, 64, v35
	v_pk_fma_f32 v[40:41], v[40:41], v[42:43], v[28:29] op_sel_hi:[0,1,1]
	v_lshl_add_u64 v[28:29], v[26:27], 0, v[18:19]
	v_lshl_add_u64 v[42:43], v[26:27], 0, 36
	global_load_dword v53, v[28:29], off offset:4
	v_lshl_add_u64 v[28:29], v[42:43], 0, v[18:19]
	global_load_dword v42, v[28:29], off offset:4
	v_lshl_add_u64 v[28:29], v[26:27], 0, s[12:13]
	v_lshl_add_u64 v[28:29], v[28:29], 0, v[18:19]
	global_load_dword v54, v[28:29], off offset:4
	global_load_dword v55, v[26:27], off offset:108
	v_lshl_add_u64 v[28:29], v[26:27], 0, s[16:17]
	v_mov_b32_e32 v43, 0
	v_lshl_add_u64 v[28:29], v[28:29], 0, v[18:19]
	s_waitcnt vmcnt(3)
	v_dot4c_i32_i8_e32 v44, v31, v53
	v_mov_b32_e32 v31, 0
	s_waitcnt vmcnt(2)
	v_dot4c_i32_i8_e32 v57, v48, v42
	v_mov_b32_e32 v48, 0
	v_dot4c_i32_i8_e32 v48, v49, v42
	v_mov_b32_e32 v49, 0
	v_dot4c_i32_i8_e32 v31, v74, v53
	v_dot4c_i32_i8_e32 v43, v75, v53
	;; [unrolled: 1-line block ×3, first 2 shown]
	global_load_dword v53, v[28:29], off offset:4
	v_dot4c_i32_i8_e32 v49, v60, v42
	v_dot4c_i32_i8_e32 v58, v68, v42
	global_load_dword v42, v[26:27], off
	global_load_dword v59, v[26:27], off offset:36
	global_load_dword v60, v[26:27], off offset:72
	v_mul_lo_u32 v26, v65, v44
	v_mul_lo_u32 v27, v67, v31
	v_cvt_f32_i32_e32 v27, v27
	v_cvt_f32_i32_e32 v26, v26
	;; [unrolled: 1-line block ×4, first 2 shown]
	v_mov_b32_e32 v65, 0
	v_mov_b32_e32 v31, 0
	;; [unrolled: 1-line block ×6, first 2 shown]
	s_waitcnt vmcnt(2)
	v_cvt_f32_f16_e32 v42, v42
	s_waitcnt vmcnt(1)
	v_cvt_f32_f16_e32 v44, v59
	v_mov_b32_e32 v59, 0
	v_pk_fma_f32 v[26:27], v[42:43], v[26:27], 0 op_sel_hi:[0,1,0]
	v_pk_fma_f32 v[28:29], v[42:43], v[28:29], 0 op_sel_hi:[0,1,0]
	v_mul_lo_u32 v42, v46, v57
	v_mul_lo_u32 v43, v45, v48
	v_cvt_f32_i32_e32 v43, v43
	v_cvt_f32_i32_e32 v42, v42
	v_lshrrev_b32_e32 v48, 4, v64
	v_and_b32_e32 v57, 15, v73
	v_mov_b32_e32 v46, 0
	v_pk_fma_f32 v[26:27], v[44:45], v[42:43], v[26:27] op_sel_hi:[0,1,1]
	v_cvt_f32_i32_e32 v43, v58
	v_cvt_f32_i32_e32 v42, v49
	v_mov_b32_e32 v45, 0
	v_and_b32_e32 v49, 15, v70
	v_mov_b32_e32 v58, 0
	v_pk_fma_f32 v[28:29], v[44:45], v[42:43], v[28:29] op_sel_hi:[0,1,1]
	v_lshrrev_b32_e32 v42, 4, v66
	v_and_b32_e32 v44, 0x3030303, v48
	v_and_b32_e32 v48, 0x3030303, v42
	v_dot4c_i32_i8_e32 v61, v44, v62
	v_dot4c_i32_i8_e32 v65, v48, v62
	;; [unrolled: 1-line block ×4, first 2 shown]
	v_mul_lo_u32 v42, v49, v61
	v_mul_lo_u32 v43, v57, v65
	v_cvt_f32_i32_e32 v43, v43
	v_cvt_f32_i32_e32 v42, v42
	v_dot4c_i32_i8_e32 v67, v48, v54
	v_cvt_f32_f16_e32 v48, v50
	v_cvt_f32_f16_e32 v50, v55
	v_pk_fma_f32 v[24:25], v[30:31], v[42:43], v[24:25] op_sel_hi:[0,1,1]
	v_lshrrev_b32_e32 v42, 4, v70
	v_lshrrev_b32_e32 v43, 4, v73
	v_mul_lo_u32 v61, v42, s22
	v_mul_lo_u32 v65, v43, s22
	v_dot4c_i32_i8_e32 v31, v61, v62
	v_dot4c_i32_i8_e32 v56, v65, v62
	;; [unrolled: 1-line block ×4, first 2 shown]
	v_cvt_f32_i32_e32 v42, v31
	v_cvt_f32_i32_e32 v43, v56
	v_mov_b32_e32 v62, 0
	v_dot4c_i32_i8_e32 v62, v44, v54
	v_lshrrev_b32_e32 v44, 4, v38
	v_pk_fma_f32 v[30:31], v[30:31], v[42:43], v[20:21] op_sel_hi:[0,1,1]
	v_mul_lo_u32 v20, v49, v46
	v_mul_lo_u32 v21, v57, v45
	v_cvt_f32_i32_e32 v21, v21
	v_cvt_f32_i32_e32 v20, v20
	v_cvt_f32_f16_e32 v42, v47
	v_mov_b32_e32 v43, 0
	v_lshrrev_b32_e32 v45, 4, v39
	v_mov_b32_e32 v56, 0
	v_pk_fma_f32 v[20:21], v[42:43], v[20:21], v[22:23] op_sel_hi:[0,1,1]
	v_cvt_f32_i32_e32 v23, v59
	v_cvt_f32_i32_e32 v22, v58
	v_mov_b32_e32 v51, 0
	v_mul_lo_u32 v44, v44, s22
	v_mul_lo_u32 v45, v45, s22
	v_pk_fma_f32 v[22:23], v[42:43], v[22:23], v[40:41] op_sel_hi:[0,1,1]
	v_lshrrev_b32_e32 v40, 6, v64
	v_lshrrev_b32_e32 v42, 6, v66
	v_mov_b32_e32 v41, 0
	v_and_b32_e32 v40, 0x3030303, v40
	v_and_b32_e32 v42, 0x3030303, v42
	v_mov_b32_e32 v58, 0
	v_mov_b32_e32 v59, 0
	;; [unrolled: 1-line block ×4, first 2 shown]
	v_dot4c_i32_i8_e32 v68, v61, v54
	v_mov_b32_e32 v61, 0
	v_dot4c_i32_i8_e32 v69, v65, v54
	v_dot4c_i32_i8_e32 v56, v40, v63
	;; [unrolled: 1-line block ×5, first 2 shown]
	v_mov_b32_e32 v63, 0
	v_mov_b32_e32 v64, 0
	v_dot4c_i32_i8_e32 v58, v40, v52
	v_dot4c_i32_i8_e32 v59, v42, v52
	;; [unrolled: 1-line block ×5, first 2 shown]
	v_cvt_f32_f16_e32 v40, v37
	v_dot4c_i32_i8_e32 v61, v42, v53
	s_waitcnt vmcnt(0)
	v_cvt_f32_f16_e32 v42, v60
	v_dot4c_i32_i8_e32 v63, v44, v53
	v_dot4c_i32_i8_e32 v64, v45, v53
	v_mul_lo_u32 v37, v49, v62
	v_and_b32_e32 v49, 15, v38
	v_and_b32_e32 v60, 15, v39
	v_mul_lo_u32 v62, v57, v67
	v_cvt_f32_i32_e32 v39, v69
	v_cvt_f32_i32_e32 v38, v68
	v_cvt_f32_i32_e32 v53, v41
	v_cvt_f32_i32_e32 v52, v51
	v_cvt_f32_i32_e32 v55, v73
	v_cvt_f32_i32_e32 v54, v70
	v_mul_lo_u32 v41, v49, v56
	v_mul_lo_u32 v51, v49, v58
	;; [unrolled: 1-line block ×6, first 2 shown]
	v_cvt_f32_i32_e32 v57, v64
	v_cvt_f32_i32_e32 v56, v63
	;; [unrolled: 1-line block ×4, first 2 shown]
	v_cvt_f32_f16_sdwa v47, v71 dst_sel:DWORD dst_unused:UNUSED_PAD src0_sel:WORD_1
	v_cvt_f32_f16_sdwa v46, v72 dst_sel:DWORD dst_unused:UNUSED_PAD src0_sel:WORD_1
	v_cvt_f32_i32_e32 v61, v43
	v_cvt_f32_i32_e32 v60, v41
	;; [unrolled: 1-line block ×6, first 2 shown]
	v_cvt_f32_f16_e32 v45, v71
	v_cvt_f32_f16_e32 v44, v72
	v_pk_fma_f32 v[28:29], v[42:43], v[38:39], v[28:29] op_sel_hi:[0,1,1]
	v_pk_fma_f32 v[26:27], v[42:43], v[58:59], v[26:27] op_sel_hi:[0,1,1]
	;; [unrolled: 1-line block ×8, first 2 shown]
	v_pk_mul_f32 v[30:31], v[30:31], v[46:47]
	v_pk_mul_f32 v[22:23], v[22:23], v[46:47]
	;; [unrolled: 1-line block ×3, first 2 shown]
	v_pk_fma_f32 v[24:25], v[24:25], v[44:45], v[30:31] neg_lo:[0,0,1] neg_hi:[0,0,1]
	v_pk_fma_f32 v[20:21], v[20:21], v[44:45], v[22:23] neg_lo:[0,0,1] neg_hi:[0,0,1]
	;; [unrolled: 1-line block ×3, first 2 shown]
	v_pk_add_f32 v[2:3], v[2:3], v[24:25]
	v_pk_add_f32 v[4:5], v[4:5], v[20:21]
	;; [unrolled: 1-line block ×3, first 2 shown]
	s_andn2_b64 exec, exec, s[8:9]
	s_cbranch_execnz .LBB102_2
; %bb.3:
	s_or_b64 exec, exec, s[8:9]
	scratch_store_dwordx4 off, v[2:5], off
	scratch_store_dwordx2 off, v[0:1], off offset:16
.LBB102_4:
	s_or_b64 exec, exec, s[6:7]
	v_cmp_eq_u32_e32 vcc, 0, v33
	v_cmp_ne_u32_e64 s[6:7], 0, v33
	v_lshlrev_b32_e32 v6, 2, v32
	s_and_saveexec_b64 s[8:9], s[6:7]
	s_cbranch_execz .LBB102_6
; %bb.5:
	v_mul_u32_u24_e32 v7, 0x600, v33
	s_movk_i32 s2, 0xfa00
	v_add3_u32 v7, v7, v6, s2
	ds_write2st64_b32 v7, v2, v3 offset1:1
	ds_write2st64_b32 v7, v4, v5 offset0:2 offset1:3
	ds_write2st64_b32 v7, v0, v1 offset0:4 offset1:5
.LBB102_6:
	s_or_b64 exec, exec, s[8:9]
	s_waitcnt lgkmcnt(0)
	s_barrier
	s_and_saveexec_b64 s[6:7], vcc
	s_cbranch_execz .LBB102_13
; %bb.7:
	scratch_load_dwordx2 v[2:3], off, off
	v_mbcnt_lo_u32_b32 v0, -1, 0
	ds_read2st64_b32 v[4:5], v6 offset1:1
	v_mbcnt_hi_u32_b32 v7, -1, v0
	v_and_b32_e32 v0, 64, v7
	v_xor_b32_e32 v1, 32, v7
	v_add_u32_e32 v12, 64, v0
	v_cmp_lt_i32_e32 vcc, v1, v12
	v_xor_b32_e32 v8, 16, v7
	v_xor_b32_e32 v10, 8, v7
	v_cndmask_b32_e32 v0, v7, v1, vcc
	v_lshlrev_b32_e32 v0, 2, v0
	v_cmp_lt_i32_e32 vcc, v8, v12
	v_xor_b32_e32 v11, 4, v7
	v_xor_b32_e32 v13, 2, v7
	v_cndmask_b32_e32 v1, v7, v8, vcc
	v_lshlrev_b32_e32 v1, 2, v1
	v_cmp_lt_i32_e32 vcc, v10, v12
	v_xor_b32_e32 v14, 1, v7
	s_load_dwordx2 s[0:1], s[0:1], 0x38
	s_mul_i32 s2, s3, s14
	s_mul_i32 s4, s4, s18
	s_add_i32 s2, s2, s5
	s_mov_b32 s3, 0
	s_add_i32 s2, s2, s4
	s_lshl_b64 s[2:3], s[2:3], 2
	s_waitcnt lgkmcnt(0)
	s_add_u32 s2, s0, s2
	s_addc_u32 s3, s1, s3
	s_waitcnt vmcnt(0)
	v_pk_add_f32 v[2:3], v[4:5], v[2:3]
	ds_bpermute_b32 v4, v0, v2
	ds_bpermute_b32 v5, v0, v3
	s_waitcnt lgkmcnt(0)
	v_pk_add_f32 v[4:5], v[2:3], v[4:5]
	ds_bpermute_b32 v8, v1, v4
	ds_bpermute_b32 v9, v1, v5
	v_cndmask_b32_e32 v2, v7, v10, vcc
	v_lshlrev_b32_e32 v2, 2, v2
	v_cmp_lt_i32_e32 vcc, v11, v12
	s_waitcnt lgkmcnt(0)
	v_pk_add_f32 v[4:5], v[4:5], v[8:9]
	ds_bpermute_b32 v8, v2, v4
	ds_bpermute_b32 v9, v2, v5
	v_cndmask_b32_e32 v3, v7, v11, vcc
	v_lshlrev_b32_e32 v3, 2, v3
	v_cmp_lt_i32_e32 vcc, v13, v12
	;; [unrolled: 7-line block ×3, first 2 shown]
	s_waitcnt lgkmcnt(0)
	v_pk_add_f32 v[8:9], v[8:9], v[10:11]
	ds_bpermute_b32 v10, v4, v8
	ds_bpermute_b32 v11, v4, v9
	v_cndmask_b32_e32 v5, v7, v14, vcc
	v_lshlrev_b32_e32 v5, 2, v5
	v_or_b32_e32 v7, s5, v32
	v_cmp_gt_u32_e32 vcc, 2, v32
	s_waitcnt lgkmcnt(0)
	v_pk_add_f32 v[8:9], v[8:9], v[10:11]
	ds_bpermute_b32 v10, v5, v8
	ds_bpermute_b32 v11, v5, v9
	v_cmp_gt_u32_e64 s[0:1], s10, v7
	s_and_b64 s[0:1], vcc, s[0:1]
	s_waitcnt lgkmcnt(0)
	v_pk_add_f32 v[8:9], v[8:9], v[10:11]
	scratch_store_dwordx2 off, v[8:9], off
	s_and_saveexec_b64 s[4:5], s[0:1]
	s_cbranch_execz .LBB102_9
; %bb.8:
	scratch_load_dword v7, v6, off
	s_waitcnt vmcnt(0)
	global_store_dword v6, v7, s[2:3]
.LBB102_9:
	s_or_b64 exec, exec, s[4:5]
	scratch_load_dwordx2 v[8:9], off, off offset:8
	ds_read2st64_b32 v[10:11], v6 offset0:2 offset1:3
	s_waitcnt vmcnt(0) lgkmcnt(0)
	v_pk_add_f32 v[8:9], v[10:11], v[8:9]
	ds_bpermute_b32 v10, v0, v8
	ds_bpermute_b32 v11, v0, v9
	s_waitcnt lgkmcnt(0)
	v_pk_add_f32 v[8:9], v[8:9], v[10:11]
	ds_bpermute_b32 v10, v1, v8
	ds_bpermute_b32 v11, v1, v9
	s_waitcnt lgkmcnt(0)
	;; [unrolled: 4-line block ×6, first 2 shown]
	v_pk_add_f32 v[8:9], v[8:9], v[10:11]
	scratch_store_dwordx2 off, v[8:9], off offset:8
	s_and_saveexec_b64 s[4:5], s[0:1]
	s_cbranch_execz .LBB102_11
; %bb.10:
	scratch_load_dword v7, v6, off offset:8
	v_add_u32_e32 v8, s10, v32
	v_mov_b32_e32 v9, 0
	v_lshl_add_u64 v[8:9], v[8:9], 2, s[2:3]
	s_waitcnt vmcnt(0)
	global_store_dword v[8:9], v7, off
.LBB102_11:
	s_or_b64 exec, exec, s[4:5]
	scratch_load_dwordx2 v[8:9], off, off offset:16
	ds_read2st64_b32 v[10:11], v6 offset0:4 offset1:5
	s_waitcnt vmcnt(0) lgkmcnt(0)
	v_pk_add_f32 v[8:9], v[10:11], v[8:9]
	ds_bpermute_b32 v10, v0, v8
	ds_bpermute_b32 v11, v0, v9
	s_waitcnt lgkmcnt(0)
	v_pk_add_f32 v[8:9], v[8:9], v[10:11]
	ds_bpermute_b32 v0, v1, v8
	ds_bpermute_b32 v1, v1, v9
	s_waitcnt lgkmcnt(0)
	;; [unrolled: 4-line block ×6, first 2 shown]
	v_pk_add_f32 v[0:1], v[0:1], v[2:3]
	scratch_store_dwordx2 off, v[0:1], off offset:16
	s_and_b64 exec, exec, s[0:1]
	s_cbranch_execz .LBB102_13
; %bb.12:
	scratch_load_dword v2, v6, off offset:16
	v_lshl_or_b32 v0, s10, 1, v32
	v_mov_b32_e32 v1, 0
	v_lshl_add_u64 v[0:1], v[0:1], 2, s[2:3]
	s_waitcnt vmcnt(0)
	global_store_dword v[0:1], v2, off
.LBB102_13:
	s_endpgm
	.section	.rodata,"a",@progbits
	.p2align	6, 0x0
	.amdhsa_kernel _ZL13mul_mat_vec_qIL9ggml_type10ELi3ELb0ELb0EEvPKvS2_PKi31ggml_cuda_mm_fusion_args_devicePfj15HIP_vector_typeIjLj3EEjjjS8_jjjS8_jjjj
		.amdhsa_group_segment_fixed_size 1536
		.amdhsa_private_segment_fixed_size 32
		.amdhsa_kernarg_size 144
		.amdhsa_user_sgpr_count 2
		.amdhsa_user_sgpr_dispatch_ptr 0
		.amdhsa_user_sgpr_queue_ptr 0
		.amdhsa_user_sgpr_kernarg_segment_ptr 1
		.amdhsa_user_sgpr_dispatch_id 0
		.amdhsa_user_sgpr_kernarg_preload_length 0
		.amdhsa_user_sgpr_kernarg_preload_offset 0
		.amdhsa_user_sgpr_private_segment_size 0
		.amdhsa_uses_dynamic_stack 0
		.amdhsa_enable_private_segment 1
		.amdhsa_system_sgpr_workgroup_id_x 1
		.amdhsa_system_sgpr_workgroup_id_y 1
		.amdhsa_system_sgpr_workgroup_id_z 1
		.amdhsa_system_sgpr_workgroup_info 0
		.amdhsa_system_vgpr_workitem_id 1
		.amdhsa_next_free_vgpr 77
		.amdhsa_next_free_sgpr 26
		.amdhsa_accum_offset 80
		.amdhsa_reserve_vcc 1
		.amdhsa_float_round_mode_32 0
		.amdhsa_float_round_mode_16_64 0
		.amdhsa_float_denorm_mode_32 3
		.amdhsa_float_denorm_mode_16_64 3
		.amdhsa_dx10_clamp 1
		.amdhsa_ieee_mode 1
		.amdhsa_fp16_overflow 0
		.amdhsa_tg_split 0
		.amdhsa_exception_fp_ieee_invalid_op 0
		.amdhsa_exception_fp_denorm_src 0
		.amdhsa_exception_fp_ieee_div_zero 0
		.amdhsa_exception_fp_ieee_overflow 0
		.amdhsa_exception_fp_ieee_underflow 0
		.amdhsa_exception_fp_ieee_inexact 0
		.amdhsa_exception_int_div_zero 0
	.end_amdhsa_kernel
	.section	.text._ZL13mul_mat_vec_qIL9ggml_type10ELi3ELb0ELb0EEvPKvS2_PKi31ggml_cuda_mm_fusion_args_devicePfj15HIP_vector_typeIjLj3EEjjjS8_jjjS8_jjjj,"axG",@progbits,_ZL13mul_mat_vec_qIL9ggml_type10ELi3ELb0ELb0EEvPKvS2_PKi31ggml_cuda_mm_fusion_args_devicePfj15HIP_vector_typeIjLj3EEjjjS8_jjjS8_jjjj,comdat
.Lfunc_end102:
	.size	_ZL13mul_mat_vec_qIL9ggml_type10ELi3ELb0ELb0EEvPKvS2_PKi31ggml_cuda_mm_fusion_args_devicePfj15HIP_vector_typeIjLj3EEjjjS8_jjjS8_jjjj, .Lfunc_end102-_ZL13mul_mat_vec_qIL9ggml_type10ELi3ELb0ELb0EEvPKvS2_PKi31ggml_cuda_mm_fusion_args_devicePfj15HIP_vector_typeIjLj3EEjjjS8_jjjS8_jjjj
                                        ; -- End function
	.section	.AMDGPU.csdata,"",@progbits
; Kernel info:
; codeLenInByte = 3380
; NumSgprs: 32
; NumVgprs: 77
; NumAgprs: 0
; TotalNumVgprs: 77
; ScratchSize: 32
; MemoryBound: 0
; FloatMode: 240
; IeeeMode: 1
; LDSByteSize: 1536 bytes/workgroup (compile time only)
; SGPRBlocks: 3
; VGPRBlocks: 9
; NumSGPRsForWavesPerEU: 32
; NumVGPRsForWavesPerEU: 77
; AccumOffset: 80
; Occupancy: 6
; WaveLimiterHint : 0
; COMPUTE_PGM_RSRC2:SCRATCH_EN: 1
; COMPUTE_PGM_RSRC2:USER_SGPR: 2
; COMPUTE_PGM_RSRC2:TRAP_HANDLER: 0
; COMPUTE_PGM_RSRC2:TGID_X_EN: 1
; COMPUTE_PGM_RSRC2:TGID_Y_EN: 1
; COMPUTE_PGM_RSRC2:TGID_Z_EN: 1
; COMPUTE_PGM_RSRC2:TIDIG_COMP_CNT: 1
; COMPUTE_PGM_RSRC3_GFX90A:ACCUM_OFFSET: 19
; COMPUTE_PGM_RSRC3_GFX90A:TG_SPLIT: 0
	.section	.text._ZL13mul_mat_vec_qIL9ggml_type10ELi4ELb0ELb0EEvPKvS2_PKi31ggml_cuda_mm_fusion_args_devicePfj15HIP_vector_typeIjLj3EEjjjS8_jjjS8_jjjj,"axG",@progbits,_ZL13mul_mat_vec_qIL9ggml_type10ELi4ELb0ELb0EEvPKvS2_PKi31ggml_cuda_mm_fusion_args_devicePfj15HIP_vector_typeIjLj3EEjjjS8_jjjS8_jjjj,comdat
	.globl	_ZL13mul_mat_vec_qIL9ggml_type10ELi4ELb0ELb0EEvPKvS2_PKi31ggml_cuda_mm_fusion_args_devicePfj15HIP_vector_typeIjLj3EEjjjS8_jjjS8_jjjj ; -- Begin function _ZL13mul_mat_vec_qIL9ggml_type10ELi4ELb0ELb0EEvPKvS2_PKi31ggml_cuda_mm_fusion_args_devicePfj15HIP_vector_typeIjLj3EEjjjS8_jjjS8_jjjj
	.p2align	8
	.type	_ZL13mul_mat_vec_qIL9ggml_type10ELi4ELb0ELb0EEvPKvS2_PKi31ggml_cuda_mm_fusion_args_devicePfj15HIP_vector_typeIjLj3EEjjjS8_jjjS8_jjjj,@function
_ZL13mul_mat_vec_qIL9ggml_type10ELi4ELb0ELb0EEvPKvS2_PKi31ggml_cuda_mm_fusion_args_devicePfj15HIP_vector_typeIjLj3EEjjjS8_jjjS8_jjjj: ; @_ZL13mul_mat_vec_qIL9ggml_type10ELi4ELb0ELb0EEvPKvS2_PKi31ggml_cuda_mm_fusion_args_devicePfj15HIP_vector_typeIjLj3EEjjjS8_jjjS8_jjjj
; %bb.0:
	s_mov_b32 s20, 0
	s_mov_b32 s21, s20
	v_bfe_u32 v9, v0, 10, 10
	v_and_b32_e32 v8, 0x3ff, v0
	s_mov_b32 s22, s20
	s_mov_b32 s23, s20
	v_mov_b64_e32 v[0:1], s[20:21]
	v_lshl_add_u32 v4, v9, 6, v8
	v_mov_b64_e32 v[2:3], s[22:23]
	s_load_dword s6, s[0:1], 0x40
	s_load_dwordx4 s[8:11], s[0:1], 0x50
	s_load_dword s25, s[0:1], 0x60
	s_load_dwordx4 s[12:15], s[0:1], 0x68
	;; [unrolled: 2-line block ×3, first 2 shown]
	s_lshl_b32 s5, s2, 1
	s_waitcnt lgkmcnt(0)
	s_lshr_b32 s2, s6, 8
	scratch_store_dwordx4 off, v[0:3], off offset:16
	scratch_store_dwordx4 off, v[0:3], off
	v_lshrrev_b32_e32 v66, 4, v4
	v_cmp_gt_u32_e32 vcc, s2, v66
	v_mov_b32_e32 v3, 0
	v_mov_b32_e32 v4, 0
	;; [unrolled: 1-line block ×8, first 2 shown]
	s_and_saveexec_b64 s[6:7], vcc
	s_cbranch_execz .LBB103_4
; %bb.1:
	s_load_dwordx4 s[20:23], s[0:1], 0x0
	s_mul_i32 s17, s4, s17
	s_mul_hi_u32 s19, s17, 36
	s_mul_i32 s17, s17, 36
	s_mul_i32 s13, s3, s13
	s_waitcnt lgkmcnt(0)
	s_add_u32 s17, s22, s17
	s_addc_u32 s19, s23, s19
	s_mul_hi_u32 s23, s13, 36
	s_mul_i32 s13, s13, 36
	s_add_u32 s22, s17, s13
	s_mul_hi_u32 s11, s11, s3
	s_addc_u32 s23, s19, s23
	s_add_i32 s11, s3, s11
	s_lshr_b32 s11, s11, s25
	s_mul_i32 s11, s11, s12
	s_mul_hi_u32 s12, s15, s4
	s_add_i32 s12, s4, s12
	v_lshrrev_b32_e32 v1, 1, v8
	s_lshr_b32 s12, s12, s24
	v_and_b32_e32 v0, 15, v8
	v_and_b32_e32 v1, 4, v1
	;; [unrolled: 1-line block ×3, first 2 shown]
	s_mul_i32 s15, s12, s16
	v_sub_u32_e32 v3, v0, v2
	v_bfe_u32 v4, v8, 2, 1
	v_mad_u64_u32 v[14:15], s[12:13], v1, 36, s[22:23]
	v_bfe_u32 v1, v8, 3, 1
	v_add_u32_e32 v12, v3, v4
	v_mul_hi_u32_u24_e32 v5, 0x90, v1
	v_mul_u32_u24_e32 v4, 0x90, v1
	s_movk_i32 s12, 0x120
	v_mad_u64_u32 v[4:5], s[12:13], v66, s12, v[4:5]
	v_lshl_add_u64 v[16:17], s[22:23], 0, v[4:5]
	s_add_i32 s12, s5, 1
	v_lshlrev_b32_e32 v4, 3, v66
	v_mov_b32_e32 v11, 0
	s_mul_i32 s16, s5, s8
	s_add_i32 s15, s15, s11
	s_mul_i32 s8, s8, s12
	v_mad_u64_u32 v[18:19], s[12:13], s9, 3, v[4:5]
	v_ashrrev_i32_e32 v13, 31, v12
	s_add_i32 s11, s15, s16
	v_lshlrev_b32_e32 v10, 2, v2
	s_add_i32 s15, s15, s8
	v_lshl_add_u32 v67, s9, 1, v4
	v_add_u32_e32 v19, s9, v4
	s_mov_b64 s[8:9], 0
	s_movk_i32 s19, 0x54
	v_mov_b64_e32 v[20:21], s[20:21]
	v_lshlrev_b32_e32 v22, 2, v0
	s_mov_b32 s22, 0x1010101
	v_lshlrev_b32_e32 v24, 2, v2
	s_mov_b64 s[12:13], 0x48
	s_mov_b64 s[16:17], 0x6c
	;; [unrolled: 1-line block ×3, first 2 shown]
	v_mov_b32_e32 v23, v11
	v_mov_b32_e32 v25, v11
	;; [unrolled: 1-line block ×10, first 2 shown]
.LBB103_2:                              ; =>This Inner Loop Header: Depth=1
	v_add_u32_e32 v26, s11, v66
	v_add_u32_e32 v28, s15, v66
	v_mad_i64_i32 v[26:27], s[24:25], v26, s19, v[20:21]
	v_lshl_add_u64 v[30:31], v[16:17], 0, v[10:11]
	v_mad_i64_i32 v[28:29], s[24:25], v28, s19, v[20:21]
	v_lshl_add_u64 v[32:33], v[26:27], 0, v[22:23]
	global_load_dword v40, v[16:17], off
	global_load_dword v46, v[16:17], off offset:36
	global_load_dword v52, v[30:31], off offset:4
	;; [unrolled: 1-line block ×3, first 2 shown]
	v_lshl_add_u64 v[34:35], v[26:27], 0, v[12:13]
	v_lshl_add_u64 v[38:39], v[28:29], 0, v[22:23]
	v_lshl_add_u64 v[36:37], v[28:29], 0, v[12:13]
	global_load_dword v68, v[32:33], off offset:16
	global_load_ubyte v51, v[34:35], off
	global_load_dword v69, v[38:39], off offset:16
	global_load_ubyte v50, v[36:37], off
	global_load_ubyte v53, v[34:35], off offset:2
	global_load_ubyte v57, v[36:37], off offset:2
	v_mov_b32_e32 v41, 0
	v_mov_b32_e32 v43, 0
	;; [unrolled: 1-line block ×10, first 2 shown]
	v_add_u32_e32 v66, 8, v66
	v_cmp_le_u32_e32 vcc, s2, v66
	s_or_b64 s[8:9], vcc, s[8:9]
	s_waitcnt vmcnt(9)
	v_cvt_f32_f16_e32 v32, v40
	s_waitcnt vmcnt(5)
	v_and_b32_e32 v54, 0x3030303, v68
	s_waitcnt vmcnt(4)
	v_lshrrev_b32_e32 v33, 4, v51
	s_waitcnt vmcnt(3)
	v_and_b32_e32 v55, 0x3030303, v69
	s_waitcnt vmcnt(2)
	v_lshrrev_b32_e32 v38, 4, v50
	v_and_b32_e32 v50, 15, v50
	v_and_b32_e32 v51, 15, v51
	v_dot4c_i32_i8_e32 v41, v54, v52
	v_mul_lo_u32 v60, v33, s22
	v_dot4c_i32_i8_e32 v43, v55, v52
	v_mul_lo_u32 v61, v38, s22
	v_dot4c_i32_i8_e32 v42, v60, v52
	v_dot4c_i32_i8_e32 v45, v61, v52
	v_mul_lo_u32 v33, v51, v41
	v_mul_lo_u32 v38, v50, v43
	v_cvt_f32_i32_e32 v39, v38
	v_cvt_f32_i32_e32 v38, v33
	;; [unrolled: 1-line block ×4, first 2 shown]
	v_lshrrev_b32_e32 v58, 2, v68
	v_lshrrev_b32_e32 v33, 2, v69
	v_and_b32_e32 v65, 0x3030303, v58
	v_and_b32_e32 v64, 0x3030303, v33
	v_pk_fma_f32 v[38:39], v[32:33], v[38:39], 0 op_sel_hi:[0,1,0]
	v_pk_fma_f32 v[42:43], v[32:33], v[40:41], 0 op_sel_hi:[0,1,0]
	s_waitcnt vmcnt(1)
	v_lshrrev_b32_e32 v32, 4, v53
	s_waitcnt vmcnt(0)
	v_and_b32_e32 v52, 15, v57
	v_and_b32_e32 v53, 15, v53
	v_dot4c_i32_i8_e32 v44, v65, v56
	v_dot4c_i32_i8_e32 v47, v64, v56
	v_mul_lo_u32 v63, v32, s22
	v_cvt_f32_f16_e32 v46, v46
	v_mul_lo_u32 v32, v53, v44
	v_mul_lo_u32 v33, v52, v47
	v_cvt_f32_i32_e32 v33, v33
	v_cvt_f32_i32_e32 v32, v32
	v_lshrrev_b32_e32 v40, 4, v57
	v_mul_lo_u32 v62, v40, s22
	v_dot4c_i32_i8_e32 v48, v63, v56
	v_pk_fma_f32 v[40:41], v[46:47], v[32:33], v[38:39] op_sel_hi:[0,1,1]
	v_mad_u64_u32 v[32:33], s[24:25], v19, 36, v[14:15]
	v_lshl_add_u64 v[38:39], v[32:33], 0, v[24:25]
	global_load_dword v38, v[38:39], off offset:4
	v_dot4c_i32_i8_e32 v49, v62, v56
	v_cvt_f32_i32_e32 v44, v48
	v_mov_b32_e32 v39, 0
	v_mov_b32_e32 v56, 0
	v_cvt_f32_i32_e32 v45, v49
	v_mov_b32_e32 v58, 0
	v_mov_b32_e32 v57, 0
	v_add_u32_e32 v19, 64, v19
	v_pk_fma_f32 v[44:45], v[46:47], v[44:45], v[42:43] op_sel_hi:[0,1,1]
	v_mov_b32_e32 v42, 0
	v_mov_b32_e32 v46, 0
	v_mov_b32_e32 v43, 0
	global_load_dword v48, v[32:33], off offset:36
	s_waitcnt vmcnt(1)
	v_dot4c_i32_i8_e32 v42, v54, v38
	v_dot4c_i32_i8_e32 v46, v60, v38
	;; [unrolled: 1-line block ×4, first 2 shown]
	v_mul_lo_u32 v38, v51, v42
	v_cvt_f32_i32_e32 v42, v46
	global_load_dword v46, v[32:33], off
	v_mul_lo_u32 v39, v50, v39
	v_cvt_f32_i32_e32 v39, v39
	v_cvt_f32_i32_e32 v38, v38
	;; [unrolled: 1-line block ×3, first 2 shown]
	s_waitcnt vmcnt(1)
	v_cvt_f32_f16_e32 v48, v48
	s_waitcnt vmcnt(0)
	v_cvt_f32_f16_e32 v46, v46
	v_pk_fma_f32 v[38:39], v[46:47], v[38:39], 0 op_sel_hi:[0,1,0]
	v_pk_fma_f32 v[42:43], v[46:47], v[42:43], 0 op_sel_hi:[0,1,0]
	v_lshl_add_u64 v[46:47], v[32:33], 0, 36
	v_lshl_add_u64 v[46:47], v[46:47], 0, v[24:25]
	global_load_dword v49, v[46:47], off offset:4
	v_mov_b32_e32 v46, 0
	v_mov_b32_e32 v47, 0
	s_waitcnt vmcnt(0)
	v_dot4c_i32_i8_e32 v46, v65, v49
	v_dot4c_i32_i8_e32 v47, v64, v49
	s_nop 1
	v_mul_lo_u32 v46, v53, v46
	v_cvt_f32_i32_e32 v46, v46
	v_mul_lo_u32 v47, v52, v47
	v_cvt_f32_i32_e32 v47, v47
	v_pk_fma_f32 v[46:47], v[48:49], v[46:47], v[38:39] op_sel_hi:[0,1,1]
	v_mov_b32_e32 v38, 0
	v_mov_b32_e32 v39, 0
	v_dot4c_i32_i8_e32 v38, v63, v49
	v_dot4c_i32_i8_e32 v39, v62, v49
	s_nop 1
	v_cvt_f32_i32_e32 v38, v38
	v_cvt_f32_i32_e32 v39, v39
	v_pk_fma_f32 v[48:49], v[48:49], v[38:39], v[42:43] op_sel_hi:[0,1,1]
	v_mad_u64_u32 v[38:39], s[24:25], v67, 36, v[14:15]
	v_lshl_add_u64 v[42:43], v[38:39], 0, v[24:25]
	global_load_dword v42, v[42:43], off offset:4
	v_mov_b32_e32 v43, 0
	v_add_u32_e32 v67, 64, v67
	global_load_dword v70, v[38:39], off offset:36
	s_waitcnt vmcnt(1)
	v_dot4c_i32_i8_e32 v43, v54, v42
	v_dot4c_i32_i8_e32 v56, v55, v42
	;; [unrolled: 1-line block ×4, first 2 shown]
	v_mul_lo_u32 v42, v51, v43
	v_mul_lo_u32 v43, v50, v56
	v_cvt_f32_i32_e32 v56, v58
	global_load_dword v58, v[38:39], off
	v_cvt_f32_i32_e32 v43, v43
	v_cvt_f32_i32_e32 v42, v42
	;; [unrolled: 1-line block ×3, first 2 shown]
	s_waitcnt vmcnt(1)
	v_cvt_f32_f16_e32 v70, v70
	s_waitcnt vmcnt(0)
	v_cvt_f32_f16_e32 v58, v58
	v_pk_fma_f32 v[42:43], v[58:59], v[42:43], 0 op_sel_hi:[0,1,0]
	v_pk_fma_f32 v[58:59], v[58:59], v[56:57], 0 op_sel_hi:[0,1,0]
	v_lshl_add_u64 v[56:57], v[38:39], 0, 36
	v_lshl_add_u64 v[56:57], v[56:57], 0, v[24:25]
	global_load_dword v71, v[56:57], off offset:4
	v_mov_b32_e32 v56, 0
	v_mov_b32_e32 v57, 0
	s_waitcnt vmcnt(0)
	v_dot4c_i32_i8_e32 v56, v65, v71
	v_dot4c_i32_i8_e32 v57, v64, v71
	s_nop 1
	v_mul_lo_u32 v56, v53, v56
	v_cvt_f32_i32_e32 v56, v56
	v_mul_lo_u32 v57, v52, v57
	v_cvt_f32_i32_e32 v57, v57
	v_pk_fma_f32 v[56:57], v[70:71], v[56:57], v[42:43] op_sel_hi:[0,1,1]
	v_mov_b32_e32 v42, 0
	v_mov_b32_e32 v43, 0
	v_dot4c_i32_i8_e32 v42, v63, v71
	v_dot4c_i32_i8_e32 v43, v62, v71
	s_nop 1
	v_cvt_f32_i32_e32 v42, v42
	v_cvt_f32_i32_e32 v43, v43
	v_pk_fma_f32 v[58:59], v[70:71], v[42:43], v[58:59] op_sel_hi:[0,1,1]
	v_mad_u64_u32 v[42:43], s[24:25], v18, 36, v[14:15]
	v_lshl_add_u64 v[70:71], v[42:43], 0, v[24:25]
	global_load_dword v70, v[70:71], off offset:4
	v_mov_b32_e32 v71, 0
	v_add_u32_e32 v18, 64, v18
	s_waitcnt vmcnt(0)
	v_dot4c_i32_i8_e32 v71, v54, v70
	v_dot4c_i32_i8_e32 v72, v55, v70
	v_lshl_add_u64 v[54:55], v[42:43], 0, 36
	v_lshl_add_u64 v[54:55], v[54:55], 0, v[24:25]
	global_load_dword v54, v[54:55], off offset:4
	v_dot4c_i32_i8_e32 v73, v60, v70
	v_mov_b32_e32 v60, 0
	v_dot4c_i32_i8_e32 v60, v61, v70
	v_mov_b32_e32 v61, 0
	v_mul_lo_u32 v50, v50, v72
	s_waitcnt vmcnt(0)
	v_dot4c_i32_i8_e32 v61, v65, v54
	v_cvt_f32_i32_e32 v55, v60
	global_load_dword v60, v[42:43], off
	v_mov_b32_e32 v65, 0
	v_dot4c_i32_i8_e32 v65, v64, v54
	v_mov_b32_e32 v64, 0
	v_dot4c_i32_i8_e32 v64, v63, v54
	;; [unrolled: 2-line block ×3, first 2 shown]
	v_mul_lo_u32 v54, v51, v71
	v_cvt_f32_i32_e32 v51, v50
	v_cvt_f32_i32_e32 v50, v54
	;; [unrolled: 1-line block ×3, first 2 shown]
	v_mul_lo_u32 v52, v52, v65
	s_waitcnt vmcnt(0)
	v_cvt_f32_f16_e32 v60, v60
	v_pk_fma_f32 v[50:51], v[60:61], v[50:51], 0 op_sel_hi:[0,1,0]
	v_pk_fma_f32 v[54:55], v[60:61], v[54:55], 0 op_sel_hi:[0,1,0]
	v_mul_lo_u32 v60, v53, v61
	v_cvt_f32_i32_e32 v53, v52
	v_cvt_f32_i32_e32 v52, v60
	global_load_dword v60, v[42:43], off offset:36
	s_waitcnt vmcnt(0)
	v_cvt_f32_f16_e32 v62, v60
	v_pk_fma_f32 v[60:61], v[62:63], v[52:53], v[50:51] op_sel_hi:[0,1,1]
	v_cvt_f32_i32_e32 v51, v63
	v_cvt_f32_i32_e32 v50, v64
	global_load_dword v53, v[30:31], off offset:76
	global_load_dword v52, v[16:17], off offset:72
	v_pk_fma_f32 v[62:63], v[62:63], v[50:51], v[54:55] op_sel_hi:[0,1,1]
	global_load_ubyte v54, v[34:35], off offset:4
	global_load_ubyte v55, v[36:37], off offset:4
	v_lshrrev_b32_e32 v50, 4, v68
	v_and_b32_e32 v70, 0x3030303, v50
	v_lshrrev_b32_e32 v50, 4, v69
	v_and_b32_e32 v71, 0x3030303, v50
	v_mov_b32_e32 v50, 0
	v_mov_b32_e32 v51, 0
	s_waitcnt vmcnt(3)
	v_dot4c_i32_i8_e32 v50, v70, v53
	v_dot4c_i32_i8_e32 v51, v71, v53
	s_waitcnt vmcnt(2)
	v_cvt_f32_f16_e32 v52, v52
	s_waitcnt vmcnt(1)
	v_and_b32_e32 v72, 15, v54
	s_waitcnt vmcnt(0)
	v_and_b32_e32 v73, 15, v55
	v_mul_lo_u32 v50, v72, v50
	v_mul_lo_u32 v51, v73, v51
	v_cvt_f32_i32_e32 v51, v51
	v_cvt_f32_i32_e32 v50, v50
	v_pk_fma_f32 v[64:65], v[52:53], v[50:51], v[40:41] op_sel_hi:[0,1,1]
	v_lshrrev_b32_e32 v40, 4, v54
	v_lshrrev_b32_e32 v41, 4, v55
	v_mul_lo_u32 v74, v40, s22
	v_mul_lo_u32 v75, v41, s22
	v_mov_b32_e32 v40, 0
	v_mov_b32_e32 v41, 0
	v_dot4c_i32_i8_e32 v40, v74, v53
	v_dot4c_i32_i8_e32 v41, v75, v53
	s_nop 1
	v_cvt_f32_i32_e32 v40, v40
	v_cvt_f32_i32_e32 v41, v41
	v_pk_fma_f32 v[54:55], v[52:53], v[40:41], v[44:45] op_sel_hi:[0,1,1]
	v_lshl_add_u64 v[40:41], v[32:33], 0, s[12:13]
	v_lshl_add_u64 v[40:41], v[40:41], 0, v[24:25]
	global_load_dword v45, v[40:41], off offset:4
	global_load_dword v44, v[32:33], off offset:72
	v_mov_b32_e32 v40, 0
	v_mov_b32_e32 v41, 0
	s_waitcnt vmcnt(1)
	v_dot4c_i32_i8_e32 v40, v70, v45
	v_dot4c_i32_i8_e32 v41, v71, v45
	s_nop 1
	v_mul_lo_u32 v40, v72, v40
	v_cvt_f32_i32_e32 v40, v40
	s_waitcnt vmcnt(0)
	v_cvt_f32_f16_e32 v44, v44
	v_mul_lo_u32 v41, v73, v41
	v_cvt_f32_i32_e32 v41, v41
	v_pk_fma_f32 v[52:53], v[44:45], v[40:41], v[46:47] op_sel_hi:[0,1,1]
	v_mov_b32_e32 v40, 0
	v_mov_b32_e32 v41, 0
	v_dot4c_i32_i8_e32 v40, v74, v45
	v_dot4c_i32_i8_e32 v41, v75, v45
	v_mov_b32_e32 v46, 0
	v_mov_b32_e32 v47, 0
	v_cvt_f32_i32_e32 v40, v40
	v_cvt_f32_i32_e32 v41, v41
	v_pk_fma_f32 v[50:51], v[44:45], v[40:41], v[48:49] op_sel_hi:[0,1,1]
	v_lshl_add_u64 v[40:41], v[38:39], 0, s[12:13]
	v_lshl_add_u64 v[40:41], v[40:41], 0, v[24:25]
	global_load_dword v45, v[40:41], off offset:4
	global_load_dword v44, v[38:39], off offset:72
	v_mov_b32_e32 v40, 0
	v_mov_b32_e32 v41, 0
	v_mov_b32_e32 v48, 0
	v_mov_b32_e32 v49, 0
	s_waitcnt vmcnt(1)
	v_dot4c_i32_i8_e32 v40, v70, v45
	v_dot4c_i32_i8_e32 v41, v71, v45
	s_nop 1
	v_mul_lo_u32 v40, v72, v40
	v_dot4c_i32_i8_e32 v46, v74, v45
	v_dot4c_i32_i8_e32 v47, v75, v45
	v_mul_lo_u32 v41, v73, v41
	v_cvt_f32_i32_e32 v41, v41
	v_cvt_f32_i32_e32 v40, v40
	s_waitcnt vmcnt(0)
	v_cvt_f32_f16_e32 v44, v44
	v_cvt_f32_i32_e32 v47, v47
	v_cvt_f32_i32_e32 v46, v46
	v_pk_fma_f32 v[40:41], v[44:45], v[40:41], v[56:57] op_sel_hi:[0,1,1]
	v_mov_b32_e32 v56, 0
	v_pk_fma_f32 v[44:45], v[44:45], v[46:47], v[58:59] op_sel_hi:[0,1,1]
	v_lshl_add_u64 v[46:47], v[42:43], 0, s[12:13]
	v_lshl_add_u64 v[46:47], v[46:47], 0, v[24:25]
	global_load_dword v46, v[46:47], off offset:4
	v_mov_b32_e32 v47, 0
	global_load_ubyte v58, v[34:35], off offset:6
	global_load_ubyte v59, v[36:37], off offset:6
	v_lshrrev_b32_e32 v34, 6, v68
	v_lshrrev_b32_e32 v35, 6, v69
	v_and_b32_e32 v37, 0x3030303, v35
	s_waitcnt vmcnt(2)
	v_dot4c_i32_i8_e32 v47, v70, v46
	v_dot4c_i32_i8_e32 v48, v71, v46
	;; [unrolled: 1-line block ×4, first 2 shown]
	v_mul_lo_u32 v46, v72, v47
	v_mul_lo_u32 v47, v73, v48
	global_load_dword v48, v[42:43], off offset:72
	v_cvt_f32_i32_e32 v47, v47
	v_cvt_f32_i32_e32 v46, v46
	;; [unrolled: 1-line block ×4, first 2 shown]
	s_waitcnt vmcnt(2)
	v_and_b32_e32 v36, 15, v58
	s_waitcnt vmcnt(1)
	v_and_b32_e32 v35, 15, v59
	s_waitcnt vmcnt(0)
	v_cvt_f32_f16_e32 v48, v48
	v_pk_fma_f32 v[46:47], v[48:49], v[46:47], v[60:61] op_sel_hi:[0,1,1]
	v_pk_fma_f32 v[48:49], v[48:49], v[56:57], v[62:63] op_sel_hi:[0,1,1]
	global_load_dword v57, v[30:31], off offset:112
	v_and_b32_e32 v56, 0x3030303, v34
	global_load_dword v34, v[16:17], off offset:108
	v_mov_b32_e32 v30, 0
	v_mov_b32_e32 v31, 0
	global_load_dword v60, v[26:27], off offset:80
	global_load_dword v61, v[28:29], off offset:80
	;; [unrolled: 1-line block ×3, first 2 shown]
	v_lshl_add_u64 v[26:27], v[32:33], 0, s[16:17]
	v_lshl_add_u64 v[26:27], v[26:27], 0, v[24:25]
	global_load_dword v33, v[26:27], off offset:4
	global_load_dword v63, v[38:39], off offset:108
	v_lshl_add_u64 v[26:27], v[38:39], 0, s[16:17]
	v_lshl_add_u64 v[26:27], v[26:27], 0, v[24:25]
	v_lshrrev_b32_e32 v28, 4, v59
	v_mov_b32_e32 v29, 0
	v_mov_b32_e32 v38, 0
	;; [unrolled: 1-line block ×3, first 2 shown]
	v_lshl_add_u64 v[16:17], v[16:17], 0, s[20:21]
	s_waitcnt vmcnt(6)
	v_dot4c_i32_i8_e32 v30, v56, v57
	v_dot4c_i32_i8_e32 v31, v37, v57
	s_nop 1
	v_mul_lo_u32 v30, v36, v30
	v_cvt_f32_i32_e32 v30, v30
	s_waitcnt vmcnt(5)
	v_cvt_f32_f16_e32 v34, v34
	v_mul_lo_u32 v31, v35, v31
	v_cvt_f32_i32_e32 v31, v31
	s_waitcnt vmcnt(1)
	v_dot4c_i32_i8_e32 v29, v37, v33
	v_cvt_f32_f16_e32 v32, v62
	v_pk_fma_f32 v[30:31], v[34:35], v[30:31], v[64:65] op_sel_hi:[0,1,1]
	global_load_dword v64, v[26:27], off offset:4
	global_load_dword v65, v[42:43], off offset:108
	v_lshl_add_u64 v[26:27], v[42:43], 0, s[16:17]
	v_lshl_add_u64 v[26:27], v[26:27], 0, v[24:25]
	global_load_dword v42, v[26:27], off offset:4
	v_lshrrev_b32_e32 v27, 4, v58
	v_mov_b32_e32 v26, 0
	v_mul_lo_u32 v43, v27, s22
	v_mul_lo_u32 v58, v28, s22
	v_mov_b32_e32 v27, 0
	v_dot4c_i32_i8_e32 v26, v43, v57
	v_dot4c_i32_i8_e32 v27, v58, v57
	v_mov_b32_e32 v28, 0
	v_dot4c_i32_i8_e32 v28, v56, v33
	v_cvt_f32_i32_e32 v26, v26
	v_cvt_f32_i32_e32 v27, v27
	v_mul_lo_u32 v29, v35, v29
	v_mul_lo_u32 v28, v36, v28
	v_cvt_f32_i32_e32 v29, v29
	v_pk_fma_f32 v[26:27], v[34:35], v[26:27], v[54:55] op_sel_hi:[0,1,1]
	v_mov_b32_e32 v34, 0
	v_cvt_f32_i32_e32 v28, v28
	v_dot4c_i32_i8_e32 v34, v43, v33
	v_dot4c_i32_i8_e32 v38, v58, v33
	v_mov_b32_e32 v54, 0
	v_pk_fma_f32 v[28:29], v[32:33], v[28:29], v[52:53] op_sel_hi:[0,1,1]
	v_mov_b32_e32 v53, 0
	v_cvt_f32_i32_e32 v39, v38
	v_cvt_f32_i32_e32 v38, v34
	v_mov_b32_e32 v55, 0
	v_mov_b32_e32 v57, 0
	s_waitcnt vmcnt(3)
	v_cvt_f32_f16_e32 v34, v63
	v_pk_fma_f32 v[32:33], v[32:33], v[38:39], v[50:51] op_sel_hi:[0,1,1]
	v_mov_b32_e32 v50, 0
	v_mov_b32_e32 v51, 0
	v_cvt_f32_f16_e32 v39, v61
	v_cvt_f32_f16_e32 v38, v60
	s_waitcnt vmcnt(2)
	v_dot4c_i32_i8_e32 v53, v56, v64
	v_dot4c_i32_i8_e32 v54, v37, v64
	;; [unrolled: 1-line block ×4, first 2 shown]
	s_waitcnt vmcnt(0)
	v_dot4c_i32_i8_e32 v55, v56, v42
	v_mov_b32_e32 v56, 0
	v_dot4c_i32_i8_e32 v57, v37, v42
	v_dot4c_i32_i8_e32 v59, v43, v42
	;; [unrolled: 1-line block ×3, first 2 shown]
	v_mul_lo_u32 v53, v36, v53
	v_mul_lo_u32 v54, v35, v54
	v_cvt_f32_i32_e32 v51, v51
	v_cvt_f32_i32_e32 v50, v50
	v_cvt_f32_f16_e32 v52, v65
	v_mul_lo_u32 v58, v36, v55
	v_mul_lo_u32 v35, v35, v57
	v_cvt_f32_i32_e32 v37, v56
	v_cvt_f32_i32_e32 v36, v59
	v_cvt_f32_i32_e32 v55, v54
	v_cvt_f32_i32_e32 v54, v53
	v_cvt_f32_f16_sdwa v43, v61 dst_sel:DWORD dst_unused:UNUSED_PAD src0_sel:WORD_1
	v_cvt_f32_f16_sdwa v42, v60 dst_sel:DWORD dst_unused:UNUSED_PAD src0_sel:WORD_1
	v_cvt_f32_i32_e32 v57, v35
	v_cvt_f32_i32_e32 v56, v58
	v_pk_fma_f32 v[40:41], v[34:35], v[54:55], v[40:41] op_sel_hi:[0,1,1]
	v_pk_fma_f32 v[34:35], v[34:35], v[50:51], v[44:45] op_sel_hi:[0,1,1]
	;; [unrolled: 1-line block ×4, first 2 shown]
	v_pk_mul_f32 v[26:27], v[26:27], v[42:43]
	v_pk_mul_f32 v[32:33], v[32:33], v[42:43]
	;; [unrolled: 1-line block ×4, first 2 shown]
	v_pk_fma_f32 v[26:27], v[30:31], v[38:39], v[26:27] neg_lo:[0,0,1] neg_hi:[0,0,1]
	v_pk_fma_f32 v[28:29], v[28:29], v[38:39], v[32:33] neg_lo:[0,0,1] neg_hi:[0,0,1]
	;; [unrolled: 1-line block ×4, first 2 shown]
	v_pk_add_f32 v[4:5], v[4:5], v[26:27]
	v_pk_add_f32 v[6:7], v[6:7], v[28:29]
	;; [unrolled: 1-line block ×4, first 2 shown]
	s_andn2_b64 exec, exec, s[8:9]
	s_cbranch_execnz .LBB103_2
; %bb.3:
	s_or_b64 exec, exec, s[8:9]
	scratch_store_dwordx4 off, v[4:7], off
	scratch_store_dwordx4 off, v[0:3], off offset:16
.LBB103_4:
	s_or_b64 exec, exec, s[6:7]
	v_cmp_eq_u32_e32 vcc, 0, v9
	v_cmp_ne_u32_e64 s[6:7], 0, v9
	v_lshlrev_b32_e32 v10, 2, v8
	s_and_saveexec_b64 s[8:9], s[6:7]
	s_cbranch_execz .LBB103_6
; %bb.5:
	v_lshlrev_b32_e32 v9, 11, v9
	s_movk_i32 s2, 0xf800
	v_add3_u32 v9, v9, v10, s2
	ds_write2st64_b32 v9, v4, v5 offset1:1
	ds_write2st64_b32 v9, v6, v7 offset0:2 offset1:3
	ds_write2st64_b32 v9, v0, v1 offset0:4 offset1:5
	;; [unrolled: 1-line block ×3, first 2 shown]
.LBB103_6:
	s_or_b64 exec, exec, s[8:9]
	s_waitcnt lgkmcnt(0)
	s_barrier
	s_and_saveexec_b64 s[6:7], vcc
	s_cbranch_execz .LBB103_15
; %bb.7:
	scratch_load_dwordx2 v[2:3], off, off
	v_mbcnt_lo_u32_b32 v0, -1, 0
	ds_read2st64_b32 v[4:5], v10 offset1:1
	v_mbcnt_hi_u32_b32 v9, -1, v0
	v_and_b32_e32 v0, 64, v9
	v_xor_b32_e32 v1, 32, v9
	v_add_u32_e32 v14, 64, v0
	v_cmp_lt_i32_e32 vcc, v1, v14
	v_xor_b32_e32 v6, 16, v9
	v_xor_b32_e32 v11, 8, v9
	v_cndmask_b32_e32 v0, v9, v1, vcc
	v_lshlrev_b32_e32 v0, 2, v0
	v_cmp_lt_i32_e32 vcc, v6, v14
	v_xor_b32_e32 v12, 4, v9
	v_xor_b32_e32 v15, 2, v9
	v_cndmask_b32_e32 v1, v9, v6, vcc
	v_lshlrev_b32_e32 v1, 2, v1
	v_cmp_lt_i32_e32 vcc, v11, v14
	s_load_dwordx2 s[0:1], s[0:1], 0x38
	s_mul_i32 s2, s3, s14
	s_mul_i32 s4, s4, s18
	s_add_i32 s2, s2, s5
	s_mov_b32 s3, 0
	s_add_i32 s2, s2, s4
	s_lshl_b64 s[2:3], s[2:3], 2
	s_waitcnt lgkmcnt(0)
	s_add_u32 s2, s0, s2
	s_addc_u32 s3, s1, s3
	s_waitcnt vmcnt(0)
	v_pk_add_f32 v[2:3], v[4:5], v[2:3]
	ds_bpermute_b32 v4, v0, v2
	ds_bpermute_b32 v5, v0, v3
	s_waitcnt lgkmcnt(0)
	v_pk_add_f32 v[4:5], v[2:3], v[4:5]
	ds_bpermute_b32 v6, v1, v4
	ds_bpermute_b32 v7, v1, v5
	v_cndmask_b32_e32 v2, v9, v11, vcc
	v_lshlrev_b32_e32 v2, 2, v2
	v_cmp_lt_i32_e32 vcc, v12, v14
	v_xor_b32_e32 v11, 1, v9
	s_waitcnt lgkmcnt(0)
	v_pk_add_f32 v[4:5], v[4:5], v[6:7]
	ds_bpermute_b32 v6, v2, v4
	ds_bpermute_b32 v7, v2, v5
	v_cndmask_b32_e32 v3, v9, v12, vcc
	v_lshlrev_b32_e32 v3, 2, v3
	v_cmp_lt_i32_e32 vcc, v15, v14
	s_waitcnt lgkmcnt(0)
	v_pk_add_f32 v[6:7], v[4:5], v[6:7]
	ds_bpermute_b32 v12, v3, v6
	ds_bpermute_b32 v13, v3, v7
	v_cndmask_b32_e32 v4, v9, v15, vcc
	v_lshlrev_b32_e32 v4, 2, v4
	v_cmp_lt_i32_e32 vcc, v11, v14
	s_waitcnt lgkmcnt(0)
	v_pk_add_f32 v[6:7], v[6:7], v[12:13]
	ds_bpermute_b32 v12, v4, v6
	ds_bpermute_b32 v13, v4, v7
	v_cndmask_b32_e32 v5, v9, v11, vcc
	v_lshlrev_b32_e32 v5, 2, v5
	v_or_b32_e32 v9, s5, v8
	v_cmp_gt_u32_e32 vcc, 2, v8
	s_waitcnt lgkmcnt(0)
	v_pk_add_f32 v[6:7], v[6:7], v[12:13]
	ds_bpermute_b32 v12, v5, v6
	ds_bpermute_b32 v13, v5, v7
	v_cmp_gt_u32_e64 s[0:1], s10, v9
	s_and_b64 s[0:1], vcc, s[0:1]
	s_waitcnt lgkmcnt(0)
	v_pk_add_f32 v[6:7], v[6:7], v[12:13]
	scratch_store_dwordx2 off, v[6:7], off
	s_and_saveexec_b64 s[4:5], s[0:1]
	s_cbranch_execz .LBB103_9
; %bb.8:
	scratch_load_dword v6, v10, off
	s_waitcnt vmcnt(0)
	global_store_dword v10, v6, s[2:3]
.LBB103_9:
	s_or_b64 exec, exec, s[4:5]
	scratch_load_dwordx2 v[6:7], off, off offset:8
	ds_read2st64_b32 v[12:13], v10 offset0:2 offset1:3
	s_waitcnt vmcnt(0) lgkmcnt(0)
	v_pk_add_f32 v[6:7], v[12:13], v[6:7]
	ds_bpermute_b32 v12, v0, v6
	ds_bpermute_b32 v13, v0, v7
	s_waitcnt lgkmcnt(0)
	v_pk_add_f32 v[6:7], v[6:7], v[12:13]
	ds_bpermute_b32 v12, v1, v6
	ds_bpermute_b32 v13, v1, v7
	s_waitcnt lgkmcnt(0)
	;; [unrolled: 4-line block ×6, first 2 shown]
	v_pk_add_f32 v[6:7], v[6:7], v[12:13]
	scratch_store_dwordx2 off, v[6:7], off offset:8
	s_and_saveexec_b64 s[4:5], s[0:1]
	s_cbranch_execz .LBB103_11
; %bb.10:
	scratch_load_dword v9, v10, off offset:8
	v_add_u32_e32 v6, s10, v8
	v_mov_b32_e32 v7, 0
	v_lshl_add_u64 v[6:7], v[6:7], 2, s[2:3]
	s_waitcnt vmcnt(0)
	global_store_dword v[6:7], v9, off
.LBB103_11:
	s_or_b64 exec, exec, s[4:5]
	scratch_load_dwordx2 v[6:7], off, off offset:16
	ds_read2st64_b32 v[12:13], v10 offset0:4 offset1:5
	s_waitcnt vmcnt(0) lgkmcnt(0)
	v_pk_add_f32 v[6:7], v[12:13], v[6:7]
	ds_bpermute_b32 v12, v0, v6
	ds_bpermute_b32 v13, v0, v7
	s_waitcnt lgkmcnt(0)
	v_pk_add_f32 v[6:7], v[6:7], v[12:13]
	ds_bpermute_b32 v12, v1, v6
	ds_bpermute_b32 v13, v1, v7
	s_waitcnt lgkmcnt(0)
	;; [unrolled: 4-line block ×6, first 2 shown]
	v_pk_add_f32 v[6:7], v[6:7], v[12:13]
	scratch_store_dwordx2 off, v[6:7], off offset:16
	s_and_saveexec_b64 s[4:5], s[0:1]
	s_cbranch_execz .LBB103_13
; %bb.12:
	scratch_load_dword v9, v10, off offset:16
	v_lshl_or_b32 v6, s10, 1, v8
	v_mov_b32_e32 v7, 0
	v_lshl_add_u64 v[6:7], v[6:7], 2, s[2:3]
	s_waitcnt vmcnt(0)
	global_store_dword v[6:7], v9, off
.LBB103_13:
	s_or_b64 exec, exec, s[4:5]
	scratch_load_dwordx2 v[6:7], off, off offset:24
	ds_read2st64_b32 v[12:13], v10 offset0:6 offset1:7
	s_waitcnt vmcnt(0) lgkmcnt(0)
	v_pk_add_f32 v[6:7], v[12:13], v[6:7]
	ds_bpermute_b32 v12, v0, v6
	ds_bpermute_b32 v13, v0, v7
	s_waitcnt lgkmcnt(0)
	v_pk_add_f32 v[6:7], v[6:7], v[12:13]
	ds_bpermute_b32 v0, v1, v6
	ds_bpermute_b32 v1, v1, v7
	s_waitcnt lgkmcnt(0)
	v_pk_add_f32 v[0:1], v[6:7], v[0:1]
	ds_bpermute_b32 v6, v2, v0
	ds_bpermute_b32 v7, v2, v1
	s_waitcnt lgkmcnt(0)
	v_pk_add_f32 v[0:1], v[0:1], v[6:7]
	ds_bpermute_b32 v2, v3, v0
	ds_bpermute_b32 v3, v3, v1
	s_waitcnt lgkmcnt(0)
	v_pk_add_f32 v[0:1], v[0:1], v[2:3]
	ds_bpermute_b32 v2, v4, v0
	ds_bpermute_b32 v3, v4, v1
	s_waitcnt lgkmcnt(0)
	v_pk_add_f32 v[0:1], v[0:1], v[2:3]
	ds_bpermute_b32 v2, v5, v0
	ds_bpermute_b32 v3, v5, v1
	s_waitcnt lgkmcnt(0)
	v_pk_add_f32 v[0:1], v[0:1], v[2:3]
	scratch_store_dwordx2 off, v[0:1], off offset:24
	s_and_b64 exec, exec, s[0:1]
	s_cbranch_execz .LBB103_15
; %bb.14:
	scratch_load_dword v2, v10, off offset:24
	v_mad_u64_u32 v[0:1], s[0:1], s10, 3, v[8:9]
	v_mov_b32_e32 v1, 0
	v_lshl_add_u64 v[0:1], v[0:1], 2, s[2:3]
	s_waitcnt vmcnt(0)
	global_store_dword v[0:1], v2, off
.LBB103_15:
	s_endpgm
	.section	.rodata,"a",@progbits
	.p2align	6, 0x0
	.amdhsa_kernel _ZL13mul_mat_vec_qIL9ggml_type10ELi4ELb0ELb0EEvPKvS2_PKi31ggml_cuda_mm_fusion_args_devicePfj15HIP_vector_typeIjLj3EEjjjS8_jjjS8_jjjj
		.amdhsa_group_segment_fixed_size 2048
		.amdhsa_private_segment_fixed_size 48
		.amdhsa_kernarg_size 144
		.amdhsa_user_sgpr_count 2
		.amdhsa_user_sgpr_dispatch_ptr 0
		.amdhsa_user_sgpr_queue_ptr 0
		.amdhsa_user_sgpr_kernarg_segment_ptr 1
		.amdhsa_user_sgpr_dispatch_id 0
		.amdhsa_user_sgpr_kernarg_preload_length 0
		.amdhsa_user_sgpr_kernarg_preload_offset 0
		.amdhsa_user_sgpr_private_segment_size 0
		.amdhsa_uses_dynamic_stack 0
		.amdhsa_enable_private_segment 1
		.amdhsa_system_sgpr_workgroup_id_x 1
		.amdhsa_system_sgpr_workgroup_id_y 1
		.amdhsa_system_sgpr_workgroup_id_z 1
		.amdhsa_system_sgpr_workgroup_info 0
		.amdhsa_system_vgpr_workitem_id 1
		.amdhsa_next_free_vgpr 76
		.amdhsa_next_free_sgpr 26
		.amdhsa_accum_offset 76
		.amdhsa_reserve_vcc 1
		.amdhsa_float_round_mode_32 0
		.amdhsa_float_round_mode_16_64 0
		.amdhsa_float_denorm_mode_32 3
		.amdhsa_float_denorm_mode_16_64 3
		.amdhsa_dx10_clamp 1
		.amdhsa_ieee_mode 1
		.amdhsa_fp16_overflow 0
		.amdhsa_tg_split 0
		.amdhsa_exception_fp_ieee_invalid_op 0
		.amdhsa_exception_fp_denorm_src 0
		.amdhsa_exception_fp_ieee_div_zero 0
		.amdhsa_exception_fp_ieee_overflow 0
		.amdhsa_exception_fp_ieee_underflow 0
		.amdhsa_exception_fp_ieee_inexact 0
		.amdhsa_exception_int_div_zero 0
	.end_amdhsa_kernel
	.section	.text._ZL13mul_mat_vec_qIL9ggml_type10ELi4ELb0ELb0EEvPKvS2_PKi31ggml_cuda_mm_fusion_args_devicePfj15HIP_vector_typeIjLj3EEjjjS8_jjjS8_jjjj,"axG",@progbits,_ZL13mul_mat_vec_qIL9ggml_type10ELi4ELb0ELb0EEvPKvS2_PKi31ggml_cuda_mm_fusion_args_devicePfj15HIP_vector_typeIjLj3EEjjjS8_jjjS8_jjjj,comdat
.Lfunc_end103:
	.size	_ZL13mul_mat_vec_qIL9ggml_type10ELi4ELb0ELb0EEvPKvS2_PKi31ggml_cuda_mm_fusion_args_devicePfj15HIP_vector_typeIjLj3EEjjjS8_jjjS8_jjjj, .Lfunc_end103-_ZL13mul_mat_vec_qIL9ggml_type10ELi4ELb0ELb0EEvPKvS2_PKi31ggml_cuda_mm_fusion_args_devicePfj15HIP_vector_typeIjLj3EEjjjS8_jjjS8_jjjj
                                        ; -- End function
	.section	.AMDGPU.csdata,"",@progbits
; Kernel info:
; codeLenInByte = 4300
; NumSgprs: 32
; NumVgprs: 76
; NumAgprs: 0
; TotalNumVgprs: 76
; ScratchSize: 48
; MemoryBound: 0
; FloatMode: 240
; IeeeMode: 1
; LDSByteSize: 2048 bytes/workgroup (compile time only)
; SGPRBlocks: 3
; VGPRBlocks: 9
; NumSGPRsForWavesPerEU: 32
; NumVGPRsForWavesPerEU: 76
; AccumOffset: 76
; Occupancy: 6
; WaveLimiterHint : 0
; COMPUTE_PGM_RSRC2:SCRATCH_EN: 1
; COMPUTE_PGM_RSRC2:USER_SGPR: 2
; COMPUTE_PGM_RSRC2:TRAP_HANDLER: 0
; COMPUTE_PGM_RSRC2:TGID_X_EN: 1
; COMPUTE_PGM_RSRC2:TGID_Y_EN: 1
; COMPUTE_PGM_RSRC2:TGID_Z_EN: 1
; COMPUTE_PGM_RSRC2:TIDIG_COMP_CNT: 1
; COMPUTE_PGM_RSRC3_GFX90A:ACCUM_OFFSET: 18
; COMPUTE_PGM_RSRC3_GFX90A:TG_SPLIT: 0
	.section	.text._ZL13mul_mat_vec_qIL9ggml_type10ELi5ELb0ELb0EEvPKvS2_PKi31ggml_cuda_mm_fusion_args_devicePfj15HIP_vector_typeIjLj3EEjjjS8_jjjS8_jjjj,"axG",@progbits,_ZL13mul_mat_vec_qIL9ggml_type10ELi5ELb0ELb0EEvPKvS2_PKi31ggml_cuda_mm_fusion_args_devicePfj15HIP_vector_typeIjLj3EEjjjS8_jjjS8_jjjj,comdat
	.globl	_ZL13mul_mat_vec_qIL9ggml_type10ELi5ELb0ELb0EEvPKvS2_PKi31ggml_cuda_mm_fusion_args_devicePfj15HIP_vector_typeIjLj3EEjjjS8_jjjS8_jjjj ; -- Begin function _ZL13mul_mat_vec_qIL9ggml_type10ELi5ELb0ELb0EEvPKvS2_PKi31ggml_cuda_mm_fusion_args_devicePfj15HIP_vector_typeIjLj3EEjjjS8_jjjS8_jjjj
	.p2align	8
	.type	_ZL13mul_mat_vec_qIL9ggml_type10ELi5ELb0ELb0EEvPKvS2_PKi31ggml_cuda_mm_fusion_args_devicePfj15HIP_vector_typeIjLj3EEjjjS8_jjjS8_jjjj,@function
_ZL13mul_mat_vec_qIL9ggml_type10ELi5ELb0ELb0EEvPKvS2_PKi31ggml_cuda_mm_fusion_args_devicePfj15HIP_vector_typeIjLj3EEjjjS8_jjjS8_jjjj: ; @_ZL13mul_mat_vec_qIL9ggml_type10ELi5ELb0ELb0EEvPKvS2_PKi31ggml_cuda_mm_fusion_args_devicePfj15HIP_vector_typeIjLj3EEjjjS8_jjjS8_jjjj
; %bb.0:
	v_bfe_u32 v9, v0, 10, 10
	v_and_b32_e32 v8, 0x3ff, v0
	s_mov_b32 s20, 0
	s_load_dword s5, s[0:1], 0x40
	s_load_dwordx4 s[8:11], s[0:1], 0x50
	s_load_dword s25, s[0:1], 0x60
	s_load_dwordx4 s[12:15], s[0:1], 0x68
	;; [unrolled: 2-line block ×3, first 2 shown]
	v_lshl_or_b32 v4, v9, 6, v8
	s_mov_b32 s21, s20
	s_waitcnt lgkmcnt(0)
	s_lshr_b32 s5, s5, 8
	v_mov_b32_e32 v11, 0
	s_mov_b32 s22, s20
	s_mov_b32 s23, s20
	v_mov_b64_e32 v[0:1], s[20:21]
	v_lshrrev_b32_e32 v72, 4, v4
	s_lshl_b32 s2, s2, 1
	v_mov_b32_e32 v10, v11
	v_mov_b64_e32 v[2:3], s[22:23]
	v_cmp_gt_u32_e32 vcc, s5, v72
	scratch_store_dwordx2 off, v[10:11], off offset:32
	scratch_store_dwordx4 off, v[0:3], off offset:16
	scratch_store_dwordx4 off, v[0:3], off
	s_and_saveexec_b64 s[6:7], vcc
	s_cbranch_execz .LBB104_4
; %bb.1:
	s_load_dwordx4 s[20:23], s[0:1], 0x0
	s_mul_i32 s17, s4, s17
	s_mul_hi_u32 s19, s17, 36
	s_mul_i32 s17, s17, 36
	s_mul_i32 s13, s3, s13
	s_waitcnt lgkmcnt(0)
	s_add_u32 s17, s22, s17
	s_addc_u32 s19, s23, s19
	s_mul_hi_u32 s23, s13, 36
	s_mul_i32 s13, s13, 36
	s_add_u32 s22, s17, s13
	s_mul_hi_u32 s11, s11, s3
	s_addc_u32 s23, s19, s23
	s_add_i32 s11, s3, s11
	s_lshr_b32 s11, s11, s25
	s_mul_i32 s11, s11, s12
	s_mul_hi_u32 s12, s15, s4
	s_add_i32 s12, s4, s12
	v_and_b32_e32 v0, 15, v8
	v_lshrrev_b32_e32 v1, 1, v8
	v_and_b32_e32 v2, 7, v8
	s_lshr_b32 s12, s12, s24
	v_and_b32_e32 v1, 4, v1
	v_sub_u32_e32 v3, v0, v2
	v_bfe_u32 v4, v8, 2, 1
	s_mul_i32 s15, s12, s16
	v_add_u32_e32 v12, v3, v4
	v_mad_u64_u32 v[14:15], s[12:13], v1, 36, s[22:23]
	v_lshl_add_u32 v1, v9, 6, v8
	v_bfe_u32 v3, v8, 3, 1
	v_lshrrev_b32_e32 v1, 4, v1
	v_mul_hi_u32_u24_e32 v5, 0x90, v3
	v_mul_u32_u24_e32 v4, 0x90, v3
	s_movk_i32 s12, 0x120
	v_mad_u64_u32 v[4:5], s[12:13], v1, s12, v[4:5]
	s_add_i32 s12, s2, 1
	s_mul_i32 s16, s2, s8
	s_add_i32 s15, s15, s11
	s_mul_i32 s8, s8, s12
	v_ashrrev_i32_e32 v13, 31, v12
	s_add_i32 s11, s15, s16
	v_lshlrev_b32_e32 v10, 2, v2
	v_lshl_add_u64 v[16:17], s[22:23], 0, v[4:5]
	s_add_i32 s8, s15, s8
	s_lshl_b32 s15, s9, 1
	v_lshlrev_b32_e32 v73, 3, v72
	s_mul_i32 s19, s9, 3
	s_lshl_b32 s24, s9, 2
	s_mov_b64 s[12:13], 0
	s_movk_i32 s25, 0x54
	v_mov_b64_e32 v[18:19], s[20:21]
	v_lshlrev_b32_e32 v20, 2, v0
	s_mov_b32 s26, 0x1010101
	v_lshlrev_b32_e32 v24, 2, v2
	s_mov_b64 s[16:17], 0x48
	s_mov_b64 s[20:21], 0x6c
	;; [unrolled: 1-line block ×3, first 2 shown]
	v_mov_b32_e32 v21, v11
	v_mov_b32_e32 v25, v11
	;; [unrolled: 1-line block ×12, first 2 shown]
.LBB104_2:                              ; =>This Inner Loop Header: Depth=1
	v_add_u32_e32 v26, s11, v72
	v_add_u32_e32 v28, s8, v72
	v_mad_i64_i32 v[26:27], s[28:29], v26, s25, v[18:19]
	v_lshl_add_u64 v[30:31], v[16:17], 0, v[10:11]
	v_mad_i64_i32 v[28:29], s[28:29], v28, s25, v[18:19]
	v_lshl_add_u64 v[36:37], v[26:27], 0, v[20:21]
	global_load_dword v40, v[16:17], off
	global_load_dword v42, v[16:17], off offset:36
	global_load_dword v50, v[30:31], off offset:4
	;; [unrolled: 1-line block ×3, first 2 shown]
	v_lshl_add_u64 v[32:33], v[26:27], 0, v[12:13]
	v_lshl_add_u64 v[38:39], v[28:29], 0, v[20:21]
	;; [unrolled: 1-line block ×3, first 2 shown]
	global_load_dword v74, v[36:37], off offset:16
	global_load_ubyte v52, v[32:33], off
	global_load_dword v75, v[38:39], off offset:16
	global_load_ubyte v53, v[34:35], off
	global_load_ubyte v54, v[34:35], off offset:2
	global_load_ubyte v55, v[32:33], off offset:2
	v_mov_b32_e32 v41, 0
	v_mov_b32_e32 v45, 0
	;; [unrolled: 1-line block ×11, first 2 shown]
	v_add_u32_e32 v72, 4, v72
	v_cmp_le_u32_e32 vcc, s5, v72
	s_or_b64 s[12:13], vcc, s[12:13]
	s_waitcnt vmcnt(9)
	v_cvt_f32_f16_e32 v36, v40
	s_waitcnt vmcnt(5)
	v_and_b32_e32 v64, 0x3030303, v74
	s_waitcnt vmcnt(4)
	v_lshrrev_b32_e32 v37, 4, v52
	s_waitcnt vmcnt(3)
	v_and_b32_e32 v65, 0x3030303, v75
	s_waitcnt vmcnt(2)
	v_lshrrev_b32_e32 v38, 4, v53
	v_and_b32_e32 v60, 15, v53
	v_and_b32_e32 v61, 15, v52
	v_dot4c_i32_i8_e32 v41, v64, v50
	v_mul_lo_u32 v66, v37, s26
	v_dot4c_i32_i8_e32 v45, v65, v50
	v_mul_lo_u32 v67, v38, s26
	v_dot4c_i32_i8_e32 v43, v66, v50
	v_dot4c_i32_i8_e32 v46, v67, v50
	v_mul_lo_u32 v37, v61, v41
	v_mul_lo_u32 v38, v60, v45
	v_cvt_f32_i32_e32 v39, v38
	v_cvt_f32_i32_e32 v38, v37
	;; [unrolled: 1-line block ×4, first 2 shown]
	v_lshrrev_b32_e32 v56, 2, v74
	v_lshrrev_b32_e32 v57, 2, v75
	v_and_b32_e32 v69, 0x3030303, v56
	v_and_b32_e32 v68, 0x3030303, v57
	s_waitcnt vmcnt(1)
	v_and_b32_e32 v62, 15, v54
	s_waitcnt vmcnt(0)
	v_and_b32_e32 v63, 15, v55
	v_dot4c_i32_i8_e32 v44, v69, v51
	v_dot4c_i32_i8_e32 v47, v68, v51
	v_pk_fma_f32 v[38:39], v[36:37], v[38:39], 0 op_sel_hi:[0,1,0]
	v_pk_fma_f32 v[36:37], v[36:37], v[40:41], 0 op_sel_hi:[0,1,0]
	v_mul_lo_u32 v40, v63, v44
	v_mul_lo_u32 v41, v62, v47
	v_cvt_f32_i32_e32 v41, v41
	v_cvt_f32_i32_e32 v40, v40
	v_cvt_f32_f16_e32 v42, v42
	v_mov_b32_e32 v44, 0
	v_mov_b32_e32 v45, 0
	;; [unrolled: 1-line block ×3, first 2 shown]
	v_pk_fma_f32 v[40:41], v[42:43], v[40:41], v[38:39] op_sel_hi:[0,1,1]
	v_lshrrev_b32_e32 v38, 4, v55
	v_lshrrev_b32_e32 v39, 4, v54
	v_mul_lo_u32 v76, v38, s26
	v_mul_lo_u32 v77, v39, s26
	v_dot4c_i32_i8_e32 v48, v76, v51
	v_dot4c_i32_i8_e32 v49, v77, v51
	v_add_u32_e32 v43, s9, v73
	v_mov_b32_e32 v56, 0
	v_cvt_f32_i32_e32 v38, v48
	v_cvt_f32_i32_e32 v39, v49
	v_mov_b32_e32 v57, 0
	v_pk_fma_f32 v[46:47], v[42:43], v[38:39], v[36:37] op_sel_hi:[0,1,1]
	v_mad_u64_u32 v[36:37], s[28:29], v43, 36, v[14:15]
	v_lshl_add_u64 v[38:39], v[36:37], 0, v[24:25]
	global_load_dword v38, v[38:39], off offset:4
	v_mov_b32_e32 v42, 0
	v_mov_b32_e32 v43, 0
	global_load_dword v48, v[36:37], off offset:36
	s_waitcnt vmcnt(1)
	v_dot4c_i32_i8_e32 v44, v64, v38
	v_dot4c_i32_i8_e32 v42, v65, v38
	;; [unrolled: 1-line block ×4, first 2 shown]
	v_mul_lo_u32 v38, v61, v44
	global_load_dword v44, v[36:37], off
	v_mul_lo_u32 v39, v60, v42
	v_cvt_f32_i32_e32 v39, v39
	v_cvt_f32_i32_e32 v38, v38
	;; [unrolled: 1-line block ×4, first 2 shown]
	s_waitcnt vmcnt(1)
	v_cvt_f32_f16_e32 v50, v48
	s_waitcnt vmcnt(0)
	v_cvt_f32_f16_e32 v44, v44
	v_pk_fma_f32 v[38:39], v[44:45], v[38:39], 0 op_sel_hi:[0,1,0]
	v_pk_fma_f32 v[42:43], v[44:45], v[42:43], 0 op_sel_hi:[0,1,0]
	v_lshl_add_u64 v[44:45], v[36:37], 0, 36
	v_lshl_add_u64 v[44:45], v[44:45], 0, v[24:25]
	global_load_dword v51, v[44:45], off offset:4
	v_mov_b32_e32 v44, 0
	v_mov_b32_e32 v45, 0
	s_waitcnt vmcnt(0)
	v_dot4c_i32_i8_e32 v44, v69, v51
	v_dot4c_i32_i8_e32 v45, v68, v51
	s_nop 1
	v_mul_lo_u32 v44, v63, v44
	v_cvt_f32_i32_e32 v44, v44
	v_mul_lo_u32 v45, v62, v45
	v_cvt_f32_i32_e32 v45, v45
	v_pk_fma_f32 v[48:49], v[50:51], v[44:45], v[38:39] op_sel_hi:[0,1,1]
	v_mov_b32_e32 v38, 0
	v_mov_b32_e32 v39, 0
	v_dot4c_i32_i8_e32 v38, v76, v51
	v_dot4c_i32_i8_e32 v39, v77, v51
	s_nop 1
	v_cvt_f32_i32_e32 v38, v38
	v_cvt_f32_i32_e32 v39, v39
	v_pk_fma_f32 v[50:51], v[50:51], v[38:39], v[42:43] op_sel_hi:[0,1,1]
	v_add_u32_e32 v38, s15, v73
	v_mad_u64_u32 v[44:45], s[28:29], v38, 36, v[14:15]
	v_lshl_add_u64 v[38:39], v[44:45], 0, v[24:25]
	global_load_dword v38, v[38:39], off offset:4
	v_mov_b32_e32 v42, 0
	global_load_dword v54, v[44:45], off offset:36
	v_mov_b32_e32 v39, 0
	v_mov_b32_e32 v43, 0
	s_waitcnt vmcnt(1)
	v_dot4c_i32_i8_e32 v39, v64, v38
	v_dot4c_i32_i8_e32 v42, v65, v38
	;; [unrolled: 1-line block ×4, first 2 shown]
	v_mul_lo_u32 v38, v61, v39
	v_mul_lo_u32 v39, v60, v42
	v_cvt_f32_i32_e32 v42, v52
	global_load_dword v52, v[44:45], off
	v_cvt_f32_i32_e32 v39, v39
	v_cvt_f32_i32_e32 v38, v38
	;; [unrolled: 1-line block ×3, first 2 shown]
	s_waitcnt vmcnt(1)
	v_cvt_f32_f16_e32 v54, v54
	s_waitcnt vmcnt(0)
	v_cvt_f32_f16_e32 v52, v52
	v_pk_fma_f32 v[38:39], v[52:53], v[38:39], 0 op_sel_hi:[0,1,0]
	v_pk_fma_f32 v[42:43], v[52:53], v[42:43], 0 op_sel_hi:[0,1,0]
	v_lshl_add_u64 v[52:53], v[44:45], 0, 36
	v_lshl_add_u64 v[52:53], v[52:53], 0, v[24:25]
	global_load_dword v55, v[52:53], off offset:4
	v_mov_b32_e32 v52, 0
	v_mov_b32_e32 v53, 0
	s_waitcnt vmcnt(0)
	v_dot4c_i32_i8_e32 v52, v69, v55
	v_dot4c_i32_i8_e32 v53, v68, v55
	s_nop 1
	v_mul_lo_u32 v52, v63, v52
	v_cvt_f32_i32_e32 v52, v52
	v_mul_lo_u32 v53, v62, v53
	v_cvt_f32_i32_e32 v53, v53
	v_pk_fma_f32 v[52:53], v[54:55], v[52:53], v[38:39] op_sel_hi:[0,1,1]
	v_mov_b32_e32 v38, 0
	v_mov_b32_e32 v39, 0
	v_dot4c_i32_i8_e32 v38, v76, v55
	v_dot4c_i32_i8_e32 v39, v77, v55
	s_nop 1
	v_cvt_f32_i32_e32 v38, v38
	v_cvt_f32_i32_e32 v39, v39
	v_pk_fma_f32 v[54:55], v[54:55], v[38:39], v[42:43] op_sel_hi:[0,1,1]
	v_add_u32_e32 v38, s19, v73
	v_mad_u64_u32 v[38:39], s[28:29], v38, 36, v[14:15]
	v_lshl_add_u64 v[42:43], v[38:39], 0, v[24:25]
	global_load_dword v42, v[42:43], off offset:4
	v_mov_b32_e32 v43, 0
	global_load_dword v70, v[38:39], off offset:36
	s_waitcnt vmcnt(1)
	v_dot4c_i32_i8_e32 v43, v64, v42
	v_dot4c_i32_i8_e32 v56, v65, v42
	;; [unrolled: 1-line block ×4, first 2 shown]
	v_mul_lo_u32 v42, v61, v43
	v_mul_lo_u32 v43, v60, v56
	v_cvt_f32_i32_e32 v56, v58
	global_load_dword v58, v[38:39], off
	v_cvt_f32_i32_e32 v43, v43
	v_cvt_f32_i32_e32 v42, v42
	v_cvt_f32_i32_e32 v57, v57
	s_waitcnt vmcnt(1)
	v_cvt_f32_f16_e32 v70, v70
	s_waitcnt vmcnt(0)
	v_cvt_f32_f16_e32 v58, v58
	v_pk_fma_f32 v[42:43], v[58:59], v[42:43], 0 op_sel_hi:[0,1,0]
	v_pk_fma_f32 v[58:59], v[58:59], v[56:57], 0 op_sel_hi:[0,1,0]
	v_lshl_add_u64 v[56:57], v[38:39], 0, 36
	v_lshl_add_u64 v[56:57], v[56:57], 0, v[24:25]
	global_load_dword v71, v[56:57], off offset:4
	v_mov_b32_e32 v56, 0
	v_mov_b32_e32 v57, 0
	s_waitcnt vmcnt(0)
	v_dot4c_i32_i8_e32 v56, v69, v71
	v_dot4c_i32_i8_e32 v57, v68, v71
	s_nop 1
	v_mul_lo_u32 v56, v63, v56
	v_cvt_f32_i32_e32 v56, v56
	v_mul_lo_u32 v57, v62, v57
	v_cvt_f32_i32_e32 v57, v57
	v_pk_fma_f32 v[56:57], v[70:71], v[56:57], v[42:43] op_sel_hi:[0,1,1]
	v_mov_b32_e32 v42, 0
	v_mov_b32_e32 v43, 0
	v_dot4c_i32_i8_e32 v42, v76, v71
	v_dot4c_i32_i8_e32 v43, v77, v71
	s_nop 1
	v_cvt_f32_i32_e32 v42, v42
	v_cvt_f32_i32_e32 v43, v43
	v_pk_fma_f32 v[58:59], v[70:71], v[42:43], v[58:59] op_sel_hi:[0,1,1]
	v_add_u32_e32 v42, s24, v73
	v_mad_u64_u32 v[42:43], s[28:29], v42, 36, v[14:15]
	v_lshl_add_u64 v[70:71], v[42:43], 0, v[24:25]
	global_load_dword v70, v[70:71], off offset:4
	v_mov_b32_e32 v71, 0
	v_add_u32_e32 v73, 32, v73
	s_waitcnt vmcnt(0)
	v_dot4c_i32_i8_e32 v71, v64, v70
	v_dot4c_i32_i8_e32 v78, v65, v70
	v_lshl_add_u64 v[64:65], v[42:43], 0, 36
	v_lshl_add_u64 v[64:65], v[64:65], 0, v[24:25]
	global_load_dword v64, v[64:65], off offset:4
	v_dot4c_i32_i8_e32 v79, v66, v70
	v_mov_b32_e32 v66, 0
	v_dot4c_i32_i8_e32 v66, v67, v70
	v_mov_b32_e32 v67, 0
	v_mov_b32_e32 v70, 0
	v_mul_lo_u32 v60, v60, v78
	v_cvt_f32_i32_e32 v65, v66
	global_load_dword v66, v[42:43], off
	s_waitcnt vmcnt(1)
	v_dot4c_i32_i8_e32 v67, v69, v64
	v_mov_b32_e32 v69, 0
	v_dot4c_i32_i8_e32 v69, v68, v64
	v_mov_b32_e32 v68, 0
	v_dot4c_i32_i8_e32 v68, v76, v64
	v_dot4c_i32_i8_e32 v70, v77, v64
	v_mul_lo_u32 v64, v61, v71
	v_cvt_f32_i32_e32 v61, v60
	v_cvt_f32_i32_e32 v60, v64
	v_cvt_f32_i32_e32 v64, v79
	s_waitcnt vmcnt(0)
	v_cvt_f32_f16_e32 v66, v66
	v_mul_lo_u32 v62, v62, v69
	global_load_ubyte v69, v[34:35], off offset:4
	v_pk_fma_f32 v[60:61], v[66:67], v[60:61], 0 op_sel_hi:[0,1,0]
	v_pk_fma_f32 v[64:65], v[66:67], v[64:65], 0 op_sel_hi:[0,1,0]
	v_mul_lo_u32 v66, v63, v67
	v_cvt_f32_i32_e32 v63, v62
	v_cvt_f32_i32_e32 v62, v66
	global_load_dword v66, v[42:43], off offset:36
	s_waitcnt vmcnt(1)
	v_and_b32_e32 v79, 15, v69
	s_waitcnt vmcnt(0)
	v_cvt_f32_f16_e32 v66, v66
	v_pk_fma_f32 v[60:61], v[66:67], v[62:63], v[60:61] op_sel_hi:[0,1,1]
	v_cvt_f32_i32_e32 v63, v70
	v_cvt_f32_i32_e32 v62, v68
	global_load_dword v68, v[16:17], off offset:72
	v_pk_fma_f32 v[62:63], v[66:67], v[62:63], v[64:65] op_sel_hi:[0,1,1]
	global_load_dword v66, v[30:31], off offset:76
	global_load_ubyte v67, v[32:33], off offset:4
	v_lshrrev_b32_e32 v64, 4, v74
	v_and_b32_e32 v76, 0x3030303, v64
	v_lshrrev_b32_e32 v64, 4, v75
	v_and_b32_e32 v77, 0x3030303, v64
	v_mov_b32_e32 v64, 0
	v_mov_b32_e32 v65, 0
	s_waitcnt vmcnt(2)
	v_cvt_f32_f16_e32 v68, v68
	s_waitcnt vmcnt(1)
	v_dot4c_i32_i8_e32 v64, v76, v66
	v_dot4c_i32_i8_e32 v65, v77, v66
	s_waitcnt vmcnt(0)
	v_and_b32_e32 v78, 15, v67
	v_mul_lo_u32 v64, v78, v64
	v_cvt_f32_i32_e32 v64, v64
	v_mul_lo_u32 v65, v79, v65
	v_cvt_f32_i32_e32 v65, v65
	v_pk_fma_f32 v[64:65], v[68:69], v[64:65], v[40:41] op_sel_hi:[0,1,1]
	v_lshrrev_b32_e32 v40, 4, v67
	v_lshrrev_b32_e32 v41, 4, v69
	v_mul_lo_u32 v80, v40, s26
	v_mul_lo_u32 v81, v41, s26
	v_mov_b32_e32 v40, 0
	v_mov_b32_e32 v41, 0
	v_dot4c_i32_i8_e32 v40, v80, v66
	v_dot4c_i32_i8_e32 v41, v81, v66
	s_nop 1
	v_cvt_f32_i32_e32 v40, v40
	v_cvt_f32_i32_e32 v41, v41
	v_pk_fma_f32 v[66:67], v[68:69], v[40:41], v[46:47] op_sel_hi:[0,1,1]
	v_lshl_add_u64 v[40:41], v[36:37], 0, s[16:17]
	v_lshl_add_u64 v[40:41], v[40:41], 0, v[24:25]
	global_load_dword v47, v[40:41], off offset:4
	global_load_dword v46, v[36:37], off offset:72
	v_mov_b32_e32 v40, 0
	v_mov_b32_e32 v41, 0
	s_waitcnt vmcnt(1)
	v_dot4c_i32_i8_e32 v40, v76, v47
	v_dot4c_i32_i8_e32 v41, v77, v47
	s_nop 1
	v_mul_lo_u32 v40, v78, v40
	v_cvt_f32_i32_e32 v40, v40
	s_waitcnt vmcnt(0)
	v_cvt_f32_f16_e32 v46, v46
	v_mul_lo_u32 v41, v79, v41
	v_cvt_f32_i32_e32 v41, v41
	v_pk_fma_f32 v[68:69], v[46:47], v[40:41], v[48:49] op_sel_hi:[0,1,1]
	v_mov_b32_e32 v40, 0
	v_mov_b32_e32 v41, 0
	v_dot4c_i32_i8_e32 v40, v80, v47
	v_dot4c_i32_i8_e32 v41, v81, v47
	v_mov_b32_e32 v48, 0
	v_mov_b32_e32 v49, 0
	v_cvt_f32_i32_e32 v40, v40
	v_cvt_f32_i32_e32 v41, v41
	v_pk_fma_f32 v[50:51], v[46:47], v[40:41], v[50:51] op_sel_hi:[0,1,1]
	v_lshl_add_u64 v[40:41], v[44:45], 0, s[16:17]
	v_lshl_add_u64 v[40:41], v[40:41], 0, v[24:25]
	global_load_dword v47, v[40:41], off offset:4
	global_load_dword v46, v[44:45], off offset:72
	v_mov_b32_e32 v40, 0
	v_mov_b32_e32 v41, 0
	s_waitcnt vmcnt(1)
	v_dot4c_i32_i8_e32 v40, v76, v47
	v_dot4c_i32_i8_e32 v41, v77, v47
	s_nop 1
	v_mul_lo_u32 v40, v78, v40
	v_cvt_f32_i32_e32 v40, v40
	s_waitcnt vmcnt(0)
	v_cvt_f32_f16_e32 v46, v46
	v_mul_lo_u32 v41, v79, v41
	v_cvt_f32_i32_e32 v41, v41
	v_pk_fma_f32 v[70:71], v[46:47], v[40:41], v[52:53] op_sel_hi:[0,1,1]
	v_mov_b32_e32 v40, 0
	v_mov_b32_e32 v41, 0
	v_dot4c_i32_i8_e32 v40, v80, v47
	v_dot4c_i32_i8_e32 v41, v81, v47
	s_nop 1
	v_cvt_f32_i32_e32 v40, v40
	v_cvt_f32_i32_e32 v41, v41
	v_pk_fma_f32 v[54:55], v[46:47], v[40:41], v[54:55] op_sel_hi:[0,1,1]
	v_lshl_add_u64 v[40:41], v[38:39], 0, s[16:17]
	v_lshl_add_u64 v[40:41], v[40:41], 0, v[24:25]
	global_load_dword v47, v[40:41], off offset:4
	global_load_dword v46, v[38:39], off offset:72
	v_mov_b32_e32 v40, 0
	v_mov_b32_e32 v41, 0
	s_waitcnt vmcnt(1)
	v_dot4c_i32_i8_e32 v40, v76, v47
	v_dot4c_i32_i8_e32 v41, v77, v47
	s_nop 1
	v_mul_lo_u32 v40, v78, v40
	v_cvt_f32_i32_e32 v40, v40
	s_waitcnt vmcnt(0)
	v_cvt_f32_f16_e32 v46, v46
	v_mul_lo_u32 v41, v79, v41
	v_cvt_f32_i32_e32 v41, v41
	v_pk_fma_f32 v[52:53], v[46:47], v[40:41], v[56:57] op_sel_hi:[0,1,1]
	v_mov_b32_e32 v40, 0
	v_mov_b32_e32 v41, 0
	v_dot4c_i32_i8_e32 v40, v80, v47
	v_dot4c_i32_i8_e32 v41, v81, v47
	v_mov_b32_e32 v56, 0
	s_nop 0
	v_cvt_f32_i32_e32 v40, v40
	v_cvt_f32_i32_e32 v41, v41
	v_pk_fma_f32 v[40:41], v[46:47], v[40:41], v[58:59] op_sel_hi:[0,1,1]
	v_lshl_add_u64 v[46:47], v[42:43], 0, s[16:17]
	v_lshl_add_u64 v[46:47], v[46:47], 0, v[24:25]
	global_load_dword v46, v[46:47], off offset:4
	v_mov_b32_e32 v47, 0
	s_waitcnt vmcnt(0)
	v_dot4c_i32_i8_e32 v47, v76, v46
	v_dot4c_i32_i8_e32 v48, v77, v46
	;; [unrolled: 1-line block ×4, first 2 shown]
	v_mul_lo_u32 v46, v78, v47
	v_mul_lo_u32 v47, v79, v48
	global_load_dword v48, v[42:43], off offset:72
	v_cvt_f32_i32_e32 v47, v47
	v_cvt_f32_i32_e32 v46, v46
	;; [unrolled: 1-line block ×4, first 2 shown]
	s_waitcnt vmcnt(0)
	v_cvt_f32_f16_e32 v48, v48
	v_pk_fma_f32 v[46:47], v[48:49], v[46:47], v[60:61] op_sel_hi:[0,1,1]
	global_load_dword v58, v[30:31], off offset:112
	global_load_ubyte v59, v[32:33], off offset:6
	global_load_ubyte v60, v[34:35], off offset:6
	v_lshrrev_b32_e32 v30, 6, v74
	global_load_dword v32, v[16:17], off offset:108
	v_lshrrev_b32_e32 v31, 6, v75
	v_pk_fma_f32 v[48:49], v[48:49], v[56:57], v[62:63] op_sel_hi:[0,1,1]
	v_and_b32_e32 v61, 0x3030303, v30
	v_and_b32_e32 v62, 0x3030303, v31
	v_mov_b32_e32 v30, 0
	v_mov_b32_e32 v31, 0
	v_lshl_add_u64 v[16:17], v[16:17], 0, s[22:23]
	s_waitcnt vmcnt(3)
	v_dot4c_i32_i8_e32 v30, v61, v58
	v_dot4c_i32_i8_e32 v31, v62, v58
	s_waitcnt vmcnt(2)
	v_and_b32_e32 v57, 15, v59
	s_waitcnt vmcnt(1)
	v_and_b32_e32 v56, 15, v60
	v_mul_lo_u32 v30, v57, v30
	v_mul_lo_u32 v31, v56, v31
	v_cvt_f32_i32_e32 v31, v31
	v_cvt_f32_i32_e32 v30, v30
	s_waitcnt vmcnt(0)
	v_cvt_f32_f16_e32 v32, v32
	v_lshrrev_b32_e32 v34, 4, v60
	v_mul_lo_u32 v63, v34, s26
	v_mov_b32_e32 v34, 0
	v_pk_fma_f32 v[30:31], v[32:33], v[30:31], v[64:65] op_sel_hi:[0,1,1]
	v_lshrrev_b32_e32 v33, 4, v59
	v_mul_lo_u32 v60, v33, s26
	v_mov_b32_e32 v33, 0
	v_dot4c_i32_i8_e32 v33, v60, v58
	v_dot4c_i32_i8_e32 v34, v63, v58
	global_load_dword v58, v[36:37], off offset:108
	v_mov_b32_e32 v59, 0
	v_mov_b32_e32 v65, 0
	v_cvt_f32_i32_e32 v35, v34
	v_cvt_f32_i32_e32 v34, v33
	v_pk_fma_f32 v[32:33], v[32:33], v[34:35], v[66:67] op_sel_hi:[0,1,1]
	v_lshl_add_u64 v[34:35], v[36:37], 0, s[20:21]
	v_lshl_add_u64 v[34:35], v[34:35], 0, v[24:25]
	global_load_dword v37, v[34:35], off offset:4
	v_mov_b32_e32 v34, 0
	v_mov_b32_e32 v35, 0
	;; [unrolled: 1-line block ×4, first 2 shown]
	s_waitcnt vmcnt(1)
	v_cvt_f32_f16_e32 v36, v58
	v_mov_b32_e32 v58, 0
	s_waitcnt vmcnt(0)
	v_dot4c_i32_i8_e32 v34, v61, v37
	v_dot4c_i32_i8_e32 v35, v62, v37
	s_nop 1
	v_mul_lo_u32 v34, v57, v34
	v_dot4c_i32_i8_e32 v58, v60, v37
	v_dot4c_i32_i8_e32 v59, v63, v37
	v_mul_lo_u32 v35, v56, v35
	v_cvt_f32_i32_e32 v35, v35
	v_cvt_f32_i32_e32 v34, v34
	;; [unrolled: 1-line block ×4, first 2 shown]
	v_pk_fma_f32 v[34:35], v[36:37], v[34:35], v[68:69] op_sel_hi:[0,1,1]
	v_mov_b32_e32 v68, 0
	v_pk_fma_f32 v[36:37], v[36:37], v[58:59], v[50:51] op_sel_hi:[0,1,1]
	global_load_dword v50, v[44:45], off offset:108
	v_lshl_add_u64 v[44:45], v[44:45], 0, s[20:21]
	v_lshl_add_u64 v[44:45], v[44:45], 0, v[24:25]
	global_load_dword v51, v[44:45], off offset:4
	v_mov_b32_e32 v44, 0
	v_mov_b32_e32 v45, 0
	;; [unrolled: 1-line block ×4, first 2 shown]
	s_waitcnt vmcnt(1)
	v_cvt_f32_f16_e32 v50, v50
	s_waitcnt vmcnt(0)
	v_dot4c_i32_i8_e32 v44, v61, v51
	v_dot4c_i32_i8_e32 v45, v62, v51
	s_nop 1
	v_mul_lo_u32 v44, v57, v44
	v_dot4c_i32_i8_e32 v58, v60, v51
	v_dot4c_i32_i8_e32 v59, v63, v51
	v_mul_lo_u32 v45, v56, v45
	v_cvt_f32_i32_e32 v45, v45
	v_cvt_f32_i32_e32 v44, v44
	;; [unrolled: 1-line block ×4, first 2 shown]
	v_pk_fma_f32 v[44:45], v[50:51], v[44:45], v[70:71] op_sel_hi:[0,1,1]
	v_pk_fma_f32 v[50:51], v[50:51], v[58:59], v[54:55] op_sel_hi:[0,1,1]
	v_lshl_add_u64 v[54:55], v[38:39], 0, s[20:21]
	v_lshl_add_u64 v[54:55], v[54:55], 0, v[24:25]
	global_load_dword v58, v[54:55], off offset:4
	v_lshl_add_u64 v[54:55], v[42:43], 0, s[20:21]
	v_lshl_add_u64 v[54:55], v[54:55], 0, v[24:25]
	global_load_dword v64, v[54:55], off offset:4
	v_mov_b32_e32 v59, 0
	v_mov_b32_e32 v54, 0
	;; [unrolled: 1-line block ×3, first 2 shown]
	s_waitcnt vmcnt(1)
	v_dot4c_i32_i8_e32 v65, v61, v58
	v_dot4c_i32_i8_e32 v66, v62, v58
	;; [unrolled: 1-line block ×4, first 2 shown]
	v_mov_b32_e32 v58, 0
	s_waitcnt vmcnt(0)
	v_dot4c_i32_i8_e32 v59, v61, v64
	v_dot4c_i32_i8_e32 v54, v62, v64
	;; [unrolled: 1-line block ×4, first 2 shown]
	global_load_dword v60, v[38:39], off offset:108
	global_load_dword v61, v[28:29], off offset:80
	;; [unrolled: 1-line block ×4, first 2 shown]
	v_mul_lo_u32 v26, v57, v65
	v_mul_lo_u32 v27, v56, v66
	v_cvt_f32_i32_e32 v27, v27
	v_cvt_f32_i32_e32 v26, v26
	v_mul_lo_u32 v54, v56, v54
	v_cvt_f32_i32_e32 v56, v55
	v_cvt_f32_i32_e32 v55, v54
	s_waitcnt vmcnt(3)
	v_cvt_f32_f16_e32 v42, v60
	s_waitcnt vmcnt(2)
	v_cvt_f32_f16_sdwa v39, v61 dst_sel:DWORD dst_unused:UNUSED_PAD src0_sel:WORD_1
	s_waitcnt vmcnt(1)
	v_cvt_f32_f16_e32 v60, v62
	s_waitcnt vmcnt(0)
	v_cvt_f32_f16_sdwa v38, v63 dst_sel:DWORD dst_unused:UNUSED_PAD src0_sel:WORD_1
	v_pk_fma_f32 v[26:27], v[42:43], v[26:27], v[52:53] op_sel_hi:[0,1,1]
	v_mul_lo_u32 v43, v57, v59
	v_cvt_f32_i32_e32 v53, v68
	v_cvt_f32_i32_e32 v52, v67
	;; [unrolled: 1-line block ×4, first 2 shown]
	v_cvt_f32_f16_e32 v29, v61
	v_cvt_f32_f16_e32 v28, v63
	v_pk_fma_f32 v[40:41], v[42:43], v[52:53], v[40:41] op_sel_hi:[0,1,1]
	v_pk_fma_f32 v[42:43], v[60:61], v[54:55], v[46:47] op_sel_hi:[0,1,1]
	v_pk_fma_f32 v[46:47], v[60:61], v[56:57], v[48:49] op_sel_hi:[0,1,1]
	v_pk_mul_f32 v[32:33], v[32:33], v[38:39]
	v_pk_mul_f32 v[36:37], v[36:37], v[38:39]
	;; [unrolled: 1-line block ×5, first 2 shown]
	v_pk_fma_f32 v[30:31], v[30:31], v[28:29], v[32:33] neg_lo:[0,0,1] neg_hi:[0,0,1]
	v_pk_fma_f32 v[32:33], v[34:35], v[28:29], v[36:37] neg_lo:[0,0,1] neg_hi:[0,0,1]
	v_pk_fma_f32 v[34:35], v[44:45], v[28:29], v[48:49] neg_lo:[0,0,1] neg_hi:[0,0,1]
	v_pk_fma_f32 v[26:27], v[26:27], v[28:29], v[40:41] neg_lo:[0,0,1] neg_hi:[0,0,1]
	v_pk_fma_f32 v[28:29], v[42:43], v[28:29], v[38:39] neg_lo:[0,0,1] neg_hi:[0,0,1]
	v_pk_add_f32 v[4:5], v[4:5], v[30:31]
	v_pk_add_f32 v[6:7], v[6:7], v[32:33]
	;; [unrolled: 1-line block ×5, first 2 shown]
	s_andn2_b64 exec, exec, s[12:13]
	s_cbranch_execnz .LBB104_2
; %bb.3:
	s_or_b64 exec, exec, s[12:13]
	scratch_store_dwordx4 off, v[4:7], off
	scratch_store_dwordx4 off, v[0:3], off offset:16
	scratch_store_dwordx2 off, v[22:23], off offset:32
.LBB104_4:
	s_or_b64 exec, exec, s[6:7]
	s_mov_b32 s5, 0
	v_cmp_eq_u32_e32 vcc, 0, v9
	s_waitcnt lgkmcnt(0)
	; wave barrier
	s_and_saveexec_b64 s[6:7], vcc
	s_cbranch_execz .LBB104_15
; %bb.5:
	scratch_load_dwordx2 v[2:3], off, off
	v_mbcnt_lo_u32_b32 v0, -1, 0
	v_mbcnt_hi_u32_b32 v9, -1, v0
	s_load_dwordx2 s[6:7], s[0:1], 0x38
	s_mul_i32 s0, s3, s14
	v_or_b32_e32 v1, s2, v8
	v_and_b32_e32 v0, 64, v9
	s_mul_i32 s4, s4, s18
	s_add_i32 s2, s0, s2
	v_cmp_gt_u32_e64 s[0:1], s10, v1
	v_xor_b32_e32 v1, 32, v9
	v_add_u32_e32 v14, 64, v0
	s_add_i32 s4, s2, s4
	v_cmp_lt_i32_e64 s[2:3], v1, v14
	v_cmp_gt_u32_e32 vcc, 2, v8
	s_nop 0
	v_cndmask_b32_e64 v0, v9, v1, s[2:3]
	v_lshlrev_b32_e32 v0, 2, v0
	v_xor_b32_e32 v1, 16, v9
	v_cmp_lt_i32_e64 s[2:3], v1, v14
	s_waitcnt vmcnt(0)
	ds_bpermute_b32 v4, v0, v2
	ds_bpermute_b32 v5, v0, v3
	v_cndmask_b32_e64 v1, v9, v1, s[2:3]
	v_lshlrev_b32_e32 v1, 2, v1
	s_waitcnt lgkmcnt(0)
	v_pk_add_f32 v[4:5], v[2:3], v[4:5]
	ds_bpermute_b32 v6, v1, v4
	ds_bpermute_b32 v7, v1, v5
	v_xor_b32_e32 v2, 8, v9
	v_cmp_lt_i32_e64 s[2:3], v2, v14
	v_xor_b32_e32 v3, 4, v9
	s_waitcnt lgkmcnt(0)
	v_pk_add_f32 v[4:5], v[4:5], v[6:7]
	v_cndmask_b32_e64 v2, v9, v2, s[2:3]
	v_lshlrev_b32_e32 v2, 2, v2
	ds_bpermute_b32 v6, v2, v4
	ds_bpermute_b32 v7, v2, v5
	v_cmp_lt_i32_e64 s[2:3], v3, v14
	s_waitcnt lgkmcnt(0)
	v_pk_add_f32 v[6:7], v[4:5], v[6:7]
	v_cndmask_b32_e64 v3, v9, v3, s[2:3]
	v_lshlrev_b32_e32 v3, 2, v3
	ds_bpermute_b32 v10, v3, v6
	ds_bpermute_b32 v11, v3, v7
	v_xor_b32_e32 v4, 2, v9
	v_cmp_lt_i32_e64 s[2:3], v4, v14
	v_xor_b32_e32 v5, 1, v9
	s_waitcnt lgkmcnt(0)
	v_pk_add_f32 v[10:11], v[6:7], v[10:11]
	v_cndmask_b32_e64 v4, v9, v4, s[2:3]
	v_lshlrev_b32_e32 v4, 2, v4
	ds_bpermute_b32 v12, v4, v10
	ds_bpermute_b32 v13, v4, v11
	v_cmp_lt_i32_e64 s[2:3], v5, v14
	s_waitcnt lgkmcnt(0)
	v_pk_add_f32 v[10:11], v[10:11], v[12:13]
	v_cndmask_b32_e64 v5, v9, v5, s[2:3]
	v_lshlrev_b32_e32 v6, 2, v5
	ds_bpermute_b32 v12, v6, v10
	ds_bpermute_b32 v13, v6, v11
	s_lshl_b64 s[2:3], s[4:5], 2
	s_add_u32 s2, s6, s2
	s_addc_u32 s3, s7, s3
	s_and_b64 s[0:1], vcc, s[0:1]
	s_waitcnt lgkmcnt(0)
	v_pk_add_f32 v[10:11], v[10:11], v[12:13]
	v_lshlrev_b32_e32 v5, 2, v8
	scratch_store_dwordx2 off, v[10:11], off
	s_and_saveexec_b64 s[4:5], s[0:1]
	s_cbranch_execz .LBB104_7
; %bb.6:
	scratch_load_dword v7, v5, off
	s_waitcnt vmcnt(0)
	global_store_dword v5, v7, s[2:3]
.LBB104_7:
	s_or_b64 exec, exec, s[4:5]
	scratch_load_dwordx2 v[10:11], off, off offset:8
	s_waitcnt vmcnt(0)
	ds_bpermute_b32 v12, v0, v10
	ds_bpermute_b32 v13, v0, v11
	s_waitcnt lgkmcnt(0)
	v_pk_add_f32 v[10:11], v[10:11], v[12:13]
	ds_bpermute_b32 v12, v1, v10
	ds_bpermute_b32 v13, v1, v11
	s_waitcnt lgkmcnt(0)
	v_pk_add_f32 v[10:11], v[10:11], v[12:13]
	;; [unrolled: 4-line block ×6, first 2 shown]
	scratch_store_dwordx2 off, v[10:11], off offset:8
	s_and_saveexec_b64 s[4:5], s[0:1]
	s_cbranch_execz .LBB104_9
; %bb.8:
	scratch_load_dword v7, v5, off offset:8
	v_add_u32_e32 v10, s10, v8
	v_mov_b32_e32 v11, 0
	v_lshl_add_u64 v[10:11], v[10:11], 2, s[2:3]
	s_waitcnt vmcnt(0)
	global_store_dword v[10:11], v7, off
.LBB104_9:
	s_or_b64 exec, exec, s[4:5]
	scratch_load_dwordx2 v[10:11], off, off offset:16
	s_waitcnt vmcnt(0)
	ds_bpermute_b32 v12, v0, v10
	ds_bpermute_b32 v13, v0, v11
	s_waitcnt lgkmcnt(0)
	v_pk_add_f32 v[10:11], v[10:11], v[12:13]
	ds_bpermute_b32 v12, v1, v10
	ds_bpermute_b32 v13, v1, v11
	s_waitcnt lgkmcnt(0)
	v_pk_add_f32 v[10:11], v[10:11], v[12:13]
	;; [unrolled: 4-line block ×6, first 2 shown]
	scratch_store_dwordx2 off, v[10:11], off offset:16
	s_and_saveexec_b64 s[4:5], s[0:1]
	s_cbranch_execz .LBB104_11
; %bb.10:
	scratch_load_dword v7, v5, off offset:16
	v_lshl_or_b32 v10, s10, 1, v8
	v_mov_b32_e32 v11, 0
	v_lshl_add_u64 v[10:11], v[10:11], 2, s[2:3]
	s_waitcnt vmcnt(0)
	global_store_dword v[10:11], v7, off
.LBB104_11:
	s_or_b64 exec, exec, s[4:5]
	scratch_load_dwordx2 v[10:11], off, off offset:24
	s_waitcnt vmcnt(0)
	ds_bpermute_b32 v12, v0, v10
	ds_bpermute_b32 v13, v0, v11
	s_waitcnt lgkmcnt(0)
	v_pk_add_f32 v[10:11], v[10:11], v[12:13]
	ds_bpermute_b32 v12, v1, v10
	ds_bpermute_b32 v13, v1, v11
	s_waitcnt lgkmcnt(0)
	v_pk_add_f32 v[10:11], v[10:11], v[12:13]
	;; [unrolled: 4-line block ×6, first 2 shown]
	scratch_store_dwordx2 off, v[10:11], off offset:24
	s_and_saveexec_b64 s[4:5], s[0:1]
	s_cbranch_execz .LBB104_13
; %bb.12:
	scratch_load_dword v7, v5, off offset:24
	v_mad_u64_u32 v[10:11], s[6:7], s10, 3, v[8:9]
	v_mov_b32_e32 v11, 0
	v_lshl_add_u64 v[10:11], v[10:11], 2, s[2:3]
	s_waitcnt vmcnt(0)
	global_store_dword v[10:11], v7, off
.LBB104_13:
	s_or_b64 exec, exec, s[4:5]
	scratch_load_dwordx2 v[10:11], off, off offset:32
	s_waitcnt vmcnt(0)
	ds_bpermute_b32 v12, v0, v10
	ds_bpermute_b32 v13, v0, v11
	s_waitcnt lgkmcnt(0)
	v_pk_add_f32 v[10:11], v[10:11], v[12:13]
	ds_bpermute_b32 v0, v1, v10
	ds_bpermute_b32 v1, v1, v11
	s_waitcnt lgkmcnt(0)
	v_pk_add_f32 v[0:1], v[10:11], v[0:1]
	;; [unrolled: 4-line block ×6, first 2 shown]
	scratch_store_dwordx2 off, v[0:1], off offset:32
	s_and_b64 exec, exec, s[0:1]
	s_cbranch_execz .LBB104_15
; %bb.14:
	scratch_load_dword v2, v5, off offset:32
	v_lshl_or_b32 v0, s10, 2, v8
	v_mov_b32_e32 v1, 0
	v_lshl_add_u64 v[0:1], v[0:1], 2, s[2:3]
	s_waitcnt vmcnt(0)
	global_store_dword v[0:1], v2, off
.LBB104_15:
	s_endpgm
	.section	.rodata,"a",@progbits
	.p2align	6, 0x0
	.amdhsa_kernel _ZL13mul_mat_vec_qIL9ggml_type10ELi5ELb0ELb0EEvPKvS2_PKi31ggml_cuda_mm_fusion_args_devicePfj15HIP_vector_typeIjLj3EEjjjS8_jjjS8_jjjj
		.amdhsa_group_segment_fixed_size 0
		.amdhsa_private_segment_fixed_size 48
		.amdhsa_kernarg_size 144
		.amdhsa_user_sgpr_count 2
		.amdhsa_user_sgpr_dispatch_ptr 0
		.amdhsa_user_sgpr_queue_ptr 0
		.amdhsa_user_sgpr_kernarg_segment_ptr 1
		.amdhsa_user_sgpr_dispatch_id 0
		.amdhsa_user_sgpr_kernarg_preload_length 0
		.amdhsa_user_sgpr_kernarg_preload_offset 0
		.amdhsa_user_sgpr_private_segment_size 0
		.amdhsa_uses_dynamic_stack 0
		.amdhsa_enable_private_segment 1
		.amdhsa_system_sgpr_workgroup_id_x 1
		.amdhsa_system_sgpr_workgroup_id_y 1
		.amdhsa_system_sgpr_workgroup_id_z 1
		.amdhsa_system_sgpr_workgroup_info 0
		.amdhsa_system_vgpr_workitem_id 1
		.amdhsa_next_free_vgpr 82
		.amdhsa_next_free_sgpr 30
		.amdhsa_accum_offset 84
		.amdhsa_reserve_vcc 1
		.amdhsa_float_round_mode_32 0
		.amdhsa_float_round_mode_16_64 0
		.amdhsa_float_denorm_mode_32 3
		.amdhsa_float_denorm_mode_16_64 3
		.amdhsa_dx10_clamp 1
		.amdhsa_ieee_mode 1
		.amdhsa_fp16_overflow 0
		.amdhsa_tg_split 0
		.amdhsa_exception_fp_ieee_invalid_op 0
		.amdhsa_exception_fp_denorm_src 0
		.amdhsa_exception_fp_ieee_div_zero 0
		.amdhsa_exception_fp_ieee_overflow 0
		.amdhsa_exception_fp_ieee_underflow 0
		.amdhsa_exception_fp_ieee_inexact 0
		.amdhsa_exception_int_div_zero 0
	.end_amdhsa_kernel
	.section	.text._ZL13mul_mat_vec_qIL9ggml_type10ELi5ELb0ELb0EEvPKvS2_PKi31ggml_cuda_mm_fusion_args_devicePfj15HIP_vector_typeIjLj3EEjjjS8_jjjS8_jjjj,"axG",@progbits,_ZL13mul_mat_vec_qIL9ggml_type10ELi5ELb0ELb0EEvPKvS2_PKi31ggml_cuda_mm_fusion_args_devicePfj15HIP_vector_typeIjLj3EEjjjS8_jjjS8_jjjj,comdat
.Lfunc_end104:
	.size	_ZL13mul_mat_vec_qIL9ggml_type10ELi5ELb0ELb0EEvPKvS2_PKi31ggml_cuda_mm_fusion_args_devicePfj15HIP_vector_typeIjLj3EEjjjS8_jjjS8_jjjj, .Lfunc_end104-_ZL13mul_mat_vec_qIL9ggml_type10ELi5ELb0ELb0EEvPKvS2_PKi31ggml_cuda_mm_fusion_args_devicePfj15HIP_vector_typeIjLj3EEjjjS8_jjjS8_jjjj
                                        ; -- End function
	.section	.AMDGPU.csdata,"",@progbits
; Kernel info:
; codeLenInByte = 5020
; NumSgprs: 36
; NumVgprs: 82
; NumAgprs: 0
; TotalNumVgprs: 82
; ScratchSize: 48
; MemoryBound: 0
; FloatMode: 240
; IeeeMode: 1
; LDSByteSize: 0 bytes/workgroup (compile time only)
; SGPRBlocks: 4
; VGPRBlocks: 10
; NumSGPRsForWavesPerEU: 36
; NumVGPRsForWavesPerEU: 82
; AccumOffset: 84
; Occupancy: 5
; WaveLimiterHint : 0
; COMPUTE_PGM_RSRC2:SCRATCH_EN: 1
; COMPUTE_PGM_RSRC2:USER_SGPR: 2
; COMPUTE_PGM_RSRC2:TRAP_HANDLER: 0
; COMPUTE_PGM_RSRC2:TGID_X_EN: 1
; COMPUTE_PGM_RSRC2:TGID_Y_EN: 1
; COMPUTE_PGM_RSRC2:TGID_Z_EN: 1
; COMPUTE_PGM_RSRC2:TIDIG_COMP_CNT: 1
; COMPUTE_PGM_RSRC3_GFX90A:ACCUM_OFFSET: 20
; COMPUTE_PGM_RSRC3_GFX90A:TG_SPLIT: 0
	.section	.text._ZL13mul_mat_vec_qIL9ggml_type10ELi6ELb0ELb0EEvPKvS2_PKi31ggml_cuda_mm_fusion_args_devicePfj15HIP_vector_typeIjLj3EEjjjS8_jjjS8_jjjj,"axG",@progbits,_ZL13mul_mat_vec_qIL9ggml_type10ELi6ELb0ELb0EEvPKvS2_PKi31ggml_cuda_mm_fusion_args_devicePfj15HIP_vector_typeIjLj3EEjjjS8_jjjS8_jjjj,comdat
	.globl	_ZL13mul_mat_vec_qIL9ggml_type10ELi6ELb0ELb0EEvPKvS2_PKi31ggml_cuda_mm_fusion_args_devicePfj15HIP_vector_typeIjLj3EEjjjS8_jjjS8_jjjj ; -- Begin function _ZL13mul_mat_vec_qIL9ggml_type10ELi6ELb0ELb0EEvPKvS2_PKi31ggml_cuda_mm_fusion_args_devicePfj15HIP_vector_typeIjLj3EEjjjS8_jjjS8_jjjj
	.p2align	8
	.type	_ZL13mul_mat_vec_qIL9ggml_type10ELi6ELb0ELb0EEvPKvS2_PKi31ggml_cuda_mm_fusion_args_devicePfj15HIP_vector_typeIjLj3EEjjjS8_jjjS8_jjjj,@function
_ZL13mul_mat_vec_qIL9ggml_type10ELi6ELb0ELb0EEvPKvS2_PKi31ggml_cuda_mm_fusion_args_devicePfj15HIP_vector_typeIjLj3EEjjjS8_jjjS8_jjjj: ; @_ZL13mul_mat_vec_qIL9ggml_type10ELi6ELb0ELb0EEvPKvS2_PKi31ggml_cuda_mm_fusion_args_devicePfj15HIP_vector_typeIjLj3EEjjjS8_jjjS8_jjjj
; %bb.0:
	v_bfe_u32 v13, v0, 10, 10
	v_and_b32_e32 v12, 0x3ff, v0
	s_mov_b32 s20, 0
	s_load_dword s5, s[0:1], 0x40
	s_load_dwordx4 s[8:11], s[0:1], 0x50
	s_load_dword s25, s[0:1], 0x60
	s_load_dwordx4 s[12:15], s[0:1], 0x68
	;; [unrolled: 2-line block ×3, first 2 shown]
	v_lshl_or_b32 v4, v13, 6, v12
	s_mov_b32 s21, s20
	s_waitcnt lgkmcnt(0)
	s_lshr_b32 s5, s5, 8
	s_mov_b32 s22, s20
	s_mov_b32 s23, s20
	v_mov_b64_e32 v[0:1], s[20:21]
	v_lshrrev_b32_e32 v33, 4, v4
	s_lshl_b32 s2, s2, 1
	v_mov_b64_e32 v[2:3], s[22:23]
	v_cmp_gt_u32_e32 vcc, s5, v33
	scratch_store_dwordx4 off, v[0:3], off offset:32
	scratch_store_dwordx4 off, v[0:3], off offset:16
	scratch_store_dwordx4 off, v[0:3], off
	s_and_saveexec_b64 s[6:7], vcc
	s_cbranch_execz .LBB105_4
; %bb.1:
	s_load_dwordx4 s[20:23], s[0:1], 0x0
	s_mul_i32 s17, s4, s17
	s_mul_hi_u32 s19, s17, 36
	s_mul_i32 s17, s17, 36
	s_mul_i32 s13, s3, s13
	s_waitcnt lgkmcnt(0)
	s_add_u32 s17, s22, s17
	s_addc_u32 s19, s23, s19
	s_mul_hi_u32 s23, s13, 36
	s_mul_i32 s13, s13, 36
	s_add_u32 s22, s17, s13
	s_mul_hi_u32 s11, s11, s3
	s_addc_u32 s23, s19, s23
	s_add_i32 s11, s3, s11
	s_lshr_b32 s11, s11, s25
	s_mul_i32 s11, s11, s12
	s_mul_hi_u32 s12, s15, s4
	s_add_i32 s12, s4, s12
	v_and_b32_e32 v0, 15, v12
	v_lshrrev_b32_e32 v1, 1, v12
	v_and_b32_e32 v2, 7, v12
	s_lshr_b32 s12, s12, s24
	v_and_b32_e32 v1, 4, v1
	v_sub_u32_e32 v3, v0, v2
	v_bfe_u32 v4, v12, 2, 1
	s_mul_i32 s15, s12, s16
	v_add_u32_e32 v16, v3, v4
	v_mad_u64_u32 v[18:19], s[12:13], v1, 36, s[22:23]
	v_lshl_add_u32 v1, v13, 6, v12
	v_bfe_u32 v3, v12, 3, 1
	v_lshrrev_b32_e32 v1, 4, v1
	v_mul_hi_u32_u24_e32 v5, 0x90, v3
	v_mul_u32_u24_e32 v4, 0x90, v3
	s_movk_i32 s12, 0x120
	v_mad_u64_u32 v[4:5], s[12:13], v1, s12, v[4:5]
	s_add_i32 s12, s2, 1
	v_mov_b32_e32 v15, 0
	s_mul_i32 s16, s2, s8
	s_add_i32 s15, s15, s11
	s_mul_i32 s8, s8, s12
	v_ashrrev_i32_e32 v17, 31, v16
	s_add_i32 s11, s15, s16
	v_lshlrev_b32_e32 v14, 2, v2
	v_lshl_add_u64 v[20:21], s[22:23], 0, v[4:5]
	s_add_i32 s8, s15, s8
	s_lshl_b32 s15, s9, 1
	v_lshlrev_b32_e32 v40, 3, v33
	s_mul_i32 s19, s9, 3
	s_lshl_b32 s24, s9, 2
	s_mul_i32 s25, s9, 5
	s_mov_b64 s[12:13], 0
	s_movk_i32 s26, 0x54
	v_mov_b64_e32 v[22:23], s[20:21]
	v_lshlrev_b32_e32 v24, 2, v0
	s_mov_b32 s27, 0x1010101
	v_lshlrev_b32_e32 v26, 2, v2
	s_mov_b64 s[16:17], 0x48
	s_mov_b64 s[20:21], 0x6c
	;; [unrolled: 1-line block ×3, first 2 shown]
	v_mov_b32_e32 v25, v15
	v_mov_b32_e32 v27, v15
	;; [unrolled: 1-line block ×14, first 2 shown]
.LBB105_2:                              ; =>This Inner Loop Header: Depth=1
	v_lshl_add_u64 v[28:29], v[20:21], 0, v[14:15]
	global_load_dword v35, v[28:29], off offset:4
	global_load_dword v30, v[20:21], off
	v_add_u32_e32 v31, s11, v33
	v_add_u32_e32 v47, s8, v33
	v_mad_i64_i32 v[48:49], s[28:29], v47, s26, v[22:23]
	v_lshl_add_u64 v[50:51], v[48:49], 0, v[24:25]
	v_lshl_add_u64 v[56:57], v[48:49], 0, v[16:17]
	v_mov_b32_e32 v53, 0
	v_mov_b32_e32 v59, 0
	;; [unrolled: 1-line block ×11, first 2 shown]
	s_waitcnt vmcnt(0)
	v_cvt_f32_f16_e32 v34, v30
	global_load_dword v41, v[28:29], off offset:40
	global_load_dword v30, v[20:21], off offset:36
	s_waitcnt vmcnt(0)
	v_cvt_f32_f16_e32 v32, v30
	global_load_dword v66, v[28:29], off offset:76
	global_load_dword v30, v[20:21], off offset:72
	;; [unrolled: 1-line block ×4, first 2 shown]
	v_lshl_add_u64 v[20:21], v[20:21], 0, s[22:23]
	s_waitcnt vmcnt(2)
	v_cvt_f32_f16_e32 v30, v30
	s_waitcnt vmcnt(0)
	v_cvt_f32_f16_e32 v28, v36
	v_mad_i64_i32 v[36:37], s[28:29], v31, s26, v[22:23]
	v_lshl_add_u64 v[38:39], v[36:37], 0, v[24:25]
	global_load_dword v29, v[38:39], off offset:16
	v_lshl_add_u64 v[42:43], v[36:37], 0, v[16:17]
	global_load_dword v38, v[36:37], off offset:80
	global_load_ubyte v31, v[42:43], off
	v_mov_b32_e32 v36, 0
	global_load_dword v51, v[50:51], off offset:16
	s_nop 0
	global_load_dword v68, v[48:49], off offset:80
	global_load_ubyte v58, v[56:57], off
	global_load_ubyte v63, v[56:57], off offset:2
	global_load_ubyte v70, v[42:43], off offset:2
	;; [unrolled: 1-line block ×6, first 2 shown]
	s_waitcnt vmcnt(11)
	v_and_b32_e32 v37, 0x3030303, v29
	v_dot4c_i32_i8_e32 v36, v37, v35
	s_waitcnt vmcnt(9)
	v_lshrrev_b32_e32 v39, 4, v31
	v_mul_lo_u32 v39, v39, s27
	s_waitcnt vmcnt(8)
	v_and_b32_e32 v47, 0x3030303, v51
	s_waitcnt vmcnt(6)
	v_lshrrev_b32_e32 v48, 4, v58
	v_mul_lo_u32 v52, v48, s27
	v_dot4c_i32_i8_e32 v53, v39, v35
	v_dot4c_i32_i8_e32 v59, v47, v35
	;; [unrolled: 1-line block ×3, first 2 shown]
	v_lshrrev_b32_e32 v35, 2, v51
	v_and_b32_e32 v48, 0x3030303, v35
	v_lshrrev_b32_e32 v35, 4, v51
	v_and_b32_e32 v50, 0x3030303, v35
	;; [unrolled: 2-line block ×3, first 2 shown]
	s_waitcnt vmcnt(4)
	v_lshrrev_b32_e32 v35, 4, v70
	v_mul_lo_u32 v49, v35, s27
	s_waitcnt vmcnt(2)
	v_lshrrev_b32_e32 v35, 4, v73
	v_mul_lo_u32 v54, v35, s27
	s_waitcnt vmcnt(0)
	v_lshrrev_b32_e32 v35, 4, v76
	v_and_b32_e32 v56, 15, v58
	v_and_b32_e32 v57, 15, v31
	v_mul_lo_u32 v55, v35, s27
	v_mul_lo_u32 v31, v57, v36
	;; [unrolled: 1-line block ×3, first 2 shown]
	v_cvt_f32_i32_e32 v43, v35
	v_cvt_f32_i32_e32 v42, v31
	;; [unrolled: 1-line block ×4, first 2 shown]
	v_lshrrev_b32_e32 v44, 2, v29
	v_and_b32_e32 v44, 0x3030303, v44
	v_dot4c_i32_i8_e32 v60, v44, v41
	v_dot4c_i32_i8_e32 v62, v48, v41
	v_pk_fma_f32 v[42:43], v[34:35], v[42:43], 0 op_sel_hi:[0,1,0]
	v_pk_fma_f32 v[34:35], v[34:35], v[58:59], 0 op_sel_hi:[0,1,0]
	v_and_b32_e32 v58, 15, v63
	v_and_b32_e32 v59, 15, v70
	v_mul_lo_u32 v31, v59, v60
	v_mul_lo_u32 v36, v58, v62
	v_cvt_f32_i32_e32 v61, v36
	v_cvt_f32_i32_e32 v60, v31
	v_lshrrev_b32_e32 v31, 4, v63
	v_mul_lo_u32 v53, v31, s27
	v_mov_b32_e32 v31, 0
	v_dot4c_i32_i8_e32 v71, v49, v41
	v_dot4c_i32_i8_e32 v31, v53, v41
	v_pk_fma_f32 v[42:43], v[32:33], v[60:61], v[42:43] op_sel_hi:[0,1,1]
	v_lshrrev_b32_e32 v45, 4, v29
	v_cvt_f32_i32_e32 v60, v71
	v_cvt_f32_i32_e32 v61, v31
	v_and_b32_e32 v45, 0x3030303, v45
	v_dot4c_i32_i8_e32 v64, v45, v66
	v_dot4c_i32_i8_e32 v65, v50, v66
	v_pk_fma_f32 v[62:63], v[32:33], v[60:61], v[34:35] op_sel_hi:[0,1,1]
	v_and_b32_e32 v60, 15, v72
	v_and_b32_e32 v61, 15, v73
	v_mul_lo_u32 v31, v61, v64
	v_mul_lo_u32 v32, v60, v65
	v_cvt_f32_i32_e32 v35, v32
	v_cvt_f32_i32_e32 v34, v31
	v_dot4c_i32_i8_e32 v74, v54, v66
	v_lshrrev_b32_e32 v29, 6, v29
	v_and_b32_e32 v46, 0x3030303, v29
	v_pk_fma_f32 v[64:65], v[30:31], v[34:35], v[42:43] op_sel_hi:[0,1,1]
	v_lshrrev_b32_e32 v31, 4, v72
	v_mul_lo_u32 v35, v31, s27
	v_mov_b32_e32 v31, 0
	v_dot4c_i32_i8_e32 v31, v35, v66
	v_cvt_f32_i32_e32 v42, v74
	v_mov_b32_e32 v29, 0
	v_dot4c_i32_i8_e32 v29, v46, v67
	v_cvt_f32_i32_e32 v43, v31
	v_dot4c_i32_i8_e32 v69, v51, v67
	v_dot4c_i32_i8_e32 v77, v55, v67
	v_mov_b32_e32 v71, 0
	v_pk_fma_f32 v[30:31], v[30:31], v[42:43], v[62:63] op_sel_hi:[0,1,1]
	v_and_b32_e32 v42, 15, v75
	v_and_b32_e32 v43, 15, v76
	v_mul_lo_u32 v29, v43, v29
	v_mul_lo_u32 v32, v42, v69
	v_cvt_f32_i32_e32 v63, v32
	v_cvt_f32_i32_e32 v62, v29
	v_add_u32_e32 v32, s9, v40
	v_mov_b32_e32 v73, 0
	v_mov_b32_e32 v76, 0
	v_pk_fma_f32 v[62:63], v[28:29], v[62:63], v[64:65] op_sel_hi:[0,1,1]
	v_lshrrev_b32_e32 v29, 4, v75
	v_mul_lo_u32 v41, v29, s27
	v_mov_b32_e32 v29, 0
	v_dot4c_i32_i8_e32 v29, v41, v67
	v_cvt_f32_i32_e32 v64, v77
	v_mov_b32_e32 v67, 0
	v_mov_b32_e32 v75, 0
	v_cvt_f32_i32_e32 v65, v29
	v_mov_b32_e32 v72, 0
	v_mov_b32_e32 v74, 0
	;; [unrolled: 1-line block ×3, first 2 shown]
	v_pk_fma_f32 v[64:65], v[28:29], v[64:65], v[30:31] op_sel_hi:[0,1,1]
	v_cvt_f32_f16_sdwa v31, v68 dst_sel:DWORD dst_unused:UNUSED_PAD src0_sel:WORD_1
	v_cvt_f32_f16_sdwa v30, v38 dst_sel:DWORD dst_unused:UNUSED_PAD src0_sel:WORD_1
	v_cvt_f32_f16_e32 v29, v68
	v_cvt_f32_f16_e32 v28, v38
	v_pk_mul_f32 v[64:65], v[64:65], v[30:31]
	s_nop 0
	v_pk_fma_f32 v[62:63], v[62:63], v[28:29], v[64:65] neg_lo:[0,0,1] neg_hi:[0,0,1]
	s_nop 0
	v_pk_add_f32 v[8:9], v[8:9], v[62:63]
	v_mad_u64_u32 v[62:63], s[28:29], v32, 36, v[18:19]
	v_lshl_add_u64 v[64:65], v[62:63], 0, v[26:27]
	global_load_dword v66, v[64:65], off offset:4
	global_load_dword v32, v[62:63], off
	v_lshl_add_u64 v[64:65], v[62:63], 0, 36
	v_lshl_add_u64 v[64:65], v[64:65], 0, v[26:27]
	global_load_dword v68, v[64:65], off offset:4
	global_load_dword v34, v[62:63], off offset:36
	v_lshl_add_u64 v[64:65], v[62:63], 0, s[16:17]
	v_lshl_add_u64 v[64:65], v[64:65], 0, v[26:27]
	global_load_dword v69, v[64:65], off offset:4
	global_load_dword v36, v[62:63], off offset:72
	;; [unrolled: 4-line block ×3, first 2 shown]
	v_mov_b32_e32 v62, 0
	v_mov_b32_e32 v63, 0
	;; [unrolled: 1-line block ×4, first 2 shown]
	s_waitcnt vmcnt(7)
	v_dot4c_i32_i8_e32 v62, v37, v66
	v_dot4c_i32_i8_e32 v63, v47, v66
	;; [unrolled: 1-line block ×4, first 2 shown]
	v_mul_lo_u32 v62, v57, v62
	v_mul_lo_u32 v63, v56, v63
	s_waitcnt vmcnt(6)
	v_cvt_f32_f16_e32 v32, v32
	v_cvt_f32_i32_e32 v63, v63
	v_cvt_f32_i32_e32 v62, v62
	;; [unrolled: 1-line block ×4, first 2 shown]
	v_mov_b32_e32 v66, 0
	s_waitcnt vmcnt(5)
	v_dot4c_i32_i8_e32 v67, v44, v68
	v_dot4c_i32_i8_e32 v66, v48, v68
	v_pk_fma_f32 v[62:63], v[32:33], v[62:63], 0 op_sel_hi:[0,1,0]
	v_pk_fma_f32 v[64:65], v[32:33], v[64:65], 0 op_sel_hi:[0,1,0]
	v_mul_lo_u32 v32, v59, v67
	v_mul_lo_u32 v66, v58, v66
	s_waitcnt vmcnt(4)
	v_cvt_f32_f16_e32 v34, v34
	v_cvt_f32_i32_e32 v67, v66
	v_cvt_f32_i32_e32 v66, v32
	v_mov_b32_e32 v32, 0
	v_dot4c_i32_i8_e32 v75, v49, v68
	v_dot4c_i32_i8_e32 v32, v53, v68
	v_pk_fma_f32 v[62:63], v[34:35], v[66:67], v[62:63] op_sel_hi:[0,1,1]
	s_waitcnt vmcnt(3)
	v_dot4c_i32_i8_e32 v71, v45, v69
	v_cvt_f32_i32_e32 v66, v75
	v_cvt_f32_i32_e32 v67, v32
	v_dot4c_i32_i8_e32 v73, v50, v69
	v_mul_lo_u32 v32, v61, v71
	s_waitcnt vmcnt(2)
	v_cvt_f32_f16_e32 v36, v36
	v_pk_fma_f32 v[64:65], v[34:35], v[66:67], v[64:65] op_sel_hi:[0,1,1]
	v_mul_lo_u32 v34, v60, v73
	v_cvt_f32_i32_e32 v67, v34
	v_cvt_f32_i32_e32 v66, v32
	v_mov_b32_e32 v32, 0
	v_dot4c_i32_i8_e32 v76, v54, v69
	v_dot4c_i32_i8_e32 v32, v35, v69
	v_pk_fma_f32 v[62:63], v[36:37], v[66:67], v[62:63] op_sel_hi:[0,1,1]
	s_waitcnt vmcnt(1)
	v_dot4c_i32_i8_e32 v72, v46, v70
	v_cvt_f32_i32_e32 v66, v76
	v_cvt_f32_i32_e32 v67, v32
	v_dot4c_i32_i8_e32 v74, v51, v70
	v_mul_lo_u32 v32, v43, v72
	s_waitcnt vmcnt(0)
	v_cvt_f32_f16_e32 v38, v38
	v_pk_fma_f32 v[64:65], v[36:37], v[66:67], v[64:65] op_sel_hi:[0,1,1]
	v_mul_lo_u32 v34, v42, v74
	v_cvt_f32_i32_e32 v67, v34
	v_cvt_f32_i32_e32 v66, v32
	v_mov_b32_e32 v32, 0
	v_dot4c_i32_i8_e32 v77, v55, v70
	v_dot4c_i32_i8_e32 v32, v41, v70
	v_pk_fma_f32 v[62:63], v[38:39], v[66:67], v[62:63] op_sel_hi:[0,1,1]
	v_mov_b32_e32 v75, 0
	v_cvt_f32_i32_e32 v66, v77
	v_cvt_f32_i32_e32 v67, v32
	v_add_u32_e32 v32, s15, v40
	v_mov_b32_e32 v71, 0
	v_mov_b32_e32 v73, 0
	v_pk_fma_f32 v[64:65], v[38:39], v[66:67], v[64:65] op_sel_hi:[0,1,1]
	v_pk_mul_f32 v[64:65], v[64:65], v[30:31]
	v_mov_b32_e32 v67, 0
	v_pk_fma_f32 v[62:63], v[62:63], v[28:29], v[64:65] neg_lo:[0,0,1] neg_hi:[0,0,1]
	v_mov_b32_e32 v76, 0
	v_pk_add_f32 v[10:11], v[10:11], v[62:63]
	v_mad_u64_u32 v[62:63], s[28:29], v32, 36, v[18:19]
	v_lshl_add_u64 v[64:65], v[62:63], 0, v[26:27]
	global_load_dword v66, v[64:65], off offset:4
	global_load_dword v32, v[62:63], off
	v_lshl_add_u64 v[64:65], v[62:63], 0, 36
	v_lshl_add_u64 v[64:65], v[64:65], 0, v[26:27]
	v_mov_b32_e32 v72, 0
	v_mov_b32_e32 v74, 0
	;; [unrolled: 1-line block ×3, first 2 shown]
	s_waitcnt vmcnt(0)
	v_cvt_f32_f16_e32 v38, v32
	global_load_dword v68, v[64:65], off offset:4
	global_load_dword v32, v[62:63], off offset:36
	v_lshl_add_u64 v[64:65], v[62:63], 0, s[16:17]
	v_lshl_add_u64 v[64:65], v[64:65], 0, v[26:27]
	s_waitcnt vmcnt(1)
	v_dot4c_i32_i8_e32 v67, v44, v68
	s_waitcnt vmcnt(0)
	v_cvt_f32_f16_e32 v36, v32
	global_load_dword v69, v[64:65], off offset:4
	global_load_dword v32, v[62:63], off offset:72
	v_lshl_add_u64 v[64:65], v[62:63], 0, s[20:21]
	v_lshl_add_u64 v[64:65], v[64:65], 0, v[26:27]
	v_dot4c_i32_i8_e32 v75, v49, v68
	s_waitcnt vmcnt(1)
	v_dot4c_i32_i8_e32 v71, v45, v69
	s_waitcnt vmcnt(0)
	v_cvt_f32_f16_e32 v34, v32
	global_load_dword v70, v[64:65], off offset:4
	global_load_dword v32, v[62:63], off offset:108
	v_mov_b32_e32 v62, 0
	v_mov_b32_e32 v63, 0
	v_dot4c_i32_i8_e32 v62, v37, v66
	v_mov_b32_e32 v64, 0
	v_dot4c_i32_i8_e32 v63, v47, v66
	;; [unrolled: 2-line block ×3, first 2 shown]
	v_dot4c_i32_i8_e32 v65, v52, v66
	v_mul_lo_u32 v62, v57, v62
	v_mul_lo_u32 v63, v56, v63
	v_cvt_f32_i32_e32 v63, v63
	v_cvt_f32_i32_e32 v62, v62
	;; [unrolled: 1-line block ×4, first 2 shown]
	v_mov_b32_e32 v66, 0
	v_dot4c_i32_i8_e32 v66, v48, v68
	v_pk_fma_f32 v[62:63], v[38:39], v[62:63], 0 op_sel_hi:[0,1,0]
	v_pk_fma_f32 v[64:65], v[38:39], v[64:65], 0 op_sel_hi:[0,1,0]
	v_mul_lo_u32 v38, v59, v67
	v_mul_lo_u32 v66, v58, v66
	v_cvt_f32_i32_e32 v67, v66
	v_cvt_f32_i32_e32 v66, v38
	v_mov_b32_e32 v38, 0
	v_dot4c_i32_i8_e32 v38, v53, v68
	v_dot4c_i32_i8_e32 v73, v50, v69
	v_pk_fma_f32 v[62:63], v[36:37], v[66:67], v[62:63] op_sel_hi:[0,1,1]
	v_cvt_f32_i32_e32 v66, v75
	v_cvt_f32_i32_e32 v67, v38
	v_mul_lo_u32 v38, v60, v73
	v_dot4c_i32_i8_e32 v76, v54, v69
	v_mov_b32_e32 v75, 0
	v_pk_fma_f32 v[64:65], v[36:37], v[66:67], v[64:65] op_sel_hi:[0,1,1]
	v_mul_lo_u32 v36, v61, v71
	v_cvt_f32_i32_e32 v67, v38
	v_cvt_f32_i32_e32 v66, v36
	v_mov_b32_e32 v36, 0
	v_dot4c_i32_i8_e32 v36, v35, v69
	v_mov_b32_e32 v71, 0
	v_pk_fma_f32 v[62:63], v[34:35], v[66:67], v[62:63] op_sel_hi:[0,1,1]
	v_cvt_f32_i32_e32 v66, v76
	v_cvt_f32_i32_e32 v67, v36
	v_mov_b32_e32 v73, 0
	v_mov_b32_e32 v76, 0
	v_pk_fma_f32 v[64:65], v[34:35], v[66:67], v[64:65] op_sel_hi:[0,1,1]
	s_waitcnt vmcnt(1)
	v_dot4c_i32_i8_e32 v72, v46, v70
	v_dot4c_i32_i8_e32 v74, v51, v70
	s_nop 1
	v_mul_lo_u32 v34, v43, v72
	s_waitcnt vmcnt(0)
	v_cvt_f32_f16_e32 v32, v32
	v_cvt_f32_i32_e32 v66, v34
	v_mul_lo_u32 v36, v42, v74
	v_cvt_f32_i32_e32 v67, v36
	v_mov_b32_e32 v34, 0
	v_dot4c_i32_i8_e32 v77, v55, v70
	v_dot4c_i32_i8_e32 v34, v41, v70
	v_pk_fma_f32 v[62:63], v[32:33], v[66:67], v[62:63] op_sel_hi:[0,1,1]
	v_mov_b32_e32 v72, 0
	v_cvt_f32_i32_e32 v66, v77
	v_cvt_f32_i32_e32 v67, v34
	v_mov_b32_e32 v74, 0
	v_mov_b32_e32 v77, 0
	v_pk_fma_f32 v[64:65], v[32:33], v[66:67], v[64:65] op_sel_hi:[0,1,1]
	v_pk_mul_f32 v[64:65], v[64:65], v[30:31]
	v_add_u32_e32 v32, s19, v40
	v_pk_fma_f32 v[62:63], v[62:63], v[28:29], v[64:65] neg_lo:[0,0,1] neg_hi:[0,0,1]
	v_mov_b32_e32 v67, 0
	v_pk_add_f32 v[4:5], v[4:5], v[62:63]
	v_mad_u64_u32 v[62:63], s[28:29], v32, 36, v[18:19]
	v_lshl_add_u64 v[64:65], v[62:63], 0, v[26:27]
	global_load_dword v66, v[64:65], off offset:4
	global_load_dword v32, v[62:63], off
	v_lshl_add_u64 v[64:65], v[62:63], 0, 36
	v_lshl_add_u64 v[64:65], v[64:65], 0, v[26:27]
	global_load_dword v68, v[64:65], off offset:4
	global_load_dword v34, v[62:63], off offset:36
	v_lshl_add_u64 v[64:65], v[62:63], 0, s[16:17]
	v_lshl_add_u64 v[64:65], v[64:65], 0, v[26:27]
	global_load_dword v69, v[64:65], off offset:4
	global_load_dword v36, v[62:63], off offset:72
	;; [unrolled: 4-line block ×3, first 2 shown]
	v_mov_b32_e32 v62, 0
	v_mov_b32_e32 v63, 0
	;; [unrolled: 1-line block ×4, first 2 shown]
	s_waitcnt vmcnt(7)
	v_dot4c_i32_i8_e32 v62, v37, v66
	v_dot4c_i32_i8_e32 v63, v47, v66
	;; [unrolled: 1-line block ×4, first 2 shown]
	v_mul_lo_u32 v62, v57, v62
	v_mul_lo_u32 v63, v56, v63
	s_waitcnt vmcnt(6)
	v_cvt_f32_f16_e32 v32, v32
	v_cvt_f32_i32_e32 v63, v63
	v_cvt_f32_i32_e32 v62, v62
	;; [unrolled: 1-line block ×4, first 2 shown]
	v_mov_b32_e32 v66, 0
	s_waitcnt vmcnt(5)
	v_dot4c_i32_i8_e32 v67, v44, v68
	v_dot4c_i32_i8_e32 v66, v48, v68
	v_pk_fma_f32 v[62:63], v[32:33], v[62:63], 0 op_sel_hi:[0,1,0]
	v_pk_fma_f32 v[64:65], v[32:33], v[64:65], 0 op_sel_hi:[0,1,0]
	v_mul_lo_u32 v32, v59, v67
	v_mul_lo_u32 v66, v58, v66
	s_waitcnt vmcnt(4)
	v_cvt_f32_f16_e32 v34, v34
	v_cvt_f32_i32_e32 v67, v66
	v_cvt_f32_i32_e32 v66, v32
	v_mov_b32_e32 v32, 0
	v_dot4c_i32_i8_e32 v75, v49, v68
	v_dot4c_i32_i8_e32 v32, v53, v68
	v_pk_fma_f32 v[62:63], v[34:35], v[66:67], v[62:63] op_sel_hi:[0,1,1]
	s_waitcnt vmcnt(3)
	v_dot4c_i32_i8_e32 v71, v45, v69
	v_cvt_f32_i32_e32 v66, v75
	v_cvt_f32_i32_e32 v67, v32
	v_dot4c_i32_i8_e32 v73, v50, v69
	v_mul_lo_u32 v32, v61, v71
	s_waitcnt vmcnt(2)
	v_cvt_f32_f16_e32 v36, v36
	v_pk_fma_f32 v[64:65], v[34:35], v[66:67], v[64:65] op_sel_hi:[0,1,1]
	v_mul_lo_u32 v34, v60, v73
	v_cvt_f32_i32_e32 v67, v34
	v_cvt_f32_i32_e32 v66, v32
	v_mov_b32_e32 v32, 0
	v_dot4c_i32_i8_e32 v76, v54, v69
	v_dot4c_i32_i8_e32 v32, v35, v69
	v_pk_fma_f32 v[62:63], v[36:37], v[66:67], v[62:63] op_sel_hi:[0,1,1]
	s_waitcnt vmcnt(1)
	v_dot4c_i32_i8_e32 v72, v46, v70
	v_cvt_f32_i32_e32 v66, v76
	v_cvt_f32_i32_e32 v67, v32
	v_dot4c_i32_i8_e32 v74, v51, v70
	v_mul_lo_u32 v32, v43, v72
	s_waitcnt vmcnt(0)
	v_cvt_f32_f16_e32 v38, v38
	v_pk_fma_f32 v[64:65], v[36:37], v[66:67], v[64:65] op_sel_hi:[0,1,1]
	v_mul_lo_u32 v34, v42, v74
	v_cvt_f32_i32_e32 v67, v34
	v_cvt_f32_i32_e32 v66, v32
	v_mov_b32_e32 v32, 0
	v_dot4c_i32_i8_e32 v77, v55, v70
	v_dot4c_i32_i8_e32 v32, v41, v70
	v_pk_fma_f32 v[62:63], v[38:39], v[66:67], v[62:63] op_sel_hi:[0,1,1]
	v_mov_b32_e32 v75, 0
	v_cvt_f32_i32_e32 v66, v77
	v_cvt_f32_i32_e32 v67, v32
	v_add_u32_e32 v32, s24, v40
	v_mov_b32_e32 v71, 0
	v_mov_b32_e32 v73, 0
	v_pk_fma_f32 v[64:65], v[38:39], v[66:67], v[64:65] op_sel_hi:[0,1,1]
	v_pk_mul_f32 v[64:65], v[64:65], v[30:31]
	v_mov_b32_e32 v67, 0
	v_pk_fma_f32 v[62:63], v[62:63], v[28:29], v[64:65] neg_lo:[0,0,1] neg_hi:[0,0,1]
	v_mov_b32_e32 v76, 0
	v_pk_add_f32 v[6:7], v[6:7], v[62:63]
	v_mad_u64_u32 v[62:63], s[28:29], v32, 36, v[18:19]
	v_lshl_add_u64 v[64:65], v[62:63], 0, v[26:27]
	global_load_dword v66, v[64:65], off offset:4
	global_load_dword v32, v[62:63], off
	v_lshl_add_u64 v[64:65], v[62:63], 0, 36
	v_lshl_add_u64 v[64:65], v[64:65], 0, v[26:27]
	global_load_dword v68, v[64:65], off offset:4
	global_load_dword v34, v[62:63], off offset:36
	v_lshl_add_u64 v[64:65], v[62:63], 0, s[16:17]
	v_lshl_add_u64 v[64:65], v[64:65], 0, v[26:27]
	global_load_dword v69, v[64:65], off offset:4
	global_load_dword v36, v[62:63], off offset:72
	v_lshl_add_u64 v[64:65], v[62:63], 0, s[20:21]
	v_lshl_add_u64 v[64:65], v[64:65], 0, v[26:27]
	global_load_dword v70, v[64:65], off offset:4
	global_load_dword v38, v[62:63], off offset:108
	v_mov_b32_e32 v62, 0
	v_mov_b32_e32 v63, 0
	;; [unrolled: 1-line block ×7, first 2 shown]
	s_waitcnt vmcnt(7)
	v_dot4c_i32_i8_e32 v62, v37, v66
	v_dot4c_i32_i8_e32 v63, v47, v66
	;; [unrolled: 1-line block ×4, first 2 shown]
	v_mul_lo_u32 v62, v57, v62
	v_mul_lo_u32 v63, v56, v63
	s_waitcnt vmcnt(6)
	v_cvt_f32_f16_e32 v32, v32
	v_cvt_f32_i32_e32 v63, v63
	v_cvt_f32_i32_e32 v62, v62
	;; [unrolled: 1-line block ×4, first 2 shown]
	v_mov_b32_e32 v66, 0
	s_waitcnt vmcnt(5)
	v_dot4c_i32_i8_e32 v67, v44, v68
	v_dot4c_i32_i8_e32 v66, v48, v68
	v_pk_fma_f32 v[62:63], v[32:33], v[62:63], 0 op_sel_hi:[0,1,0]
	v_pk_fma_f32 v[64:65], v[32:33], v[64:65], 0 op_sel_hi:[0,1,0]
	v_mul_lo_u32 v32, v59, v67
	v_mul_lo_u32 v66, v58, v66
	s_waitcnt vmcnt(4)
	v_cvt_f32_f16_e32 v34, v34
	v_cvt_f32_i32_e32 v67, v66
	v_cvt_f32_i32_e32 v66, v32
	v_mov_b32_e32 v32, 0
	v_dot4c_i32_i8_e32 v75, v49, v68
	v_dot4c_i32_i8_e32 v32, v53, v68
	v_pk_fma_f32 v[62:63], v[34:35], v[66:67], v[62:63] op_sel_hi:[0,1,1]
	s_waitcnt vmcnt(3)
	v_dot4c_i32_i8_e32 v71, v45, v69
	v_cvt_f32_i32_e32 v66, v75
	v_cvt_f32_i32_e32 v67, v32
	v_dot4c_i32_i8_e32 v73, v50, v69
	v_mul_lo_u32 v32, v61, v71
	s_waitcnt vmcnt(2)
	v_cvt_f32_f16_e32 v36, v36
	v_pk_fma_f32 v[64:65], v[34:35], v[66:67], v[64:65] op_sel_hi:[0,1,1]
	v_mul_lo_u32 v34, v60, v73
	v_cvt_f32_i32_e32 v67, v34
	v_cvt_f32_i32_e32 v66, v32
	v_mov_b32_e32 v32, 0
	v_dot4c_i32_i8_e32 v76, v54, v69
	v_dot4c_i32_i8_e32 v32, v35, v69
	v_pk_fma_f32 v[62:63], v[36:37], v[66:67], v[62:63] op_sel_hi:[0,1,1]
	s_waitcnt vmcnt(1)
	v_dot4c_i32_i8_e32 v72, v46, v70
	v_cvt_f32_i32_e32 v66, v76
	v_cvt_f32_i32_e32 v67, v32
	v_dot4c_i32_i8_e32 v74, v51, v70
	v_mul_lo_u32 v32, v43, v72
	s_waitcnt vmcnt(0)
	v_cvt_f32_f16_e32 v38, v38
	v_pk_fma_f32 v[64:65], v[36:37], v[66:67], v[64:65] op_sel_hi:[0,1,1]
	v_mul_lo_u32 v34, v42, v74
	v_cvt_f32_i32_e32 v67, v34
	v_cvt_f32_i32_e32 v66, v32
	v_mov_b32_e32 v32, 0
	v_dot4c_i32_i8_e32 v77, v55, v70
	v_dot4c_i32_i8_e32 v32, v41, v70
	v_pk_fma_f32 v[62:63], v[38:39], v[66:67], v[62:63] op_sel_hi:[0,1,1]
	v_mov_b32_e32 v70, 0
	v_cvt_f32_i32_e32 v66, v77
	v_cvt_f32_i32_e32 v67, v32
	v_add_u32_e32 v32, s25, v40
	v_add_u32_e32 v40, 32, v40
	v_pk_fma_f32 v[64:65], v[38:39], v[66:67], v[64:65] op_sel_hi:[0,1,1]
	v_pk_mul_f32 v[64:65], v[64:65], v[30:31]
	s_nop 0
	v_pk_fma_f32 v[62:63], v[62:63], v[28:29], v[64:65] neg_lo:[0,0,1] neg_hi:[0,0,1]
	v_mad_u64_u32 v[64:65], s[28:29], v32, 36, v[18:19]
	v_pk_add_f32 v[0:1], v[0:1], v[62:63]
	v_lshl_add_u64 v[62:63], v[64:65], 0, v[26:27]
	global_load_dword v68, v[62:63], off offset:4
	global_load_dword v32, v[64:65], off
	v_lshl_add_u64 v[62:63], v[64:65], 0, 36
	v_lshl_add_u64 v[62:63], v[62:63], 0, v[26:27]
	s_waitcnt vmcnt(0)
	v_cvt_f32_f16_e32 v38, v32
	global_load_dword v69, v[62:63], off offset:4
	global_load_dword v32, v[64:65], off offset:36
	v_lshl_add_u64 v[62:63], v[64:65], 0, s[16:17]
	v_lshl_add_u64 v[66:67], v[62:63], 0, v[26:27]
	s_waitcnt vmcnt(0)
	v_cvt_f32_f16_e32 v36, v32
	global_load_dword v63, v[66:67], off offset:4
	global_load_dword v32, v[64:65], off offset:72
	v_lshl_add_u64 v[66:67], v[64:65], 0, s[20:21]
	v_lshl_add_u64 v[66:67], v[66:67], 0, v[26:27]
	s_waitcnt vmcnt(1)
	v_dot4c_i32_i8_e32 v70, v54, v63
	s_waitcnt vmcnt(0)
	v_cvt_f32_f16_e32 v34, v32
	global_load_dword v62, v[66:67], off offset:4
	global_load_dword v32, v[64:65], off offset:108
	v_mov_b32_e32 v64, 0
	v_dot4c_i32_i8_e32 v64, v37, v68
	v_mov_b32_e32 v37, 0
	v_dot4c_i32_i8_e32 v37, v39, v68
	v_mov_b32_e32 v39, 0
	v_mov_b32_e32 v66, 0
	v_dot4c_i32_i8_e32 v39, v47, v68
	v_mov_b32_e32 v47, 0
	v_dot4c_i32_i8_e32 v66, v45, v63
	;; [unrolled: 2-line block ×4, first 2 shown]
	v_mov_b32_e32 v67, 0
	v_mov_b32_e32 v68, 0
	v_mul_lo_u32 v48, v57, v64
	v_mul_lo_u32 v39, v56, v39
	v_dot4c_i32_i8_e32 v67, v50, v63
	v_dot4c_i32_i8_e32 v68, v49, v69
	v_cvt_f32_i32_e32 v49, v39
	v_cvt_f32_i32_e32 v48, v48
	;; [unrolled: 1-line block ×3, first 2 shown]
	v_mov_b32_e32 v65, 0
	v_dot4c_i32_i8_e32 v65, v44, v69
	v_pk_fma_f32 v[48:49], v[38:39], v[48:49], 0 op_sel_hi:[0,1,0]
	v_mov_b32_e32 v44, 0
	s_waitcnt vmcnt(1)
	v_dot4c_i32_i8_e32 v45, v46, v62
	v_mov_b32_e32 v46, 0
	v_dot4c_i32_i8_e32 v46, v51, v62
	v_cvt_f32_i32_e32 v51, v47
	v_mul_lo_u32 v37, v59, v65
	v_mul_lo_u32 v47, v58, v52
	s_waitcnt vmcnt(0)
	v_cvt_f32_f16_e32 v32, v32
	v_pk_fma_f32 v[38:39], v[38:39], v[50:51], 0 op_sel_hi:[0,1,0]
	v_cvt_f32_i32_e32 v51, v47
	v_cvt_f32_i32_e32 v50, v37
	v_mov_b32_e32 v47, 0
	v_dot4c_i32_i8_e32 v47, v35, v63
	v_dot4c_i32_i8_e32 v44, v55, v62
	v_pk_fma_f32 v[48:49], v[36:37], v[50:51], v[48:49] op_sel_hi:[0,1,1]
	v_mov_b32_e32 v37, 0
	v_dot4c_i32_i8_e32 v37, v53, v69
	v_cvt_f32_i32_e32 v50, v68
	s_nop 1
	v_cvt_f32_i32_e32 v51, v37
	v_pk_fma_f32 v[36:37], v[36:37], v[50:51], v[38:39] op_sel_hi:[0,1,1]
	v_mul_lo_u32 v38, v61, v66
	v_mul_lo_u32 v39, v60, v67
	v_cvt_f32_i32_e32 v39, v39
	v_cvt_f32_i32_e32 v38, v38
	v_pk_fma_f32 v[38:39], v[34:35], v[38:39], v[48:49] op_sel_hi:[0,1,1]
	v_cvt_f32_i32_e32 v49, v47
	v_cvt_f32_i32_e32 v48, v70
	v_pk_fma_f32 v[34:35], v[34:35], v[48:49], v[36:37] op_sel_hi:[0,1,1]
	v_mul_lo_u32 v36, v43, v45
	v_mul_lo_u32 v37, v42, v46
	v_cvt_f32_i32_e32 v37, v37
	v_cvt_f32_i32_e32 v36, v36
	v_pk_fma_f32 v[36:37], v[32:33], v[36:37], v[38:39] op_sel_hi:[0,1,1]
	v_mov_b32_e32 v38, 0
	v_dot4c_i32_i8_e32 v38, v41, v62
	s_nop 2
	v_cvt_f32_i32_e32 v39, v38
	v_cvt_f32_i32_e32 v38, v44
	v_pk_fma_f32 v[34:35], v[32:33], v[38:39], v[34:35] op_sel_hi:[0,1,1]
	v_pk_mul_f32 v[30:31], v[34:35], v[30:31]
	v_add_u32_e32 v33, 4, v33
	v_pk_fma_f32 v[28:29], v[36:37], v[28:29], v[30:31] neg_lo:[0,0,1] neg_hi:[0,0,1]
	v_cmp_le_u32_e32 vcc, s5, v33
	v_pk_add_f32 v[2:3], v[2:3], v[28:29]
	s_or_b64 s[12:13], vcc, s[12:13]
	s_andn2_b64 exec, exec, s[12:13]
	s_cbranch_execnz .LBB105_2
; %bb.3:
	s_or_b64 exec, exec, s[12:13]
	scratch_store_dwordx4 off, v[8:11], off
	scratch_store_dwordx4 off, v[4:7], off offset:16
	scratch_store_dwordx4 off, v[0:3], off offset:32
.LBB105_4:
	s_or_b64 exec, exec, s[6:7]
	s_mov_b32 s5, 0
	v_cmp_eq_u32_e32 vcc, 0, v13
	s_waitcnt lgkmcnt(0)
	; wave barrier
	s_and_saveexec_b64 s[6:7], vcc
	s_cbranch_execz .LBB105_17
; %bb.5:
	scratch_load_dwordx2 v[2:3], off, off
	v_mbcnt_lo_u32_b32 v0, -1, 0
	v_mbcnt_hi_u32_b32 v13, -1, v0
	s_load_dwordx2 s[6:7], s[0:1], 0x38
	s_mul_i32 s0, s3, s14
	v_or_b32_e32 v1, s2, v12
	v_and_b32_e32 v0, 64, v13
	s_mul_i32 s4, s4, s18
	s_add_i32 s2, s0, s2
	v_cmp_gt_u32_e64 s[0:1], s10, v1
	v_xor_b32_e32 v1, 32, v13
	v_add_u32_e32 v14, 64, v0
	s_add_i32 s4, s2, s4
	v_cmp_lt_i32_e64 s[2:3], v1, v14
	v_cmp_gt_u32_e32 vcc, 2, v12
	s_nop 0
	v_cndmask_b32_e64 v0, v13, v1, s[2:3]
	v_lshlrev_b32_e32 v0, 2, v0
	v_xor_b32_e32 v1, 16, v13
	v_cmp_lt_i32_e64 s[2:3], v1, v14
	s_waitcnt vmcnt(0)
	ds_bpermute_b32 v4, v0, v2
	ds_bpermute_b32 v5, v0, v3
	v_cndmask_b32_e64 v1, v13, v1, s[2:3]
	v_lshlrev_b32_e32 v1, 2, v1
	s_waitcnt lgkmcnt(0)
	v_pk_add_f32 v[4:5], v[2:3], v[4:5]
	ds_bpermute_b32 v6, v1, v4
	ds_bpermute_b32 v7, v1, v5
	v_xor_b32_e32 v2, 8, v13
	v_cmp_lt_i32_e64 s[2:3], v2, v14
	v_xor_b32_e32 v3, 4, v13
	s_waitcnt lgkmcnt(0)
	v_pk_add_f32 v[4:5], v[4:5], v[6:7]
	v_cndmask_b32_e64 v2, v13, v2, s[2:3]
	v_lshlrev_b32_e32 v2, 2, v2
	ds_bpermute_b32 v6, v2, v4
	ds_bpermute_b32 v7, v2, v5
	v_cmp_lt_i32_e64 s[2:3], v3, v14
	s_waitcnt lgkmcnt(0)
	v_pk_add_f32 v[6:7], v[4:5], v[6:7]
	v_cndmask_b32_e64 v3, v13, v3, s[2:3]
	v_lshlrev_b32_e32 v3, 2, v3
	ds_bpermute_b32 v8, v3, v6
	ds_bpermute_b32 v9, v3, v7
	v_xor_b32_e32 v4, 2, v13
	v_cmp_lt_i32_e64 s[2:3], v4, v14
	v_xor_b32_e32 v5, 1, v13
	s_waitcnt lgkmcnt(0)
	v_pk_add_f32 v[8:9], v[6:7], v[8:9]
	v_cndmask_b32_e64 v4, v13, v4, s[2:3]
	v_lshlrev_b32_e32 v4, 2, v4
	ds_bpermute_b32 v10, v4, v8
	ds_bpermute_b32 v11, v4, v9
	v_cmp_lt_i32_e64 s[2:3], v5, v14
	s_waitcnt lgkmcnt(0)
	v_pk_add_f32 v[8:9], v[8:9], v[10:11]
	v_cndmask_b32_e64 v5, v13, v5, s[2:3]
	v_lshlrev_b32_e32 v6, 2, v5
	ds_bpermute_b32 v10, v6, v8
	ds_bpermute_b32 v11, v6, v9
	s_lshl_b64 s[2:3], s[4:5], 2
	s_add_u32 s2, s6, s2
	s_addc_u32 s3, s7, s3
	s_and_b64 s[0:1], vcc, s[0:1]
	s_waitcnt lgkmcnt(0)
	v_pk_add_f32 v[8:9], v[8:9], v[10:11]
	v_lshlrev_b32_e32 v5, 2, v12
	scratch_store_dwordx2 off, v[8:9], off
	s_and_saveexec_b64 s[4:5], s[0:1]
	s_cbranch_execz .LBB105_7
; %bb.6:
	scratch_load_dword v7, v5, off
	s_waitcnt vmcnt(0)
	global_store_dword v5, v7, s[2:3]
.LBB105_7:
	s_or_b64 exec, exec, s[4:5]
	scratch_load_dwordx2 v[8:9], off, off offset:8
	s_waitcnt vmcnt(0)
	ds_bpermute_b32 v10, v0, v8
	ds_bpermute_b32 v11, v0, v9
	s_waitcnt lgkmcnt(0)
	v_pk_add_f32 v[8:9], v[8:9], v[10:11]
	ds_bpermute_b32 v10, v1, v8
	ds_bpermute_b32 v11, v1, v9
	s_waitcnt lgkmcnt(0)
	v_pk_add_f32 v[8:9], v[8:9], v[10:11]
	;; [unrolled: 4-line block ×6, first 2 shown]
	scratch_store_dwordx2 off, v[8:9], off offset:8
	s_and_saveexec_b64 s[4:5], s[0:1]
	s_cbranch_execz .LBB105_9
; %bb.8:
	scratch_load_dword v7, v5, off offset:8
	v_add_u32_e32 v8, s10, v12
	v_mov_b32_e32 v9, 0
	v_lshl_add_u64 v[8:9], v[8:9], 2, s[2:3]
	s_waitcnt vmcnt(0)
	global_store_dword v[8:9], v7, off
.LBB105_9:
	s_or_b64 exec, exec, s[4:5]
	scratch_load_dwordx2 v[8:9], off, off offset:16
	s_waitcnt vmcnt(0)
	ds_bpermute_b32 v10, v0, v8
	ds_bpermute_b32 v11, v0, v9
	s_waitcnt lgkmcnt(0)
	v_pk_add_f32 v[8:9], v[8:9], v[10:11]
	ds_bpermute_b32 v10, v1, v8
	ds_bpermute_b32 v11, v1, v9
	s_waitcnt lgkmcnt(0)
	v_pk_add_f32 v[8:9], v[8:9], v[10:11]
	;; [unrolled: 4-line block ×6, first 2 shown]
	scratch_store_dwordx2 off, v[8:9], off offset:16
	s_and_saveexec_b64 s[4:5], s[0:1]
	s_cbranch_execz .LBB105_11
; %bb.10:
	scratch_load_dword v7, v5, off offset:16
	v_lshl_or_b32 v8, s10, 1, v12
	v_mov_b32_e32 v9, 0
	v_lshl_add_u64 v[8:9], v[8:9], 2, s[2:3]
	s_waitcnt vmcnt(0)
	global_store_dword v[8:9], v7, off
.LBB105_11:
	s_or_b64 exec, exec, s[4:5]
	scratch_load_dwordx2 v[8:9], off, off offset:24
	s_waitcnt vmcnt(0)
	ds_bpermute_b32 v10, v0, v8
	ds_bpermute_b32 v11, v0, v9
	s_waitcnt lgkmcnt(0)
	v_pk_add_f32 v[8:9], v[8:9], v[10:11]
	ds_bpermute_b32 v10, v1, v8
	ds_bpermute_b32 v11, v1, v9
	s_waitcnt lgkmcnt(0)
	v_pk_add_f32 v[8:9], v[8:9], v[10:11]
	;; [unrolled: 4-line block ×6, first 2 shown]
	scratch_store_dwordx2 off, v[8:9], off offset:24
	s_and_saveexec_b64 s[4:5], s[0:1]
	s_cbranch_execz .LBB105_13
; %bb.12:
	scratch_load_dword v7, v5, off offset:24
	v_mad_u64_u32 v[8:9], s[6:7], s10, 3, v[12:13]
	v_mov_b32_e32 v9, 0
	v_lshl_add_u64 v[8:9], v[8:9], 2, s[2:3]
	s_waitcnt vmcnt(0)
	global_store_dword v[8:9], v7, off
.LBB105_13:
	s_or_b64 exec, exec, s[4:5]
	scratch_load_dwordx2 v[8:9], off, off offset:32
	s_waitcnt vmcnt(0)
	ds_bpermute_b32 v10, v0, v8
	ds_bpermute_b32 v11, v0, v9
	s_waitcnt lgkmcnt(0)
	v_pk_add_f32 v[8:9], v[8:9], v[10:11]
	ds_bpermute_b32 v10, v1, v8
	ds_bpermute_b32 v11, v1, v9
	s_waitcnt lgkmcnt(0)
	v_pk_add_f32 v[8:9], v[8:9], v[10:11]
	;; [unrolled: 4-line block ×6, first 2 shown]
	scratch_store_dwordx2 off, v[8:9], off offset:32
	s_and_saveexec_b64 s[4:5], s[0:1]
	s_cbranch_execz .LBB105_15
; %bb.14:
	scratch_load_dword v7, v5, off offset:32
	v_lshl_or_b32 v8, s10, 2, v12
	v_mov_b32_e32 v9, 0
	v_lshl_add_u64 v[8:9], v[8:9], 2, s[2:3]
	s_waitcnt vmcnt(0)
	global_store_dword v[8:9], v7, off
.LBB105_15:
	s_or_b64 exec, exec, s[4:5]
	scratch_load_dwordx2 v[8:9], off, off offset:40
	s_waitcnt vmcnt(0)
	ds_bpermute_b32 v10, v0, v8
	ds_bpermute_b32 v11, v0, v9
	s_waitcnt lgkmcnt(0)
	v_pk_add_f32 v[8:9], v[8:9], v[10:11]
	ds_bpermute_b32 v0, v1, v8
	ds_bpermute_b32 v1, v1, v9
	s_waitcnt lgkmcnt(0)
	v_pk_add_f32 v[0:1], v[8:9], v[0:1]
	;; [unrolled: 4-line block ×6, first 2 shown]
	scratch_store_dwordx2 off, v[0:1], off offset:40
	s_and_b64 exec, exec, s[0:1]
	s_cbranch_execz .LBB105_17
; %bb.16:
	scratch_load_dword v2, v5, off offset:40
	v_mad_u64_u32 v[0:1], s[0:1], s10, 5, v[12:13]
	v_mov_b32_e32 v1, 0
	v_lshl_add_u64 v[0:1], v[0:1], 2, s[2:3]
	s_waitcnt vmcnt(0)
	global_store_dword v[0:1], v2, off
.LBB105_17:
	s_endpgm
	.section	.rodata,"a",@progbits
	.p2align	6, 0x0
	.amdhsa_kernel _ZL13mul_mat_vec_qIL9ggml_type10ELi6ELb0ELb0EEvPKvS2_PKi31ggml_cuda_mm_fusion_args_devicePfj15HIP_vector_typeIjLj3EEjjjS8_jjjS8_jjjj
		.amdhsa_group_segment_fixed_size 0
		.amdhsa_private_segment_fixed_size 64
		.amdhsa_kernarg_size 144
		.amdhsa_user_sgpr_count 2
		.amdhsa_user_sgpr_dispatch_ptr 0
		.amdhsa_user_sgpr_queue_ptr 0
		.amdhsa_user_sgpr_kernarg_segment_ptr 1
		.amdhsa_user_sgpr_dispatch_id 0
		.amdhsa_user_sgpr_kernarg_preload_length 0
		.amdhsa_user_sgpr_kernarg_preload_offset 0
		.amdhsa_user_sgpr_private_segment_size 0
		.amdhsa_uses_dynamic_stack 0
		.amdhsa_enable_private_segment 1
		.amdhsa_system_sgpr_workgroup_id_x 1
		.amdhsa_system_sgpr_workgroup_id_y 1
		.amdhsa_system_sgpr_workgroup_id_z 1
		.amdhsa_system_sgpr_workgroup_info 0
		.amdhsa_system_vgpr_workitem_id 1
		.amdhsa_next_free_vgpr 78
		.amdhsa_next_free_sgpr 30
		.amdhsa_accum_offset 80
		.amdhsa_reserve_vcc 1
		.amdhsa_float_round_mode_32 0
		.amdhsa_float_round_mode_16_64 0
		.amdhsa_float_denorm_mode_32 3
		.amdhsa_float_denorm_mode_16_64 3
		.amdhsa_dx10_clamp 1
		.amdhsa_ieee_mode 1
		.amdhsa_fp16_overflow 0
		.amdhsa_tg_split 0
		.amdhsa_exception_fp_ieee_invalid_op 0
		.amdhsa_exception_fp_denorm_src 0
		.amdhsa_exception_fp_ieee_div_zero 0
		.amdhsa_exception_fp_ieee_overflow 0
		.amdhsa_exception_fp_ieee_underflow 0
		.amdhsa_exception_fp_ieee_inexact 0
		.amdhsa_exception_int_div_zero 0
	.end_amdhsa_kernel
	.section	.text._ZL13mul_mat_vec_qIL9ggml_type10ELi6ELb0ELb0EEvPKvS2_PKi31ggml_cuda_mm_fusion_args_devicePfj15HIP_vector_typeIjLj3EEjjjS8_jjjS8_jjjj,"axG",@progbits,_ZL13mul_mat_vec_qIL9ggml_type10ELi6ELb0ELb0EEvPKvS2_PKi31ggml_cuda_mm_fusion_args_devicePfj15HIP_vector_typeIjLj3EEjjjS8_jjjS8_jjjj,comdat
.Lfunc_end105:
	.size	_ZL13mul_mat_vec_qIL9ggml_type10ELi6ELb0ELb0EEvPKvS2_PKi31ggml_cuda_mm_fusion_args_devicePfj15HIP_vector_typeIjLj3EEjjjS8_jjjS8_jjjj, .Lfunc_end105-_ZL13mul_mat_vec_qIL9ggml_type10ELi6ELb0ELb0EEvPKvS2_PKi31ggml_cuda_mm_fusion_args_devicePfj15HIP_vector_typeIjLj3EEjjjS8_jjjS8_jjjj
                                        ; -- End function
	.section	.AMDGPU.csdata,"",@progbits
; Kernel info:
; codeLenInByte = 5728
; NumSgprs: 36
; NumVgprs: 78
; NumAgprs: 0
; TotalNumVgprs: 78
; ScratchSize: 64
; MemoryBound: 0
; FloatMode: 240
; IeeeMode: 1
; LDSByteSize: 0 bytes/workgroup (compile time only)
; SGPRBlocks: 4
; VGPRBlocks: 9
; NumSGPRsForWavesPerEU: 36
; NumVGPRsForWavesPerEU: 78
; AccumOffset: 80
; Occupancy: 6
; WaveLimiterHint : 0
; COMPUTE_PGM_RSRC2:SCRATCH_EN: 1
; COMPUTE_PGM_RSRC2:USER_SGPR: 2
; COMPUTE_PGM_RSRC2:TRAP_HANDLER: 0
; COMPUTE_PGM_RSRC2:TGID_X_EN: 1
; COMPUTE_PGM_RSRC2:TGID_Y_EN: 1
; COMPUTE_PGM_RSRC2:TGID_Z_EN: 1
; COMPUTE_PGM_RSRC2:TIDIG_COMP_CNT: 1
; COMPUTE_PGM_RSRC3_GFX90A:ACCUM_OFFSET: 19
; COMPUTE_PGM_RSRC3_GFX90A:TG_SPLIT: 0
	.section	.text._ZL13mul_mat_vec_qIL9ggml_type10ELi7ELb0ELb0EEvPKvS2_PKi31ggml_cuda_mm_fusion_args_devicePfj15HIP_vector_typeIjLj3EEjjjS8_jjjS8_jjjj,"axG",@progbits,_ZL13mul_mat_vec_qIL9ggml_type10ELi7ELb0ELb0EEvPKvS2_PKi31ggml_cuda_mm_fusion_args_devicePfj15HIP_vector_typeIjLj3EEjjjS8_jjjS8_jjjj,comdat
	.globl	_ZL13mul_mat_vec_qIL9ggml_type10ELi7ELb0ELb0EEvPKvS2_PKi31ggml_cuda_mm_fusion_args_devicePfj15HIP_vector_typeIjLj3EEjjjS8_jjjS8_jjjj ; -- Begin function _ZL13mul_mat_vec_qIL9ggml_type10ELi7ELb0ELb0EEvPKvS2_PKi31ggml_cuda_mm_fusion_args_devicePfj15HIP_vector_typeIjLj3EEjjjS8_jjjS8_jjjj
	.p2align	8
	.type	_ZL13mul_mat_vec_qIL9ggml_type10ELi7ELb0ELb0EEvPKvS2_PKi31ggml_cuda_mm_fusion_args_devicePfj15HIP_vector_typeIjLj3EEjjjS8_jjjS8_jjjj,@function
_ZL13mul_mat_vec_qIL9ggml_type10ELi7ELb0ELb0EEvPKvS2_PKi31ggml_cuda_mm_fusion_args_devicePfj15HIP_vector_typeIjLj3EEjjjS8_jjjS8_jjjj: ; @_ZL13mul_mat_vec_qIL9ggml_type10ELi7ELb0ELb0EEvPKvS2_PKi31ggml_cuda_mm_fusion_args_devicePfj15HIP_vector_typeIjLj3EEjjjS8_jjjS8_jjjj
; %bb.0:
	v_bfe_u32 v13, v0, 10, 10
	v_and_b32_e32 v12, 0x3ff, v0
	s_mov_b32 s20, 0
	s_load_dword s5, s[0:1], 0x40
	s_load_dwordx4 s[8:11], s[0:1], 0x50
	s_load_dword s25, s[0:1], 0x60
	s_load_dwordx4 s[12:15], s[0:1], 0x68
	;; [unrolled: 2-line block ×3, first 2 shown]
	v_lshl_or_b32 v4, v13, 6, v12
	s_mov_b32 s21, s20
	s_waitcnt lgkmcnt(0)
	s_lshr_b32 s5, s5, 8
	v_mov_b32_e32 v15, 0
	s_mov_b32 s22, s20
	s_mov_b32 s23, s20
	v_mov_b64_e32 v[0:1], s[20:21]
	v_lshrrev_b32_e32 v84, 4, v4
	s_lshl_b32 s2, s2, 1
	v_mov_b32_e32 v14, v15
	v_mov_b64_e32 v[2:3], s[22:23]
	v_cmp_gt_u32_e32 vcc, s5, v84
	scratch_store_dwordx2 off, v[14:15], off offset:48
	scratch_store_dwordx4 off, v[0:3], off offset:32
	scratch_store_dwordx4 off, v[0:3], off offset:16
	scratch_store_dwordx4 off, v[0:3], off
	s_and_saveexec_b64 s[6:7], vcc
	s_cbranch_execz .LBB106_4
; %bb.1:
	s_load_dwordx4 s[20:23], s[0:1], 0x0
	s_mul_i32 s17, s4, s17
	s_mul_hi_u32 s19, s17, 36
	s_mul_i32 s17, s17, 36
	s_mul_i32 s13, s3, s13
	s_waitcnt lgkmcnt(0)
	s_add_u32 s17, s22, s17
	s_addc_u32 s19, s23, s19
	s_mul_hi_u32 s23, s13, 36
	s_mul_i32 s13, s13, 36
	s_add_u32 s22, s17, s13
	s_mul_hi_u32 s11, s11, s3
	s_addc_u32 s23, s19, s23
	s_add_i32 s11, s3, s11
	s_lshr_b32 s11, s11, s25
	s_mul_i32 s11, s11, s12
	s_mul_hi_u32 s12, s15, s4
	s_add_i32 s12, s4, s12
	v_and_b32_e32 v0, 15, v12
	v_lshrrev_b32_e32 v1, 1, v12
	v_and_b32_e32 v2, 7, v12
	s_lshr_b32 s12, s12, s24
	v_and_b32_e32 v1, 4, v1
	v_sub_u32_e32 v3, v0, v2
	v_bfe_u32 v4, v12, 2, 1
	s_mul_i32 s15, s12, s16
	v_add_u32_e32 v16, v3, v4
	v_mad_u64_u32 v[18:19], s[12:13], v1, 36, s[22:23]
	v_lshl_add_u32 v1, v13, 6, v12
	v_bfe_u32 v3, v12, 3, 1
	v_lshrrev_b32_e32 v1, 4, v1
	v_mul_hi_u32_u24_e32 v5, 0x90, v3
	v_mul_u32_u24_e32 v4, 0x90, v3
	s_movk_i32 s12, 0x120
	v_mad_u64_u32 v[4:5], s[12:13], v1, s12, v[4:5]
	s_add_i32 s12, s2, 1
	s_mul_i32 s16, s2, s8
	s_add_i32 s15, s15, s11
	s_mul_i32 s8, s8, s12
	v_ashrrev_i32_e32 v17, 31, v16
	s_add_i32 s11, s15, s16
	v_lshlrev_b32_e32 v14, 2, v2
	v_lshl_add_u64 v[20:21], s[22:23], 0, v[4:5]
	s_add_i32 s8, s15, s8
	s_lshl_b32 s15, s9, 1
	v_lshlrev_b32_e32 v85, 3, v84
	s_mul_i32 s19, s9, 3
	s_lshl_b32 s24, s9, 2
	s_mul_i32 s25, s9, 5
	s_mul_i32 s26, s9, 6
	s_mov_b64 s[12:13], 0
	s_movk_i32 s27, 0x54
	v_mov_b64_e32 v[24:25], s[20:21]
	v_lshlrev_b32_e32 v26, 2, v0
	s_mov_b32 s28, 0x1010101
	v_lshlrev_b32_e32 v28, 2, v2
	s_mov_b64 s[16:17], 0x48
	s_mov_b64 s[20:21], 0x6c
	;; [unrolled: 1-line block ×3, first 2 shown]
	v_mov_b32_e32 v27, v15
	v_mov_b32_e32 v29, v15
	v_mov_b32_e32 v8, v15
	v_mov_b32_e32 v9, v15
	v_mov_b32_e32 v10, v15
	v_mov_b32_e32 v11, v15
	v_mov_b32_e32 v4, v15
	v_mov_b32_e32 v5, v15
	v_mov_b32_e32 v6, v15
	v_mov_b32_e32 v7, v15
	v_mov_b32_e32 v0, v15
	v_mov_b32_e32 v1, v15
	v_mov_b32_e32 v2, v15
	v_mov_b32_e32 v3, v15
	v_mov_b32_e32 v22, v15
	v_mov_b32_e32 v23, v15
.LBB106_2:                              ; =>This Inner Loop Header: Depth=1
	v_add_u32_e32 v30, s11, v84
	v_add_u32_e32 v32, s8, v84
	v_mad_i64_i32 v[30:31], s[30:31], v30, s27, v[24:25]
	v_lshl_add_u64 v[34:35], v[20:21], 0, v[14:15]
	v_mad_i64_i32 v[32:33], s[30:31], v32, s27, v[24:25]
	v_lshl_add_u64 v[36:37], v[30:31], 0, v[26:27]
	global_load_dword v44, v[20:21], off
	global_load_dword v46, v[20:21], off offset:36
	global_load_dword v58, v[34:35], off offset:4
	;; [unrolled: 1-line block ×3, first 2 shown]
	v_lshl_add_u64 v[38:39], v[30:31], 0, v[16:17]
	v_lshl_add_u64 v[42:43], v[32:33], 0, v[26:27]
	;; [unrolled: 1-line block ×3, first 2 shown]
	global_load_dword v86, v[36:37], off offset:16
	global_load_ubyte v60, v[38:39], off
	global_load_dword v87, v[42:43], off offset:16
	global_load_ubyte v61, v[40:41], off
	global_load_ubyte v62, v[40:41], off offset:2
	global_load_ubyte v63, v[38:39], off offset:2
	v_mov_b32_e32 v45, 0
	v_mov_b32_e32 v49, 0
	v_mov_b32_e32 v47, 0
	v_mov_b32_e32 v50, 0
	v_mov_b32_e32 v48, 0
	v_mov_b32_e32 v51, 0
	v_mov_b32_e32 v52, 0
	v_mov_b32_e32 v53, 0
	v_add_u32_e32 v54, s9, v85
	v_mov_b32_e32 v55, 0
	v_mov_b32_e32 v56, 0
	;; [unrolled: 1-line block ×9, first 2 shown]
	v_add_u32_e32 v84, 4, v84
	v_cmp_le_u32_e32 vcc, s5, v84
	s_or_b64 s[12:13], vcc, s[12:13]
	s_waitcnt vmcnt(9)
	v_cvt_f32_f16_e32 v36, v44
	s_waitcnt vmcnt(5)
	v_and_b32_e32 v80, 0x3030303, v86
	s_waitcnt vmcnt(4)
	v_lshrrev_b32_e32 v37, 4, v60
	s_waitcnt vmcnt(3)
	v_and_b32_e32 v81, 0x3030303, v87
	s_waitcnt vmcnt(2)
	v_lshrrev_b32_e32 v42, 4, v61
	v_and_b32_e32 v76, 15, v61
	v_and_b32_e32 v77, 15, v60
	v_dot4c_i32_i8_e32 v45, v80, v58
	v_mul_lo_u32 v82, v37, s28
	v_dot4c_i32_i8_e32 v49, v81, v58
	v_mul_lo_u32 v83, v42, s28
	v_dot4c_i32_i8_e32 v47, v82, v58
	v_dot4c_i32_i8_e32 v50, v83, v58
	v_mul_lo_u32 v37, v77, v45
	v_mul_lo_u32 v42, v76, v49
	v_cvt_f32_i32_e32 v43, v42
	v_cvt_f32_i32_e32 v42, v37
	;; [unrolled: 1-line block ×4, first 2 shown]
	v_lshrrev_b32_e32 v64, 2, v86
	v_lshrrev_b32_e32 v65, 2, v87
	v_and_b32_e32 v89, 0x3030303, v64
	v_and_b32_e32 v88, 0x3030303, v65
	s_waitcnt vmcnt(1)
	v_and_b32_e32 v78, 15, v62
	s_waitcnt vmcnt(0)
	v_and_b32_e32 v79, 15, v63
	v_dot4c_i32_i8_e32 v48, v89, v59
	v_dot4c_i32_i8_e32 v51, v88, v59
	v_pk_fma_f32 v[42:43], v[36:37], v[42:43], 0 op_sel_hi:[0,1,0]
	v_pk_fma_f32 v[36:37], v[36:37], v[44:45], 0 op_sel_hi:[0,1,0]
	v_mul_lo_u32 v44, v79, v48
	v_mul_lo_u32 v45, v78, v51
	v_cvt_f32_i32_e32 v45, v45
	v_cvt_f32_i32_e32 v44, v44
	v_cvt_f32_f16_e32 v46, v46
	v_mov_b32_e32 v48, 0
	v_pk_fma_f32 v[44:45], v[46:47], v[44:45], v[42:43] op_sel_hi:[0,1,1]
	v_lshrrev_b32_e32 v42, 4, v63
	v_lshrrev_b32_e32 v43, 4, v62
	v_mul_lo_u32 v91, v42, s28
	v_mul_lo_u32 v90, v43, s28
	v_dot4c_i32_i8_e32 v52, v91, v59
	v_dot4c_i32_i8_e32 v53, v90, v59
	v_mov_b32_e32 v47, 0
	s_nop 0
	v_cvt_f32_i32_e32 v42, v52
	v_cvt_f32_i32_e32 v43, v53
	v_mov_b32_e32 v52, 0
	v_pk_fma_f32 v[50:51], v[46:47], v[42:43], v[36:37] op_sel_hi:[0,1,1]
	v_mad_u64_u32 v[36:37], s[30:31], v54, 36, v[18:19]
	v_lshl_add_u64 v[42:43], v[36:37], 0, v[28:29]
	global_load_dword v46, v[36:37], off
	global_load_dword v49, v[42:43], off offset:4
	global_load_dword v53, v[36:37], off offset:36
	s_waitcnt vmcnt(2)
	v_cvt_f32_f16_e32 v42, v46
	s_waitcnt vmcnt(1)
	v_dot4c_i32_i8_e32 v55, v80, v49
	v_dot4c_i32_i8_e32 v47, v81, v49
	;; [unrolled: 1-line block ×4, first 2 shown]
	v_mul_lo_u32 v43, v77, v55
	v_mul_lo_u32 v46, v76, v47
	v_cvt_f32_i32_e32 v47, v46
	v_cvt_f32_i32_e32 v46, v43
	;; [unrolled: 1-line block ×4, first 2 shown]
	s_waitcnt vmcnt(0)
	v_cvt_f32_f16_e32 v54, v53
	v_pk_fma_f32 v[46:47], v[42:43], v[46:47], 0 op_sel_hi:[0,1,0]
	v_pk_fma_f32 v[42:43], v[42:43], v[48:49], 0 op_sel_hi:[0,1,0]
	v_lshl_add_u64 v[48:49], v[36:37], 0, 36
	v_lshl_add_u64 v[48:49], v[48:49], 0, v[28:29]
	global_load_dword v55, v[48:49], off offset:4
	s_waitcnt vmcnt(0)
	v_dot4c_i32_i8_e32 v57, v89, v55
	v_dot4c_i32_i8_e32 v52, v88, v55
	s_nop 1
	v_mul_lo_u32 v48, v79, v57
	v_cvt_f32_i32_e32 v48, v48
	v_mul_lo_u32 v49, v78, v52
	v_cvt_f32_i32_e32 v49, v49
	v_pk_fma_f32 v[52:53], v[54:55], v[48:49], v[46:47] op_sel_hi:[0,1,1]
	v_mov_b32_e32 v46, 0
	v_mov_b32_e32 v47, 0
	v_dot4c_i32_i8_e32 v46, v91, v55
	v_dot4c_i32_i8_e32 v47, v90, v55
	v_add_u32_e32 v48, s15, v85
	v_mov_b32_e32 v49, 0
	v_cvt_f32_i32_e32 v46, v46
	v_cvt_f32_i32_e32 v47, v47
	v_pk_fma_f32 v[58:59], v[54:55], v[46:47], v[42:43] op_sel_hi:[0,1,1]
	v_mad_u64_u32 v[42:43], s[30:31], v48, 36, v[18:19]
	v_lshl_add_u64 v[46:47], v[42:43], 0, v[28:29]
	global_load_dword v46, v[46:47], off offset:4
	v_mov_b32_e32 v54, 0
	v_mov_b32_e32 v47, 0
	;; [unrolled: 1-line block ×3, first 2 shown]
	global_load_dword v56, v[42:43], off offset:36
	s_waitcnt vmcnt(1)
	v_dot4c_i32_i8_e32 v49, v80, v46
	v_dot4c_i32_i8_e32 v54, v83, v46
	;; [unrolled: 1-line block ×4, first 2 shown]
	v_mul_lo_u32 v46, v77, v49
	v_cvt_f32_i32_e32 v49, v54
	global_load_dword v54, v[42:43], off
	v_mul_lo_u32 v47, v76, v47
	v_cvt_f32_i32_e32 v47, v47
	v_cvt_f32_i32_e32 v46, v46
	;; [unrolled: 1-line block ×3, first 2 shown]
	s_waitcnt vmcnt(1)
	v_cvt_f32_f16_e32 v56, v56
	s_waitcnt vmcnt(0)
	v_cvt_f32_f16_e32 v54, v54
	v_pk_fma_f32 v[46:47], v[54:55], v[46:47], 0 op_sel_hi:[0,1,0]
	v_pk_fma_f32 v[48:49], v[54:55], v[48:49], 0 op_sel_hi:[0,1,0]
	v_lshl_add_u64 v[54:55], v[42:43], 0, 36
	v_lshl_add_u64 v[54:55], v[54:55], 0, v[28:29]
	global_load_dword v57, v[54:55], off offset:4
	v_mov_b32_e32 v54, 0
	v_mov_b32_e32 v55, 0
	s_waitcnt vmcnt(0)
	v_dot4c_i32_i8_e32 v54, v89, v57
	v_dot4c_i32_i8_e32 v55, v88, v57
	s_nop 1
	v_mul_lo_u32 v54, v79, v54
	v_cvt_f32_i32_e32 v54, v54
	v_mul_lo_u32 v55, v78, v55
	v_cvt_f32_i32_e32 v55, v55
	v_pk_fma_f32 v[60:61], v[56:57], v[54:55], v[46:47] op_sel_hi:[0,1,1]
	v_mov_b32_e32 v46, 0
	v_mov_b32_e32 v47, 0
	v_dot4c_i32_i8_e32 v46, v91, v57
	v_dot4c_i32_i8_e32 v47, v90, v57
	v_mov_b32_e32 v54, 0
	v_mov_b32_e32 v55, 0
	v_cvt_f32_i32_e32 v46, v46
	v_cvt_f32_i32_e32 v47, v47
	v_pk_fma_f32 v[62:63], v[56:57], v[46:47], v[48:49] op_sel_hi:[0,1,1]
	v_add_u32_e32 v46, s19, v85
	v_mad_u64_u32 v[46:47], s[30:31], v46, 36, v[18:19]
	v_lshl_add_u64 v[48:49], v[46:47], 0, v[28:29]
	global_load_dword v48, v[48:49], off offset:4
	v_mov_b32_e32 v49, 0
	v_mov_b32_e32 v56, 0
	global_load_dword v64, v[46:47], off offset:36
	s_waitcnt vmcnt(1)
	v_dot4c_i32_i8_e32 v49, v80, v48
	v_dot4c_i32_i8_e32 v54, v81, v48
	;; [unrolled: 1-line block ×4, first 2 shown]
	v_mul_lo_u32 v48, v77, v49
	v_mul_lo_u32 v49, v76, v54
	v_cvt_f32_i32_e32 v54, v56
	global_load_dword v56, v[46:47], off
	v_cvt_f32_i32_e32 v49, v49
	v_cvt_f32_i32_e32 v48, v48
	;; [unrolled: 1-line block ×3, first 2 shown]
	s_waitcnt vmcnt(1)
	v_cvt_f32_f16_e32 v66, v64
	s_waitcnt vmcnt(0)
	v_cvt_f32_f16_e32 v56, v56
	v_pk_fma_f32 v[48:49], v[56:57], v[48:49], 0 op_sel_hi:[0,1,0]
	v_pk_fma_f32 v[54:55], v[56:57], v[54:55], 0 op_sel_hi:[0,1,0]
	v_lshl_add_u64 v[56:57], v[46:47], 0, 36
	v_lshl_add_u64 v[56:57], v[56:57], 0, v[28:29]
	global_load_dword v67, v[56:57], off offset:4
	v_mov_b32_e32 v56, 0
	v_mov_b32_e32 v57, 0
	s_waitcnt vmcnt(0)
	v_dot4c_i32_i8_e32 v56, v89, v67
	v_dot4c_i32_i8_e32 v57, v88, v67
	s_nop 1
	v_mul_lo_u32 v56, v79, v56
	v_cvt_f32_i32_e32 v56, v56
	v_mul_lo_u32 v57, v78, v57
	v_cvt_f32_i32_e32 v57, v57
	v_pk_fma_f32 v[64:65], v[66:67], v[56:57], v[48:49] op_sel_hi:[0,1,1]
	v_mov_b32_e32 v48, 0
	v_mov_b32_e32 v49, 0
	v_dot4c_i32_i8_e32 v48, v91, v67
	v_dot4c_i32_i8_e32 v49, v90, v67
	v_mov_b32_e32 v56, 0
	v_mov_b32_e32 v57, 0
	v_cvt_f32_i32_e32 v48, v48
	v_cvt_f32_i32_e32 v49, v49
	v_pk_fma_f32 v[66:67], v[66:67], v[48:49], v[54:55] op_sel_hi:[0,1,1]
	v_add_u32_e32 v48, s24, v85
	v_mad_u64_u32 v[54:55], s[30:31], v48, 36, v[18:19]
	v_lshl_add_u64 v[48:49], v[54:55], 0, v[28:29]
	global_load_dword v48, v[48:49], off offset:4
	s_nop 0
	global_load_dword v70, v[54:55], off offset:36
	v_mov_b32_e32 v49, 0
	s_waitcnt vmcnt(1)
	v_dot4c_i32_i8_e32 v49, v80, v48
	v_dot4c_i32_i8_e32 v56, v81, v48
	;; [unrolled: 1-line block ×4, first 2 shown]
	v_mul_lo_u32 v48, v77, v49
	v_mul_lo_u32 v49, v76, v56
	v_cvt_f32_i32_e32 v56, v68
	global_load_dword v68, v[54:55], off
	v_cvt_f32_i32_e32 v49, v49
	v_cvt_f32_i32_e32 v48, v48
	;; [unrolled: 1-line block ×3, first 2 shown]
	s_waitcnt vmcnt(1)
	v_cvt_f32_f16_e32 v70, v70
	s_waitcnt vmcnt(0)
	v_cvt_f32_f16_e32 v68, v68
	v_pk_fma_f32 v[48:49], v[68:69], v[48:49], 0 op_sel_hi:[0,1,0]
	v_pk_fma_f32 v[56:57], v[68:69], v[56:57], 0 op_sel_hi:[0,1,0]
	v_lshl_add_u64 v[68:69], v[54:55], 0, 36
	v_lshl_add_u64 v[68:69], v[68:69], 0, v[28:29]
	global_load_dword v71, v[68:69], off offset:4
	v_mov_b32_e32 v68, 0
	v_mov_b32_e32 v69, 0
	s_waitcnt vmcnt(0)
	v_dot4c_i32_i8_e32 v68, v89, v71
	v_dot4c_i32_i8_e32 v69, v88, v71
	s_nop 1
	v_mul_lo_u32 v68, v79, v68
	v_cvt_f32_i32_e32 v68, v68
	v_mul_lo_u32 v69, v78, v69
	v_cvt_f32_i32_e32 v69, v69
	v_pk_fma_f32 v[68:69], v[70:71], v[68:69], v[48:49] op_sel_hi:[0,1,1]
	v_mov_b32_e32 v48, 0
	v_mov_b32_e32 v49, 0
	v_dot4c_i32_i8_e32 v48, v91, v71
	v_dot4c_i32_i8_e32 v49, v90, v71
	s_nop 1
	v_cvt_f32_i32_e32 v48, v48
	v_cvt_f32_i32_e32 v49, v49
	v_pk_fma_f32 v[70:71], v[70:71], v[48:49], v[56:57] op_sel_hi:[0,1,1]
	v_add_u32_e32 v48, s25, v85
	v_mad_u64_u32 v[56:57], s[30:31], v48, 36, v[18:19]
	v_lshl_add_u64 v[48:49], v[56:57], 0, v[28:29]
	global_load_dword v48, v[48:49], off offset:4
	s_nop 0
	global_load_dword v92, v[56:57], off offset:36
	v_mov_b32_e32 v49, 0
	s_waitcnt vmcnt(1)
	v_dot4c_i32_i8_e32 v49, v80, v48
	v_dot4c_i32_i8_e32 v72, v81, v48
	v_dot4c_i32_i8_e32 v74, v82, v48
	v_dot4c_i32_i8_e32 v73, v83, v48
	v_mul_lo_u32 v48, v77, v49
	v_mul_lo_u32 v49, v76, v72
	v_cvt_f32_i32_e32 v72, v74
	global_load_dword v74, v[56:57], off
	v_cvt_f32_i32_e32 v49, v49
	v_cvt_f32_i32_e32 v48, v48
	;; [unrolled: 1-line block ×3, first 2 shown]
	s_waitcnt vmcnt(1)
	v_cvt_f32_f16_e32 v92, v92
	s_waitcnt vmcnt(0)
	v_cvt_f32_f16_e32 v74, v74
	v_pk_fma_f32 v[48:49], v[74:75], v[48:49], 0 op_sel_hi:[0,1,0]
	v_pk_fma_f32 v[74:75], v[74:75], v[72:73], 0 op_sel_hi:[0,1,0]
	v_lshl_add_u64 v[72:73], v[56:57], 0, 36
	v_lshl_add_u64 v[72:73], v[72:73], 0, v[28:29]
	global_load_dword v93, v[72:73], off offset:4
	v_mov_b32_e32 v72, 0
	v_mov_b32_e32 v73, 0
	s_waitcnt vmcnt(0)
	v_dot4c_i32_i8_e32 v72, v89, v93
	v_dot4c_i32_i8_e32 v73, v88, v93
	s_nop 1
	v_mul_lo_u32 v72, v79, v72
	v_cvt_f32_i32_e32 v72, v72
	v_mul_lo_u32 v73, v78, v73
	v_cvt_f32_i32_e32 v73, v73
	v_pk_fma_f32 v[72:73], v[92:93], v[72:73], v[48:49] op_sel_hi:[0,1,1]
	v_mov_b32_e32 v48, 0
	v_mov_b32_e32 v49, 0
	v_dot4c_i32_i8_e32 v48, v91, v93
	v_dot4c_i32_i8_e32 v49, v90, v93
	s_nop 1
	v_cvt_f32_i32_e32 v48, v48
	v_cvt_f32_i32_e32 v49, v49
	v_pk_fma_f32 v[74:75], v[92:93], v[48:49], v[74:75] op_sel_hi:[0,1,1]
	v_add_u32_e32 v48, s26, v85
	v_mad_u64_u32 v[48:49], s[30:31], v48, 36, v[18:19]
	v_lshl_add_u64 v[92:93], v[48:49], 0, v[28:29]
	global_load_dword v92, v[92:93], off offset:4
	v_mov_b32_e32 v93, 0
	v_add_u32_e32 v85, 32, v85
	s_waitcnt vmcnt(0)
	v_dot4c_i32_i8_e32 v93, v80, v92
	v_dot4c_i32_i8_e32 v94, v81, v92
	v_lshl_add_u64 v[80:81], v[48:49], 0, 36
	v_lshl_add_u64 v[80:81], v[80:81], 0, v[28:29]
	global_load_dword v80, v[80:81], off offset:4
	v_dot4c_i32_i8_e32 v95, v82, v92
	v_mov_b32_e32 v82, 0
	v_dot4c_i32_i8_e32 v82, v83, v92
	v_mov_b32_e32 v83, 0
	v_mul_lo_u32 v76, v76, v94
	global_load_ubyte v92, v[40:41], off offset:4
	v_cvt_f32_i32_e32 v81, v82
	global_load_dword v82, v[48:49], off
	s_waitcnt vmcnt(2)
	v_dot4c_i32_i8_e32 v83, v89, v80
	v_mov_b32_e32 v89, 0
	v_dot4c_i32_i8_e32 v89, v88, v80
	v_mov_b32_e32 v88, 0
	;; [unrolled: 2-line block ×3, first 2 shown]
	v_dot4c_i32_i8_e32 v91, v90, v80
	v_mul_lo_u32 v80, v77, v93
	v_cvt_f32_i32_e32 v77, v76
	v_cvt_f32_i32_e32 v76, v80
	;; [unrolled: 1-line block ×3, first 2 shown]
	s_waitcnt vmcnt(0)
	v_cvt_f32_f16_e32 v82, v82
	v_mul_lo_u32 v78, v78, v89
	global_load_dword v93, v[20:21], off offset:72
	v_pk_fma_f32 v[76:77], v[82:83], v[76:77], 0 op_sel_hi:[0,1,0]
	v_pk_fma_f32 v[80:81], v[82:83], v[80:81], 0 op_sel_hi:[0,1,0]
	v_mul_lo_u32 v82, v79, v83
	v_cvt_f32_i32_e32 v79, v78
	v_cvt_f32_i32_e32 v78, v82
	global_load_dword v82, v[48:49], off offset:36
	s_waitcnt vmcnt(1)
	v_cvt_f32_f16_e32 v94, v93
	s_waitcnt vmcnt(0)
	v_cvt_f32_f16_e32 v82, v82
	v_pk_fma_f32 v[76:77], v[82:83], v[78:79], v[76:77] op_sel_hi:[0,1,1]
	v_cvt_f32_i32_e32 v79, v91
	v_cvt_f32_i32_e32 v78, v88
	v_and_b32_e32 v91, 15, v92
	v_pk_fma_f32 v[78:79], v[82:83], v[78:79], v[80:81] op_sel_hi:[0,1,1]
	global_load_dword v82, v[34:35], off offset:76
	global_load_ubyte v83, v[38:39], off offset:4
	v_lshrrev_b32_e32 v80, 4, v86
	v_and_b32_e32 v88, 0x3030303, v80
	v_lshrrev_b32_e32 v80, 4, v87
	v_and_b32_e32 v89, 0x3030303, v80
	v_mov_b32_e32 v80, 0
	v_mov_b32_e32 v81, 0
	s_waitcnt vmcnt(1)
	v_dot4c_i32_i8_e32 v80, v88, v82
	v_dot4c_i32_i8_e32 v81, v89, v82
	s_waitcnt vmcnt(0)
	v_and_b32_e32 v90, 15, v83
	v_mul_lo_u32 v80, v90, v80
	v_cvt_f32_i32_e32 v80, v80
	v_mul_lo_u32 v81, v91, v81
	v_cvt_f32_i32_e32 v81, v81
	v_pk_fma_f32 v[80:81], v[94:95], v[80:81], v[44:45] op_sel_hi:[0,1,1]
	v_lshrrev_b32_e32 v44, 4, v83
	v_lshrrev_b32_e32 v45, 4, v92
	v_mul_lo_u32 v92, v44, s28
	v_mul_lo_u32 v93, v45, s28
	v_mov_b32_e32 v44, 0
	v_mov_b32_e32 v45, 0
	v_dot4c_i32_i8_e32 v44, v92, v82
	v_dot4c_i32_i8_e32 v45, v93, v82
	s_nop 1
	v_cvt_f32_i32_e32 v44, v44
	v_cvt_f32_i32_e32 v45, v45
	v_pk_fma_f32 v[82:83], v[94:95], v[44:45], v[50:51] op_sel_hi:[0,1,1]
	v_lshl_add_u64 v[44:45], v[36:37], 0, s[16:17]
	v_lshl_add_u64 v[44:45], v[44:45], 0, v[28:29]
	global_load_dword v51, v[44:45], off offset:4
	global_load_dword v50, v[36:37], off offset:72
	v_mov_b32_e32 v44, 0
	v_mov_b32_e32 v45, 0
	s_waitcnt vmcnt(1)
	v_dot4c_i32_i8_e32 v44, v88, v51
	v_dot4c_i32_i8_e32 v45, v89, v51
	s_nop 1
	v_mul_lo_u32 v44, v90, v44
	v_cvt_f32_i32_e32 v44, v44
	s_waitcnt vmcnt(0)
	v_cvt_f32_f16_e32 v50, v50
	v_mul_lo_u32 v45, v91, v45
	v_cvt_f32_i32_e32 v45, v45
	v_pk_fma_f32 v[52:53], v[50:51], v[44:45], v[52:53] op_sel_hi:[0,1,1]
	v_mov_b32_e32 v44, 0
	v_mov_b32_e32 v45, 0
	v_dot4c_i32_i8_e32 v44, v92, v51
	v_dot4c_i32_i8_e32 v45, v93, v51
	s_nop 1
	v_cvt_f32_i32_e32 v44, v44
	v_cvt_f32_i32_e32 v45, v45
	v_pk_fma_f32 v[58:59], v[50:51], v[44:45], v[58:59] op_sel_hi:[0,1,1]
	v_lshl_add_u64 v[44:45], v[42:43], 0, s[16:17]
	v_lshl_add_u64 v[44:45], v[44:45], 0, v[28:29]
	global_load_dword v51, v[44:45], off offset:4
	global_load_dword v50, v[42:43], off offset:72
	v_mov_b32_e32 v44, 0
	v_mov_b32_e32 v45, 0
	s_waitcnt vmcnt(1)
	v_dot4c_i32_i8_e32 v44, v88, v51
	v_dot4c_i32_i8_e32 v45, v89, v51
	s_nop 1
	v_mul_lo_u32 v44, v90, v44
	v_cvt_f32_i32_e32 v44, v44
	s_waitcnt vmcnt(0)
	v_cvt_f32_f16_e32 v50, v50
	v_mul_lo_u32 v45, v91, v45
	v_cvt_f32_i32_e32 v45, v45
	v_pk_fma_f32 v[60:61], v[50:51], v[44:45], v[60:61] op_sel_hi:[0,1,1]
	;; [unrolled: 25-line block ×5, first 2 shown]
	v_mov_b32_e32 v44, 0
	v_mov_b32_e32 v45, 0
	v_dot4c_i32_i8_e32 v44, v92, v51
	v_dot4c_i32_i8_e32 v45, v93, v51
	s_nop 1
	v_cvt_f32_i32_e32 v44, v44
	v_cvt_f32_i32_e32 v45, v45
	v_pk_fma_f32 v[74:75], v[50:51], v[44:45], v[74:75] op_sel_hi:[0,1,1]
	v_lshl_add_u64 v[44:45], v[48:49], 0, s[16:17]
	v_lshl_add_u64 v[44:45], v[44:45], 0, v[28:29]
	global_load_dword v44, v[44:45], off offset:4
	v_mov_b32_e32 v45, 0
	v_mov_b32_e32 v50, 0
	;; [unrolled: 1-line block ×3, first 2 shown]
	s_waitcnt vmcnt(0)
	v_dot4c_i32_i8_e32 v45, v88, v44
	v_dot4c_i32_i8_e32 v50, v89, v44
	v_mov_b32_e32 v88, 0
	v_dot4c_i32_i8_e32 v51, v92, v44
	v_dot4c_i32_i8_e32 v88, v93, v44
	v_mul_lo_u32 v44, v90, v45
	v_mul_lo_u32 v45, v91, v50
	global_load_dword v50, v[48:49], off offset:72
	v_cvt_f32_i32_e32 v45, v45
	v_cvt_f32_i32_e32 v44, v44
	s_waitcnt vmcnt(0)
	v_cvt_f32_f16_e32 v50, v50
	v_pk_fma_f32 v[44:45], v[50:51], v[44:45], v[76:77] op_sel_hi:[0,1,1]
	v_cvt_f32_i32_e32 v77, v88
	global_load_dword v88, v[34:35], off offset:112
	global_load_ubyte v89, v[38:39], off offset:6
	global_load_ubyte v90, v[40:41], off offset:6
	v_cvt_f32_i32_e32 v76, v51
	global_load_dword v38, v[20:21], off offset:108
	v_lshrrev_b32_e32 v34, 6, v86
	v_lshrrev_b32_e32 v35, 6, v87
	v_pk_fma_f32 v[50:51], v[50:51], v[76:77], v[78:79] op_sel_hi:[0,1,1]
	v_and_b32_e32 v79, 0x3030303, v34
	v_and_b32_e32 v78, 0x3030303, v35
	v_mov_b32_e32 v34, 0
	v_mov_b32_e32 v35, 0
	v_lshl_add_u64 v[20:21], v[20:21], 0, s[22:23]
	s_waitcnt vmcnt(3)
	v_dot4c_i32_i8_e32 v34, v79, v88
	v_dot4c_i32_i8_e32 v35, v78, v88
	s_waitcnt vmcnt(2)
	v_and_b32_e32 v77, 15, v89
	s_waitcnt vmcnt(1)
	v_and_b32_e32 v76, 15, v90
	v_mul_lo_u32 v34, v77, v34
	v_mul_lo_u32 v35, v76, v35
	v_cvt_f32_i32_e32 v35, v35
	v_cvt_f32_i32_e32 v34, v34
	s_waitcnt vmcnt(0)
	v_cvt_f32_f16_e32 v38, v38
	v_lshrrev_b32_e32 v40, 4, v90
	v_pk_fma_f32 v[34:35], v[38:39], v[34:35], v[80:81] op_sel_hi:[0,1,1]
	v_lshrrev_b32_e32 v39, 4, v89
	v_mul_lo_u32 v81, v39, s28
	v_mul_lo_u32 v80, v40, s28
	v_mov_b32_e32 v39, 0
	v_mov_b32_e32 v40, 0
	v_dot4c_i32_i8_e32 v39, v81, v88
	v_dot4c_i32_i8_e32 v40, v80, v88
	s_nop 2
	v_cvt_f32_i32_e32 v41, v40
	v_cvt_f32_i32_e32 v40, v39
	v_pk_fma_f32 v[38:39], v[38:39], v[40:41], v[82:83] op_sel_hi:[0,1,1]
	global_load_dword v40, v[36:37], off offset:108
	v_lshl_add_u64 v[36:37], v[36:37], 0, s[20:21]
	v_lshl_add_u64 v[36:37], v[36:37], 0, v[28:29]
	global_load_dword v41, v[36:37], off offset:4
	v_mov_b32_e32 v36, 0
	v_mov_b32_e32 v37, 0
	s_waitcnt vmcnt(1)
	v_cvt_f32_f16_e32 v40, v40
	s_waitcnt vmcnt(0)
	v_dot4c_i32_i8_e32 v36, v79, v41
	v_dot4c_i32_i8_e32 v37, v78, v41
	s_nop 1
	v_mul_lo_u32 v36, v77, v36
	v_cvt_f32_i32_e32 v36, v36
	v_mul_lo_u32 v37, v76, v37
	v_cvt_f32_i32_e32 v37, v37
	v_pk_fma_f32 v[36:37], v[40:41], v[36:37], v[52:53] op_sel_hi:[0,1,1]
	v_mov_b32_e32 v52, 0
	v_mov_b32_e32 v53, 0
	v_dot4c_i32_i8_e32 v52, v81, v41
	v_dot4c_i32_i8_e32 v53, v80, v41
	s_nop 1
	v_cvt_f32_i32_e32 v52, v52
	v_cvt_f32_i32_e32 v53, v53
	v_pk_fma_f32 v[40:41], v[40:41], v[52:53], v[58:59] op_sel_hi:[0,1,1]
	global_load_dword v52, v[42:43], off offset:108
	v_lshl_add_u64 v[42:43], v[42:43], 0, s[20:21]
	v_lshl_add_u64 v[42:43], v[42:43], 0, v[28:29]
	global_load_dword v53, v[42:43], off offset:4
	v_mov_b32_e32 v42, 0
	v_mov_b32_e32 v43, 0
	v_mov_b32_e32 v58, 0
	v_mov_b32_e32 v59, 0
	s_waitcnt vmcnt(1)
	v_cvt_f32_f16_e32 v52, v52
	s_waitcnt vmcnt(0)
	v_dot4c_i32_i8_e32 v42, v79, v53
	v_dot4c_i32_i8_e32 v43, v78, v53
	s_nop 1
	v_mul_lo_u32 v42, v77, v42
	v_dot4c_i32_i8_e32 v58, v81, v53
	v_dot4c_i32_i8_e32 v59, v80, v53
	v_mul_lo_u32 v43, v76, v43
	v_cvt_f32_i32_e32 v43, v43
	v_cvt_f32_i32_e32 v42, v42
	v_cvt_f32_i32_e32 v59, v59
	v_cvt_f32_i32_e32 v58, v58
	v_pk_fma_f32 v[42:43], v[52:53], v[42:43], v[60:61] op_sel_hi:[0,1,1]
	v_mov_b32_e32 v60, 0
	v_pk_fma_f32 v[52:53], v[52:53], v[58:59], v[62:63] op_sel_hi:[0,1,1]
	global_load_dword v58, v[46:47], off offset:108
	v_lshl_add_u64 v[46:47], v[46:47], 0, s[20:21]
	v_lshl_add_u64 v[46:47], v[46:47], 0, v[28:29]
	global_load_dword v59, v[46:47], off offset:4
	v_mov_b32_e32 v46, 0
	v_mov_b32_e32 v47, 0
	v_mov_b32_e32 v61, 0
	v_mov_b32_e32 v62, 0
	v_mov_b32_e32 v63, 0
	s_waitcnt vmcnt(1)
	v_cvt_f32_f16_e32 v58, v58
	s_waitcnt vmcnt(0)
	v_dot4c_i32_i8_e32 v46, v79, v59
	v_dot4c_i32_i8_e32 v47, v78, v59
	s_nop 1
	v_mul_lo_u32 v46, v77, v46
	v_dot4c_i32_i8_e32 v60, v81, v59
	v_dot4c_i32_i8_e32 v61, v80, v59
	v_mul_lo_u32 v47, v76, v47
	v_cvt_f32_i32_e32 v47, v47
	v_cvt_f32_i32_e32 v46, v46
	v_cvt_f32_i32_e32 v61, v61
	v_cvt_f32_i32_e32 v60, v60
	v_pk_fma_f32 v[46:47], v[58:59], v[46:47], v[64:65] op_sel_hi:[0,1,1]
	v_mov_b32_e32 v64, 0
	v_pk_fma_f32 v[58:59], v[58:59], v[60:61], v[66:67] op_sel_hi:[0,1,1]
	global_load_dword v60, v[54:55], off offset:108
	v_lshl_add_u64 v[54:55], v[54:55], 0, s[20:21]
	v_lshl_add_u64 v[54:55], v[54:55], 0, v[28:29]
	global_load_dword v61, v[54:55], off offset:4
	v_mov_b32_e32 v54, 0
	;; [unrolled: 26-line block ×3, first 2 shown]
	v_mov_b32_e32 v57, 0
	v_mov_b32_e32 v69, 0
	s_waitcnt vmcnt(1)
	v_cvt_f32_f16_e32 v62, v62
	s_waitcnt vmcnt(0)
	v_dot4c_i32_i8_e32 v56, v79, v63
	v_dot4c_i32_i8_e32 v57, v78, v63
	s_nop 1
	v_mul_lo_u32 v56, v77, v56
	v_dot4c_i32_i8_e32 v64, v81, v63
	v_dot4c_i32_i8_e32 v65, v80, v63
	v_mul_lo_u32 v57, v76, v57
	v_cvt_f32_i32_e32 v57, v57
	v_cvt_f32_i32_e32 v56, v56
	;; [unrolled: 1-line block ×4, first 2 shown]
	v_pk_fma_f32 v[56:57], v[62:63], v[56:57], v[72:73] op_sel_hi:[0,1,1]
	v_pk_fma_f32 v[62:63], v[62:63], v[64:65], v[74:75] op_sel_hi:[0,1,1]
	global_load_dword v65, v[32:33], off offset:80
	global_load_dword v64, v[48:49], off offset:108
	v_lshl_add_u64 v[32:33], v[48:49], 0, s[20:21]
	v_lshl_add_u64 v[48:49], v[32:33], 0, v[28:29]
	global_load_dword v32, v[48:49], off offset:4
	global_load_dword v33, v[30:31], off offset:80
	s_waitcnt vmcnt(3)
	v_cvt_f32_f16_e32 v31, v65
	v_cvt_f32_f16_sdwa v49, v65 dst_sel:DWORD dst_unused:UNUSED_PAD src0_sel:WORD_1
	s_waitcnt vmcnt(1)
	v_dot4c_i32_i8_e32 v66, v79, v32
	v_dot4c_i32_i8_e32 v67, v78, v32
	;; [unrolled: 1-line block ×4, first 2 shown]
	s_waitcnt vmcnt(0)
	v_cvt_f32_f16_e32 v30, v33
	v_cvt_f32_f16_sdwa v48, v33 dst_sel:DWORD dst_unused:UNUSED_PAD src0_sel:WORD_1
	v_mul_lo_u32 v33, v77, v66
	v_mul_lo_u32 v66, v76, v67
	v_cvt_f32_f16_e32 v32, v64
	v_cvt_f32_i32_e32 v65, v69
	v_cvt_f32_i32_e32 v64, v68
	;; [unrolled: 1-line block ×4, first 2 shown]
	v_pk_mul_f32 v[38:39], v[38:39], v[48:49]
	v_pk_mul_f32 v[40:41], v[40:41], v[48:49]
	v_pk_fma_f32 v[34:35], v[34:35], v[30:31], v[38:39] neg_lo:[0,0,1] neg_hi:[0,0,1]
	v_pk_fma_f32 v[44:45], v[32:33], v[66:67], v[44:45] op_sel_hi:[0,1,1]
	v_pk_fma_f32 v[32:33], v[32:33], v[64:65], v[50:51] op_sel_hi:[0,1,1]
	v_pk_mul_f32 v[50:51], v[52:53], v[48:49]
	v_pk_mul_f32 v[52:53], v[58:59], v[48:49]
	;; [unrolled: 1-line block ×5, first 2 shown]
	v_pk_fma_f32 v[36:37], v[36:37], v[30:31], v[40:41] neg_lo:[0,0,1] neg_hi:[0,0,1]
	v_pk_fma_f32 v[38:39], v[42:43], v[30:31], v[50:51] neg_lo:[0,0,1] neg_hi:[0,0,1]
	;; [unrolled: 1-line block ×6, first 2 shown]
	v_pk_add_f32 v[8:9], v[8:9], v[34:35]
	v_pk_add_f32 v[10:11], v[10:11], v[36:37]
	;; [unrolled: 1-line block ×7, first 2 shown]
	s_andn2_b64 exec, exec, s[12:13]
	s_cbranch_execnz .LBB106_2
; %bb.3:
	s_or_b64 exec, exec, s[12:13]
	scratch_store_dwordx4 off, v[8:11], off
	scratch_store_dwordx4 off, v[4:7], off offset:16
	scratch_store_dwordx4 off, v[0:3], off offset:32
	scratch_store_dwordx2 off, v[22:23], off offset:48
.LBB106_4:
	s_or_b64 exec, exec, s[6:7]
	s_mov_b32 s5, 0
	v_cmp_eq_u32_e32 vcc, 0, v13
	s_waitcnt lgkmcnt(0)
	; wave barrier
	s_and_saveexec_b64 s[6:7], vcc
	s_cbranch_execz .LBB106_19
; %bb.5:
	scratch_load_dwordx2 v[2:3], off, off
	v_mbcnt_lo_u32_b32 v0, -1, 0
	v_mbcnt_hi_u32_b32 v13, -1, v0
	s_load_dwordx2 s[6:7], s[0:1], 0x38
	s_mul_i32 s0, s3, s14
	v_or_b32_e32 v1, s2, v12
	v_and_b32_e32 v0, 64, v13
	s_mul_i32 s4, s4, s18
	s_add_i32 s2, s0, s2
	v_cmp_gt_u32_e64 s[0:1], s10, v1
	v_xor_b32_e32 v1, 32, v13
	v_add_u32_e32 v14, 64, v0
	s_add_i32 s4, s2, s4
	v_cmp_lt_i32_e64 s[2:3], v1, v14
	v_cmp_gt_u32_e32 vcc, 2, v12
	s_nop 0
	v_cndmask_b32_e64 v0, v13, v1, s[2:3]
	v_lshlrev_b32_e32 v0, 2, v0
	v_xor_b32_e32 v1, 16, v13
	v_cmp_lt_i32_e64 s[2:3], v1, v14
	s_waitcnt vmcnt(0)
	ds_bpermute_b32 v4, v0, v2
	ds_bpermute_b32 v5, v0, v3
	v_cndmask_b32_e64 v1, v13, v1, s[2:3]
	v_lshlrev_b32_e32 v1, 2, v1
	s_waitcnt lgkmcnt(0)
	v_pk_add_f32 v[4:5], v[2:3], v[4:5]
	ds_bpermute_b32 v6, v1, v4
	ds_bpermute_b32 v7, v1, v5
	v_xor_b32_e32 v2, 8, v13
	v_cmp_lt_i32_e64 s[2:3], v2, v14
	v_xor_b32_e32 v3, 4, v13
	s_waitcnt lgkmcnt(0)
	v_pk_add_f32 v[4:5], v[4:5], v[6:7]
	v_cndmask_b32_e64 v2, v13, v2, s[2:3]
	v_lshlrev_b32_e32 v2, 2, v2
	ds_bpermute_b32 v6, v2, v4
	ds_bpermute_b32 v7, v2, v5
	v_cmp_lt_i32_e64 s[2:3], v3, v14
	s_waitcnt lgkmcnt(0)
	v_pk_add_f32 v[6:7], v[4:5], v[6:7]
	v_cndmask_b32_e64 v3, v13, v3, s[2:3]
	v_lshlrev_b32_e32 v3, 2, v3
	ds_bpermute_b32 v8, v3, v6
	ds_bpermute_b32 v9, v3, v7
	v_xor_b32_e32 v4, 2, v13
	v_cmp_lt_i32_e64 s[2:3], v4, v14
	v_xor_b32_e32 v5, 1, v13
	s_waitcnt lgkmcnt(0)
	v_pk_add_f32 v[8:9], v[6:7], v[8:9]
	v_cndmask_b32_e64 v4, v13, v4, s[2:3]
	v_lshlrev_b32_e32 v4, 2, v4
	ds_bpermute_b32 v10, v4, v8
	ds_bpermute_b32 v11, v4, v9
	v_cmp_lt_i32_e64 s[2:3], v5, v14
	s_waitcnt lgkmcnt(0)
	v_pk_add_f32 v[8:9], v[8:9], v[10:11]
	v_cndmask_b32_e64 v5, v13, v5, s[2:3]
	v_lshlrev_b32_e32 v6, 2, v5
	ds_bpermute_b32 v10, v6, v8
	ds_bpermute_b32 v11, v6, v9
	s_lshl_b64 s[2:3], s[4:5], 2
	s_add_u32 s2, s6, s2
	s_addc_u32 s3, s7, s3
	s_and_b64 s[0:1], vcc, s[0:1]
	s_waitcnt lgkmcnt(0)
	v_pk_add_f32 v[8:9], v[8:9], v[10:11]
	v_lshlrev_b32_e32 v5, 2, v12
	scratch_store_dwordx2 off, v[8:9], off
	s_and_saveexec_b64 s[4:5], s[0:1]
	s_cbranch_execz .LBB106_7
; %bb.6:
	scratch_load_dword v7, v5, off
	s_waitcnt vmcnt(0)
	global_store_dword v5, v7, s[2:3]
.LBB106_7:
	s_or_b64 exec, exec, s[4:5]
	scratch_load_dwordx2 v[8:9], off, off offset:8
	s_waitcnt vmcnt(0)
	ds_bpermute_b32 v10, v0, v8
	ds_bpermute_b32 v11, v0, v9
	s_waitcnt lgkmcnt(0)
	v_pk_add_f32 v[8:9], v[8:9], v[10:11]
	ds_bpermute_b32 v10, v1, v8
	ds_bpermute_b32 v11, v1, v9
	s_waitcnt lgkmcnt(0)
	v_pk_add_f32 v[8:9], v[8:9], v[10:11]
	;; [unrolled: 4-line block ×6, first 2 shown]
	scratch_store_dwordx2 off, v[8:9], off offset:8
	s_and_saveexec_b64 s[4:5], s[0:1]
	s_cbranch_execz .LBB106_9
; %bb.8:
	scratch_load_dword v7, v5, off offset:8
	v_add_u32_e32 v8, s10, v12
	v_mov_b32_e32 v9, 0
	v_lshl_add_u64 v[8:9], v[8:9], 2, s[2:3]
	s_waitcnt vmcnt(0)
	global_store_dword v[8:9], v7, off
.LBB106_9:
	s_or_b64 exec, exec, s[4:5]
	scratch_load_dwordx2 v[8:9], off, off offset:16
	s_waitcnt vmcnt(0)
	ds_bpermute_b32 v10, v0, v8
	ds_bpermute_b32 v11, v0, v9
	s_waitcnt lgkmcnt(0)
	v_pk_add_f32 v[8:9], v[8:9], v[10:11]
	ds_bpermute_b32 v10, v1, v8
	ds_bpermute_b32 v11, v1, v9
	s_waitcnt lgkmcnt(0)
	v_pk_add_f32 v[8:9], v[8:9], v[10:11]
	;; [unrolled: 4-line block ×6, first 2 shown]
	scratch_store_dwordx2 off, v[8:9], off offset:16
	s_and_saveexec_b64 s[4:5], s[0:1]
	s_cbranch_execz .LBB106_11
; %bb.10:
	scratch_load_dword v7, v5, off offset:16
	v_lshl_or_b32 v8, s10, 1, v12
	v_mov_b32_e32 v9, 0
	v_lshl_add_u64 v[8:9], v[8:9], 2, s[2:3]
	s_waitcnt vmcnt(0)
	global_store_dword v[8:9], v7, off
.LBB106_11:
	s_or_b64 exec, exec, s[4:5]
	scratch_load_dwordx2 v[8:9], off, off offset:24
	s_waitcnt vmcnt(0)
	ds_bpermute_b32 v10, v0, v8
	ds_bpermute_b32 v11, v0, v9
	s_waitcnt lgkmcnt(0)
	v_pk_add_f32 v[8:9], v[8:9], v[10:11]
	ds_bpermute_b32 v10, v1, v8
	ds_bpermute_b32 v11, v1, v9
	s_waitcnt lgkmcnt(0)
	v_pk_add_f32 v[8:9], v[8:9], v[10:11]
	;; [unrolled: 4-line block ×6, first 2 shown]
	scratch_store_dwordx2 off, v[8:9], off offset:24
	s_and_saveexec_b64 s[4:5], s[0:1]
	s_cbranch_execz .LBB106_13
; %bb.12:
	scratch_load_dword v7, v5, off offset:24
	v_mad_u64_u32 v[8:9], s[6:7], s10, 3, v[12:13]
	v_mov_b32_e32 v9, 0
	v_lshl_add_u64 v[8:9], v[8:9], 2, s[2:3]
	s_waitcnt vmcnt(0)
	global_store_dword v[8:9], v7, off
.LBB106_13:
	s_or_b64 exec, exec, s[4:5]
	scratch_load_dwordx2 v[8:9], off, off offset:32
	s_waitcnt vmcnt(0)
	ds_bpermute_b32 v10, v0, v8
	ds_bpermute_b32 v11, v0, v9
	s_waitcnt lgkmcnt(0)
	v_pk_add_f32 v[8:9], v[8:9], v[10:11]
	ds_bpermute_b32 v10, v1, v8
	ds_bpermute_b32 v11, v1, v9
	s_waitcnt lgkmcnt(0)
	v_pk_add_f32 v[8:9], v[8:9], v[10:11]
	;; [unrolled: 4-line block ×6, first 2 shown]
	scratch_store_dwordx2 off, v[8:9], off offset:32
	s_and_saveexec_b64 s[4:5], s[0:1]
	s_cbranch_execz .LBB106_15
; %bb.14:
	scratch_load_dword v7, v5, off offset:32
	v_lshl_or_b32 v8, s10, 2, v12
	v_mov_b32_e32 v9, 0
	v_lshl_add_u64 v[8:9], v[8:9], 2, s[2:3]
	s_waitcnt vmcnt(0)
	global_store_dword v[8:9], v7, off
.LBB106_15:
	s_or_b64 exec, exec, s[4:5]
	scratch_load_dwordx2 v[8:9], off, off offset:40
	s_waitcnt vmcnt(0)
	ds_bpermute_b32 v10, v0, v8
	ds_bpermute_b32 v11, v0, v9
	s_waitcnt lgkmcnt(0)
	v_pk_add_f32 v[8:9], v[8:9], v[10:11]
	ds_bpermute_b32 v10, v1, v8
	ds_bpermute_b32 v11, v1, v9
	s_waitcnt lgkmcnt(0)
	v_pk_add_f32 v[8:9], v[8:9], v[10:11]
	;; [unrolled: 4-line block ×6, first 2 shown]
	scratch_store_dwordx2 off, v[8:9], off offset:40
	s_and_saveexec_b64 s[4:5], s[0:1]
	s_cbranch_execz .LBB106_17
; %bb.16:
	scratch_load_dword v7, v5, off offset:40
	v_mad_u64_u32 v[8:9], s[6:7], s10, 5, v[12:13]
	v_mov_b32_e32 v9, 0
	v_lshl_add_u64 v[8:9], v[8:9], 2, s[2:3]
	s_waitcnt vmcnt(0)
	global_store_dword v[8:9], v7, off
.LBB106_17:
	s_or_b64 exec, exec, s[4:5]
	scratch_load_dwordx2 v[8:9], off, off offset:48
	s_waitcnt vmcnt(0)
	ds_bpermute_b32 v10, v0, v8
	ds_bpermute_b32 v11, v0, v9
	s_waitcnt lgkmcnt(0)
	v_pk_add_f32 v[8:9], v[8:9], v[10:11]
	ds_bpermute_b32 v0, v1, v8
	ds_bpermute_b32 v1, v1, v9
	s_waitcnt lgkmcnt(0)
	v_pk_add_f32 v[0:1], v[8:9], v[0:1]
	;; [unrolled: 4-line block ×6, first 2 shown]
	scratch_store_dwordx2 off, v[0:1], off offset:48
	s_and_b64 exec, exec, s[0:1]
	s_cbranch_execz .LBB106_19
; %bb.18:
	scratch_load_dword v2, v5, off offset:48
	s_mul_i32 s0, s10, 6
	v_or_b32_e32 v0, s0, v12
	v_mov_b32_e32 v1, 0
	v_lshl_add_u64 v[0:1], v[0:1], 2, s[2:3]
	s_waitcnt vmcnt(0)
	global_store_dword v[0:1], v2, off
.LBB106_19:
	s_endpgm
	.section	.rodata,"a",@progbits
	.p2align	6, 0x0
	.amdhsa_kernel _ZL13mul_mat_vec_qIL9ggml_type10ELi7ELb0ELb0EEvPKvS2_PKi31ggml_cuda_mm_fusion_args_devicePfj15HIP_vector_typeIjLj3EEjjjS8_jjjS8_jjjj
		.amdhsa_group_segment_fixed_size 0
		.amdhsa_private_segment_fixed_size 64
		.amdhsa_kernarg_size 144
		.amdhsa_user_sgpr_count 2
		.amdhsa_user_sgpr_dispatch_ptr 0
		.amdhsa_user_sgpr_queue_ptr 0
		.amdhsa_user_sgpr_kernarg_segment_ptr 1
		.amdhsa_user_sgpr_dispatch_id 0
		.amdhsa_user_sgpr_kernarg_preload_length 0
		.amdhsa_user_sgpr_kernarg_preload_offset 0
		.amdhsa_user_sgpr_private_segment_size 0
		.amdhsa_uses_dynamic_stack 0
		.amdhsa_enable_private_segment 1
		.amdhsa_system_sgpr_workgroup_id_x 1
		.amdhsa_system_sgpr_workgroup_id_y 1
		.amdhsa_system_sgpr_workgroup_id_z 1
		.amdhsa_system_sgpr_workgroup_info 0
		.amdhsa_system_vgpr_workitem_id 1
		.amdhsa_next_free_vgpr 96
		.amdhsa_next_free_sgpr 32
		.amdhsa_accum_offset 96
		.amdhsa_reserve_vcc 1
		.amdhsa_float_round_mode_32 0
		.amdhsa_float_round_mode_16_64 0
		.amdhsa_float_denorm_mode_32 3
		.amdhsa_float_denorm_mode_16_64 3
		.amdhsa_dx10_clamp 1
		.amdhsa_ieee_mode 1
		.amdhsa_fp16_overflow 0
		.amdhsa_tg_split 0
		.amdhsa_exception_fp_ieee_invalid_op 0
		.amdhsa_exception_fp_denorm_src 0
		.amdhsa_exception_fp_ieee_div_zero 0
		.amdhsa_exception_fp_ieee_overflow 0
		.amdhsa_exception_fp_ieee_underflow 0
		.amdhsa_exception_fp_ieee_inexact 0
		.amdhsa_exception_int_div_zero 0
	.end_amdhsa_kernel
	.section	.text._ZL13mul_mat_vec_qIL9ggml_type10ELi7ELb0ELb0EEvPKvS2_PKi31ggml_cuda_mm_fusion_args_devicePfj15HIP_vector_typeIjLj3EEjjjS8_jjjS8_jjjj,"axG",@progbits,_ZL13mul_mat_vec_qIL9ggml_type10ELi7ELb0ELb0EEvPKvS2_PKi31ggml_cuda_mm_fusion_args_devicePfj15HIP_vector_typeIjLj3EEjjjS8_jjjS8_jjjj,comdat
.Lfunc_end106:
	.size	_ZL13mul_mat_vec_qIL9ggml_type10ELi7ELb0ELb0EEvPKvS2_PKi31ggml_cuda_mm_fusion_args_devicePfj15HIP_vector_typeIjLj3EEjjjS8_jjjS8_jjjj, .Lfunc_end106-_ZL13mul_mat_vec_qIL9ggml_type10ELi7ELb0ELb0EEvPKvS2_PKi31ggml_cuda_mm_fusion_args_devicePfj15HIP_vector_typeIjLj3EEjjjS8_jjjS8_jjjj
                                        ; -- End function
	.section	.AMDGPU.csdata,"",@progbits
; Kernel info:
; codeLenInByte = 6636
; NumSgprs: 38
; NumVgprs: 96
; NumAgprs: 0
; TotalNumVgprs: 96
; ScratchSize: 64
; MemoryBound: 0
; FloatMode: 240
; IeeeMode: 1
; LDSByteSize: 0 bytes/workgroup (compile time only)
; SGPRBlocks: 4
; VGPRBlocks: 11
; NumSGPRsForWavesPerEU: 38
; NumVGPRsForWavesPerEU: 96
; AccumOffset: 96
; Occupancy: 5
; WaveLimiterHint : 0
; COMPUTE_PGM_RSRC2:SCRATCH_EN: 1
; COMPUTE_PGM_RSRC2:USER_SGPR: 2
; COMPUTE_PGM_RSRC2:TRAP_HANDLER: 0
; COMPUTE_PGM_RSRC2:TGID_X_EN: 1
; COMPUTE_PGM_RSRC2:TGID_Y_EN: 1
; COMPUTE_PGM_RSRC2:TGID_Z_EN: 1
; COMPUTE_PGM_RSRC2:TIDIG_COMP_CNT: 1
; COMPUTE_PGM_RSRC3_GFX90A:ACCUM_OFFSET: 23
; COMPUTE_PGM_RSRC3_GFX90A:TG_SPLIT: 0
	.section	.text._ZL13mul_mat_vec_qIL9ggml_type10ELi8ELb0ELb0EEvPKvS2_PKi31ggml_cuda_mm_fusion_args_devicePfj15HIP_vector_typeIjLj3EEjjjS8_jjjS8_jjjj,"axG",@progbits,_ZL13mul_mat_vec_qIL9ggml_type10ELi8ELb0ELb0EEvPKvS2_PKi31ggml_cuda_mm_fusion_args_devicePfj15HIP_vector_typeIjLj3EEjjjS8_jjjS8_jjjj,comdat
	.globl	_ZL13mul_mat_vec_qIL9ggml_type10ELi8ELb0ELb0EEvPKvS2_PKi31ggml_cuda_mm_fusion_args_devicePfj15HIP_vector_typeIjLj3EEjjjS8_jjjS8_jjjj ; -- Begin function _ZL13mul_mat_vec_qIL9ggml_type10ELi8ELb0ELb0EEvPKvS2_PKi31ggml_cuda_mm_fusion_args_devicePfj15HIP_vector_typeIjLj3EEjjjS8_jjjS8_jjjj
	.p2align	8
	.type	_ZL13mul_mat_vec_qIL9ggml_type10ELi8ELb0ELb0EEvPKvS2_PKi31ggml_cuda_mm_fusion_args_devicePfj15HIP_vector_typeIjLj3EEjjjS8_jjjS8_jjjj,@function
_ZL13mul_mat_vec_qIL9ggml_type10ELi8ELb0ELb0EEvPKvS2_PKi31ggml_cuda_mm_fusion_args_devicePfj15HIP_vector_typeIjLj3EEjjjS8_jjjS8_jjjj: ; @_ZL13mul_mat_vec_qIL9ggml_type10ELi8ELb0ELb0EEvPKvS2_PKi31ggml_cuda_mm_fusion_args_devicePfj15HIP_vector_typeIjLj3EEjjjS8_jjjS8_jjjj
; %bb.0:
	v_bfe_u32 v17, v0, 10, 10
	v_and_b32_e32 v16, 0x3ff, v0
	s_mov_b32 s20, 0
	s_load_dword s5, s[0:1], 0x40
	s_load_dwordx4 s[8:11], s[0:1], 0x50
	s_load_dword s25, s[0:1], 0x60
	s_load_dwordx4 s[12:15], s[0:1], 0x68
	;; [unrolled: 2-line block ×3, first 2 shown]
	v_lshl_or_b32 v4, v17, 6, v16
	s_mov_b32 s21, s20
	s_waitcnt lgkmcnt(0)
	s_lshr_b32 s5, s5, 8
	s_mov_b32 s22, s20
	s_mov_b32 s23, s20
	v_mov_b64_e32 v[0:1], s[20:21]
	v_lshrrev_b32_e32 v37, 4, v4
	s_lshl_b32 s2, s2, 1
	v_mov_b64_e32 v[2:3], s[22:23]
	v_cmp_gt_u32_e32 vcc, s5, v37
	scratch_store_dwordx4 off, v[0:3], off offset:48
	scratch_store_dwordx4 off, v[0:3], off offset:32
	;; [unrolled: 1-line block ×3, first 2 shown]
	scratch_store_dwordx4 off, v[0:3], off
	s_and_saveexec_b64 s[6:7], vcc
	s_cbranch_execz .LBB107_4
; %bb.1:
	s_load_dwordx4 s[20:23], s[0:1], 0x0
	s_mul_i32 s17, s4, s17
	s_mul_hi_u32 s19, s17, 36
	s_mul_i32 s17, s17, 36
	s_mul_i32 s13, s3, s13
	s_waitcnt lgkmcnt(0)
	s_add_u32 s17, s22, s17
	s_addc_u32 s19, s23, s19
	s_mul_hi_u32 s23, s13, 36
	s_mul_i32 s13, s13, 36
	s_add_u32 s22, s17, s13
	s_mul_hi_u32 s11, s11, s3
	s_addc_u32 s23, s19, s23
	s_add_i32 s11, s3, s11
	s_lshr_b32 s11, s11, s25
	s_mul_i32 s11, s11, s12
	s_mul_hi_u32 s12, s15, s4
	s_add_i32 s12, s4, s12
	v_and_b32_e32 v0, 15, v16
	v_lshrrev_b32_e32 v1, 1, v16
	v_and_b32_e32 v2, 7, v16
	s_lshr_b32 s12, s12, s24
	v_and_b32_e32 v1, 4, v1
	v_sub_u32_e32 v3, v0, v2
	v_bfe_u32 v4, v16, 2, 1
	s_mul_i32 s15, s12, s16
	v_add_u32_e32 v20, v3, v4
	v_mad_u64_u32 v[22:23], s[12:13], v1, 36, s[22:23]
	v_lshl_add_u32 v1, v17, 6, v16
	v_bfe_u32 v3, v16, 3, 1
	v_lshrrev_b32_e32 v1, 4, v1
	v_mul_hi_u32_u24_e32 v5, 0x90, v3
	v_mul_u32_u24_e32 v4, 0x90, v3
	s_movk_i32 s12, 0x120
	v_mad_u64_u32 v[4:5], s[12:13], v1, s12, v[4:5]
	s_add_i32 s12, s2, 1
	v_mov_b32_e32 v19, 0
	s_mul_i32 s16, s2, s8
	s_add_i32 s15, s15, s11
	s_mul_i32 s8, s8, s12
	v_ashrrev_i32_e32 v21, 31, v20
	s_add_i32 s11, s15, s16
	v_lshlrev_b32_e32 v18, 2, v2
	v_lshl_add_u64 v[24:25], s[22:23], 0, v[4:5]
	s_add_i32 s8, s15, s8
	s_lshl_b32 s15, s9, 1
	v_lshlrev_b32_e32 v44, 3, v37
	s_mul_i32 s19, s9, 3
	s_lshl_b32 s24, s9, 2
	s_mul_i32 s25, s9, 5
	s_mul_i32 s26, s9, 6
	;; [unrolled: 1-line block ×3, first 2 shown]
	s_mov_b64 s[12:13], 0
	s_movk_i32 s28, 0x54
	v_mov_b64_e32 v[26:27], s[20:21]
	v_lshlrev_b32_e32 v28, 2, v0
	s_mov_b32 s29, 0x1010101
	v_lshlrev_b32_e32 v30, 2, v2
	s_mov_b64 s[16:17], 0x48
	s_mov_b64 s[20:21], 0x6c
	;; [unrolled: 1-line block ×3, first 2 shown]
	v_mov_b32_e32 v29, v19
	v_mov_b32_e32 v31, v19
	;; [unrolled: 1-line block ×18, first 2 shown]
.LBB107_2:                              ; =>This Inner Loop Header: Depth=1
	v_lshl_add_u64 v[32:33], v[24:25], 0, v[18:19]
	global_load_dword v39, v[32:33], off offset:4
	global_load_dword v34, v[24:25], off
	v_add_u32_e32 v35, s11, v37
	v_add_u32_e32 v50, s8, v37
	v_mad_i64_i32 v[50:51], s[30:31], v50, s28, v[26:27]
	v_lshl_add_u64 v[52:53], v[50:51], 0, v[28:29]
	v_lshl_add_u64 v[58:59], v[50:51], 0, v[20:21]
	v_mov_b32_e32 v55, 0
	v_mov_b32_e32 v61, 0
	;; [unrolled: 1-line block ×13, first 2 shown]
	s_waitcnt vmcnt(0)
	v_cvt_f32_f16_e32 v38, v34
	global_load_dword v45, v[32:33], off offset:40
	global_load_dword v34, v[24:25], off offset:36
	s_waitcnt vmcnt(0)
	v_cvt_f32_f16_e32 v36, v34
	global_load_dword v70, v[32:33], off offset:76
	global_load_dword v34, v[24:25], off offset:72
	;; [unrolled: 1-line block ×4, first 2 shown]
	v_lshl_add_u64 v[24:25], v[24:25], 0, s[22:23]
	s_waitcnt vmcnt(2)
	v_cvt_f32_f16_e32 v34, v34
	s_waitcnt vmcnt(0)
	v_cvt_f32_f16_e32 v32, v40
	v_mad_i64_i32 v[40:41], s[30:31], v35, s28, v[26:27]
	v_lshl_add_u64 v[42:43], v[40:41], 0, v[28:29]
	global_load_dword v33, v[42:43], off offset:16
	v_lshl_add_u64 v[46:47], v[40:41], 0, v[20:21]
	global_load_dword v72, v[40:41], off offset:80
	global_load_ubyte v35, v[46:47], off
	v_mov_b32_e32 v40, 0
	global_load_dword v52, v[52:53], off offset:16
	s_nop 0
	global_load_dword v73, v[50:51], off offset:80
	global_load_ubyte v60, v[58:59], off
	global_load_ubyte v66, v[58:59], off offset:2
	global_load_ubyte v67, v[46:47], off offset:2
	;; [unrolled: 1-line block ×6, first 2 shown]
	s_waitcnt vmcnt(11)
	v_and_b32_e32 v41, 0x3030303, v33
	v_dot4c_i32_i8_e32 v40, v41, v39
	s_waitcnt vmcnt(9)
	v_lshrrev_b32_e32 v42, 4, v35
	v_mul_lo_u32 v42, v42, s29
	s_waitcnt vmcnt(8)
	v_and_b32_e32 v50, 0x3030303, v52
	s_waitcnt vmcnt(6)
	v_lshrrev_b32_e32 v51, 4, v60
	v_mul_lo_u32 v56, v51, s29
	v_dot4c_i32_i8_e32 v55, v42, v39
	v_dot4c_i32_i8_e32 v61, v50, v39
	;; [unrolled: 1-line block ×3, first 2 shown]
	v_lshrrev_b32_e32 v39, 2, v52
	v_and_b32_e32 v51, 0x3030303, v39
	v_lshrrev_b32_e32 v39, 4, v52
	v_and_b32_e32 v53, 0x3030303, v39
	;; [unrolled: 2-line block ×3, first 2 shown]
	s_waitcnt vmcnt(4)
	v_lshrrev_b32_e32 v39, 4, v67
	v_mul_lo_u32 v52, v39, s29
	s_waitcnt vmcnt(2)
	v_lshrrev_b32_e32 v39, 4, v77
	v_mul_lo_u32 v57, v39, s29
	s_waitcnt vmcnt(0)
	v_lshrrev_b32_e32 v39, 4, v80
	v_and_b32_e32 v59, 15, v60
	v_and_b32_e32 v60, 15, v35
	v_mul_lo_u32 v58, v39, s29
	v_mul_lo_u32 v35, v60, v40
	;; [unrolled: 1-line block ×3, first 2 shown]
	v_cvt_f32_i32_e32 v47, v39
	v_cvt_f32_i32_e32 v46, v35
	;; [unrolled: 1-line block ×4, first 2 shown]
	v_lshrrev_b32_e32 v43, 2, v33
	v_and_b32_e32 v43, 0x3030303, v43
	v_dot4c_i32_i8_e32 v64, v43, v45
	v_dot4c_i32_i8_e32 v65, v51, v45
	v_pk_fma_f32 v[46:47], v[38:39], v[46:47], 0 op_sel_hi:[0,1,0]
	v_pk_fma_f32 v[38:39], v[38:39], v[62:63], 0 op_sel_hi:[0,1,0]
	v_and_b32_e32 v61, 15, v66
	v_and_b32_e32 v62, 15, v67
	v_mul_lo_u32 v35, v62, v64
	v_mul_lo_u32 v40, v61, v65
	v_cvt_f32_i32_e32 v65, v40
	v_cvt_f32_i32_e32 v64, v35
	v_lshrrev_b32_e32 v35, 4, v66
	v_mul_lo_u32 v55, v35, s29
	v_mov_b32_e32 v35, 0
	v_dot4c_i32_i8_e32 v75, v52, v45
	v_dot4c_i32_i8_e32 v35, v55, v45
	v_pk_fma_f32 v[46:47], v[36:37], v[64:65], v[46:47] op_sel_hi:[0,1,1]
	v_lshrrev_b32_e32 v48, 4, v33
	v_cvt_f32_i32_e32 v64, v75
	v_cvt_f32_i32_e32 v65, v35
	v_and_b32_e32 v48, 0x3030303, v48
	v_dot4c_i32_i8_e32 v68, v48, v70
	v_dot4c_i32_i8_e32 v69, v53, v70
	v_pk_fma_f32 v[66:67], v[36:37], v[64:65], v[38:39] op_sel_hi:[0,1,1]
	v_and_b32_e32 v63, 15, v76
	v_and_b32_e32 v64, 15, v77
	v_mul_lo_u32 v35, v64, v68
	v_mul_lo_u32 v36, v63, v69
	v_cvt_f32_i32_e32 v39, v36
	v_cvt_f32_i32_e32 v38, v35
	v_dot4c_i32_i8_e32 v78, v57, v70
	v_lshrrev_b32_e32 v33, 6, v33
	v_and_b32_e32 v49, 0x3030303, v33
	v_pk_fma_f32 v[68:69], v[34:35], v[38:39], v[46:47] op_sel_hi:[0,1,1]
	v_lshrrev_b32_e32 v35, 4, v76
	v_mul_lo_u32 v39, v35, s29
	v_mov_b32_e32 v35, 0
	v_dot4c_i32_i8_e32 v35, v39, v70
	v_cvt_f32_i32_e32 v46, v78
	v_mov_b32_e32 v33, 0
	v_dot4c_i32_i8_e32 v33, v49, v71
	v_cvt_f32_i32_e32 v47, v35
	v_dot4c_i32_i8_e32 v74, v54, v71
	v_dot4c_i32_i8_e32 v81, v58, v71
	v_mov_b32_e32 v75, 0
	v_pk_fma_f32 v[34:35], v[34:35], v[46:47], v[66:67] op_sel_hi:[0,1,1]
	v_and_b32_e32 v46, 15, v79
	v_and_b32_e32 v47, 15, v80
	v_mul_lo_u32 v33, v47, v33
	v_mul_lo_u32 v36, v46, v74
	v_cvt_f32_i32_e32 v67, v36
	v_cvt_f32_i32_e32 v66, v33
	v_add_u32_e32 v36, s9, v44
	v_mov_b32_e32 v80, 0
	v_mov_b32_e32 v76, 0
	v_pk_fma_f32 v[66:67], v[32:33], v[66:67], v[68:69] op_sel_hi:[0,1,1]
	v_lshrrev_b32_e32 v33, 4, v79
	v_mul_lo_u32 v45, v33, s29
	v_mov_b32_e32 v33, 0
	v_dot4c_i32_i8_e32 v33, v45, v71
	v_cvt_f32_i32_e32 v68, v81
	v_mov_b32_e32 v78, 0
	v_mov_b32_e32 v81, 0
	v_cvt_f32_i32_e32 v69, v33
	v_mov_b32_e32 v77, 0
	v_mov_b32_e32 v79, 0
	v_pk_fma_f32 v[68:69], v[32:33], v[68:69], v[34:35] op_sel_hi:[0,1,1]
	v_cvt_f32_f16_sdwa v35, v73 dst_sel:DWORD dst_unused:UNUSED_PAD src0_sel:WORD_1
	v_cvt_f32_f16_sdwa v34, v72 dst_sel:DWORD dst_unused:UNUSED_PAD src0_sel:WORD_1
	v_cvt_f32_f16_e32 v33, v73
	v_cvt_f32_f16_e32 v32, v72
	v_pk_mul_f32 v[68:69], v[68:69], v[34:35]
	s_nop 0
	v_pk_fma_f32 v[66:67], v[66:67], v[32:33], v[68:69] neg_lo:[0,0,1] neg_hi:[0,0,1]
	s_nop 0
	v_pk_add_f32 v[12:13], v[12:13], v[66:67]
	v_mad_u64_u32 v[66:67], s[30:31], v36, 36, v[22:23]
	v_lshl_add_u64 v[68:69], v[66:67], 0, v[30:31]
	global_load_dword v65, v[68:69], off offset:4
	global_load_dword v36, v[66:67], off
	v_lshl_add_u64 v[70:71], v[66:67], 0, 36
	v_lshl_add_u64 v[70:71], v[70:71], 0, v[30:31]
	v_mov_b32_e32 v69, 0
	s_waitcnt vmcnt(1)
	v_dot4c_i32_i8_e32 v69, v42, v65
	s_waitcnt vmcnt(0)
	v_cvt_f32_f16_e32 v68, v36
	global_load_dword v72, v[70:71], off offset:4
	global_load_dword v36, v[66:67], off offset:36
	v_lshl_add_u64 v[70:71], v[66:67], 0, s[16:17]
	v_lshl_add_u64 v[70:71], v[70:71], 0, v[30:31]
	s_waitcnt vmcnt(1)
	v_dot4c_i32_i8_e32 v75, v43, v72
	s_waitcnt vmcnt(0)
	v_cvt_f32_f16_e32 v40, v36
	global_load_dword v73, v[70:71], off offset:4
	global_load_dword v36, v[66:67], off offset:72
	v_lshl_add_u64 v[70:71], v[66:67], 0, s[20:21]
	v_lshl_add_u64 v[70:71], v[70:71], 0, v[30:31]
	v_dot4c_i32_i8_e32 v80, v52, v72
	s_waitcnt vmcnt(1)
	v_dot4c_i32_i8_e32 v76, v48, v73
	s_waitcnt vmcnt(0)
	v_cvt_f32_f16_e32 v38, v36
	global_load_dword v74, v[70:71], off offset:4
	global_load_dword v36, v[66:67], off offset:108
	v_mov_b32_e32 v66, 0
	v_mov_b32_e32 v67, 0
	v_dot4c_i32_i8_e32 v66, v41, v65
	v_dot4c_i32_i8_e32 v67, v50, v65
	v_mov_b32_e32 v70, 0
	v_dot4c_i32_i8_e32 v70, v56, v65
	v_mul_lo_u32 v66, v60, v66
	v_mul_lo_u32 v67, v59, v67
	v_cvt_f32_i32_e32 v67, v67
	v_cvt_f32_i32_e32 v66, v66
	;; [unrolled: 1-line block ×4, first 2 shown]
	v_mov_b32_e32 v65, 0
	v_dot4c_i32_i8_e32 v65, v51, v72
	v_pk_fma_f32 v[66:67], v[68:69], v[66:67], 0 op_sel_hi:[0,1,0]
	v_pk_fma_f32 v[68:69], v[68:69], v[70:71], 0 op_sel_hi:[0,1,0]
	v_mul_lo_u32 v70, v62, v75
	v_mul_lo_u32 v65, v61, v65
	v_cvt_f32_i32_e32 v71, v65
	v_cvt_f32_i32_e32 v70, v70
	v_mov_b32_e32 v65, 0
	v_dot4c_i32_i8_e32 v65, v55, v72
	v_dot4c_i32_i8_e32 v78, v53, v73
	v_pk_fma_f32 v[66:67], v[40:41], v[70:71], v[66:67] op_sel_hi:[0,1,1]
	v_cvt_f32_i32_e32 v70, v80
	v_cvt_f32_i32_e32 v71, v65
	v_mul_lo_u32 v65, v63, v78
	v_dot4c_i32_i8_e32 v81, v57, v73
	v_mov_b32_e32 v72, 0
	v_pk_fma_f32 v[68:69], v[40:41], v[70:71], v[68:69] op_sel_hi:[0,1,1]
	v_mul_lo_u32 v40, v64, v76
	v_cvt_f32_i32_e32 v71, v65
	v_cvt_f32_i32_e32 v70, v40
	v_mov_b32_e32 v40, 0
	v_dot4c_i32_i8_e32 v40, v39, v73
	v_mov_b32_e32 v78, 0
	v_pk_fma_f32 v[66:67], v[38:39], v[70:71], v[66:67] op_sel_hi:[0,1,1]
	v_cvt_f32_i32_e32 v70, v81
	v_cvt_f32_i32_e32 v71, v40
	v_mov_b32_e32 v81, 0
	v_mov_b32_e32 v80, 0
	v_pk_fma_f32 v[68:69], v[38:39], v[70:71], v[68:69] op_sel_hi:[0,1,1]
	s_waitcnt vmcnt(1)
	v_dot4c_i32_i8_e32 v77, v49, v74
	v_dot4c_i32_i8_e32 v79, v54, v74
	s_nop 1
	v_mul_lo_u32 v38, v47, v77
	s_waitcnt vmcnt(0)
	v_cvt_f32_f16_e32 v36, v36
	v_cvt_f32_i32_e32 v70, v38
	v_mul_lo_u32 v40, v46, v79
	v_cvt_f32_i32_e32 v71, v40
	v_mov_b32_e32 v38, 0
	v_dot4c_i32_i8_e32 v82, v58, v74
	v_dot4c_i32_i8_e32 v38, v45, v74
	v_pk_fma_f32 v[66:67], v[36:37], v[70:71], v[66:67] op_sel_hi:[0,1,1]
	v_mov_b32_e32 v77, 0
	v_cvt_f32_i32_e32 v70, v82
	v_cvt_f32_i32_e32 v71, v38
	v_mov_b32_e32 v79, 0
	v_mov_b32_e32 v82, 0
	v_pk_fma_f32 v[68:69], v[36:37], v[70:71], v[68:69] op_sel_hi:[0,1,1]
	v_pk_mul_f32 v[68:69], v[68:69], v[34:35]
	v_add_u32_e32 v36, s15, v44
	v_pk_fma_f32 v[66:67], v[66:67], v[32:33], v[68:69] neg_lo:[0,0,1] neg_hi:[0,0,1]
	v_mov_b32_e32 v71, 0
	v_pk_add_f32 v[14:15], v[14:15], v[66:67]
	v_mad_u64_u32 v[66:67], s[30:31], v36, 36, v[22:23]
	v_lshl_add_u64 v[68:69], v[66:67], 0, v[30:31]
	global_load_dword v65, v[68:69], off offset:4
	global_load_dword v36, v[66:67], off
	v_lshl_add_u64 v[68:69], v[66:67], 0, 36
	v_lshl_add_u64 v[68:69], v[68:69], 0, v[30:31]
	global_load_dword v74, v[68:69], off offset:4
	global_load_dword v38, v[66:67], off offset:36
	v_lshl_add_u64 v[68:69], v[66:67], 0, s[16:17]
	v_lshl_add_u64 v[68:69], v[68:69], 0, v[30:31]
	global_load_dword v75, v[68:69], off offset:4
	global_load_dword v40, v[66:67], off offset:72
	;; [unrolled: 4-line block ×3, first 2 shown]
	v_mov_b32_e32 v67, 0
	v_mov_b32_e32 v68, 0
	s_waitcnt vmcnt(7)
	v_dot4c_i32_i8_e32 v67, v41, v65
	v_dot4c_i32_i8_e32 v68, v50, v65
	;; [unrolled: 1-line block ×3, first 2 shown]
	s_nop 0
	v_mul_lo_u32 v67, v60, v67
	s_waitcnt vmcnt(6)
	v_cvt_f32_f16_e32 v36, v36
	v_mul_lo_u32 v68, v59, v68
	v_cvt_f32_i32_e32 v69, v68
	v_cvt_f32_i32_e32 v68, v67
	;; [unrolled: 1-line block ×3, first 2 shown]
	s_waitcnt vmcnt(5)
	v_dot4c_i32_i8_e32 v72, v43, v74
	s_waitcnt vmcnt(0)
	v_cvt_f32_f16_e32 v66, v70
	v_mov_b32_e32 v70, 0
	v_dot4c_i32_i8_e32 v70, v42, v65
	v_mov_b32_e32 v65, 0
	v_dot4c_i32_i8_e32 v65, v51, v74
	v_pk_fma_f32 v[68:69], v[36:37], v[68:69], 0 op_sel_hi:[0,1,0]
	v_cvt_f32_i32_e32 v70, v70
	v_cvt_f32_f16_e32 v38, v38
	v_mul_lo_u32 v65, v61, v65
	v_cvt_f32_i32_e32 v73, v65
	v_pk_fma_f32 v[70:71], v[36:37], v[70:71], 0 op_sel_hi:[0,1,0]
	v_mul_lo_u32 v36, v62, v72
	v_cvt_f32_i32_e32 v72, v36
	v_mov_b32_e32 v36, 0
	v_dot4c_i32_i8_e32 v81, v52, v74
	v_dot4c_i32_i8_e32 v36, v55, v74
	v_pk_fma_f32 v[68:69], v[38:39], v[72:73], v[68:69] op_sel_hi:[0,1,1]
	v_dot4c_i32_i8_e32 v77, v48, v75
	v_cvt_f32_i32_e32 v72, v81
	v_cvt_f32_i32_e32 v73, v36
	v_dot4c_i32_i8_e32 v79, v53, v75
	v_mul_lo_u32 v36, v64, v77
	v_cvt_f32_f16_e32 v40, v40
	v_pk_fma_f32 v[70:71], v[38:39], v[72:73], v[70:71] op_sel_hi:[0,1,1]
	v_mul_lo_u32 v38, v63, v79
	v_cvt_f32_i32_e32 v73, v38
	v_cvt_f32_i32_e32 v72, v36
	v_mov_b32_e32 v36, 0
	v_dot4c_i32_i8_e32 v82, v57, v75
	v_dot4c_i32_i8_e32 v36, v39, v75
	v_pk_fma_f32 v[68:69], v[40:41], v[72:73], v[68:69] op_sel_hi:[0,1,1]
	v_dot4c_i32_i8_e32 v78, v49, v76
	v_cvt_f32_i32_e32 v72, v82
	v_cvt_f32_i32_e32 v73, v36
	v_dot4c_i32_i8_e32 v80, v54, v76
	v_mul_lo_u32 v36, v47, v78
	v_dot4c_i32_i8_e32 v83, v58, v76
	v_pk_fma_f32 v[70:71], v[40:41], v[72:73], v[70:71] op_sel_hi:[0,1,1]
	v_mul_lo_u32 v38, v46, v80
	v_cvt_f32_i32_e32 v73, v38
	v_cvt_f32_i32_e32 v72, v36
	v_mov_b32_e32 v36, 0
	v_dot4c_i32_i8_e32 v36, v45, v76
	v_mov_b32_e32 v75, 0
	v_pk_fma_f32 v[68:69], v[66:67], v[72:73], v[68:69] op_sel_hi:[0,1,1]
	v_cvt_f32_i32_e32 v72, v83
	v_cvt_f32_i32_e32 v73, v36
	v_add_u32_e32 v36, s19, v44
	v_mov_b32_e32 v80, 0
	v_mov_b32_e32 v76, 0
	v_pk_fma_f32 v[66:67], v[66:67], v[72:73], v[70:71] op_sel_hi:[0,1,1]
	v_pk_mul_f32 v[66:67], v[66:67], v[34:35]
	v_mov_b32_e32 v78, 0
	v_pk_fma_f32 v[66:67], v[68:69], v[32:33], v[66:67] neg_lo:[0,0,1] neg_hi:[0,0,1]
	v_mov_b32_e32 v81, 0
	v_pk_add_f32 v[8:9], v[8:9], v[66:67]
	v_mad_u64_u32 v[66:67], s[30:31], v36, 36, v[22:23]
	v_lshl_add_u64 v[68:69], v[66:67], 0, v[30:31]
	global_load_dword v65, v[68:69], off offset:4
	global_load_dword v36, v[66:67], off
	v_lshl_add_u64 v[70:71], v[66:67], 0, 36
	v_lshl_add_u64 v[70:71], v[70:71], 0, v[30:31]
	v_mov_b32_e32 v69, 0
	v_mov_b32_e32 v77, 0
	;; [unrolled: 1-line block ×5, first 2 shown]
	s_waitcnt vmcnt(1)
	v_dot4c_i32_i8_e32 v69, v42, v65
	s_waitcnt vmcnt(0)
	v_cvt_f32_f16_e32 v68, v36
	global_load_dword v72, v[70:71], off offset:4
	global_load_dword v36, v[66:67], off offset:36
	v_lshl_add_u64 v[70:71], v[66:67], 0, s[16:17]
	v_lshl_add_u64 v[70:71], v[70:71], 0, v[30:31]
	s_waitcnt vmcnt(1)
	v_dot4c_i32_i8_e32 v75, v43, v72
	s_waitcnt vmcnt(0)
	v_cvt_f32_f16_e32 v40, v36
	global_load_dword v73, v[70:71], off offset:4
	global_load_dword v36, v[66:67], off offset:72
	v_lshl_add_u64 v[70:71], v[66:67], 0, s[20:21]
	v_lshl_add_u64 v[70:71], v[70:71], 0, v[30:31]
	v_dot4c_i32_i8_e32 v80, v52, v72
	s_waitcnt vmcnt(1)
	v_dot4c_i32_i8_e32 v76, v48, v73
	s_waitcnt vmcnt(0)
	v_cvt_f32_f16_e32 v38, v36
	global_load_dword v74, v[70:71], off offset:4
	global_load_dword v36, v[66:67], off offset:108
	v_mov_b32_e32 v66, 0
	v_mov_b32_e32 v67, 0
	v_dot4c_i32_i8_e32 v66, v41, v65
	v_dot4c_i32_i8_e32 v67, v50, v65
	v_mov_b32_e32 v70, 0
	v_dot4c_i32_i8_e32 v70, v56, v65
	v_mul_lo_u32 v66, v60, v66
	v_mul_lo_u32 v67, v59, v67
	v_cvt_f32_i32_e32 v67, v67
	v_cvt_f32_i32_e32 v66, v66
	;; [unrolled: 1-line block ×4, first 2 shown]
	v_mov_b32_e32 v65, 0
	v_dot4c_i32_i8_e32 v65, v51, v72
	v_pk_fma_f32 v[66:67], v[68:69], v[66:67], 0 op_sel_hi:[0,1,0]
	v_pk_fma_f32 v[68:69], v[68:69], v[70:71], 0 op_sel_hi:[0,1,0]
	v_mul_lo_u32 v70, v62, v75
	v_mul_lo_u32 v65, v61, v65
	v_cvt_f32_i32_e32 v71, v65
	v_cvt_f32_i32_e32 v70, v70
	v_mov_b32_e32 v65, 0
	v_dot4c_i32_i8_e32 v65, v55, v72
	v_dot4c_i32_i8_e32 v78, v53, v73
	v_pk_fma_f32 v[66:67], v[40:41], v[70:71], v[66:67] op_sel_hi:[0,1,1]
	v_cvt_f32_i32_e32 v70, v80
	v_cvt_f32_i32_e32 v71, v65
	v_mul_lo_u32 v65, v63, v78
	v_dot4c_i32_i8_e32 v81, v57, v73
	v_mov_b32_e32 v75, 0
	v_pk_fma_f32 v[68:69], v[40:41], v[70:71], v[68:69] op_sel_hi:[0,1,1]
	v_mul_lo_u32 v40, v64, v76
	v_cvt_f32_i32_e32 v71, v65
	v_cvt_f32_i32_e32 v70, v40
	v_mov_b32_e32 v40, 0
	v_dot4c_i32_i8_e32 v40, v39, v73
	v_mov_b32_e32 v80, 0
	v_pk_fma_f32 v[66:67], v[38:39], v[70:71], v[66:67] op_sel_hi:[0,1,1]
	v_cvt_f32_i32_e32 v70, v81
	v_cvt_f32_i32_e32 v71, v40
	v_mov_b32_e32 v76, 0
	v_mov_b32_e32 v78, 0
	;; [unrolled: 1-line block ×3, first 2 shown]
	v_pk_fma_f32 v[68:69], v[38:39], v[70:71], v[68:69] op_sel_hi:[0,1,1]
	s_waitcnt vmcnt(1)
	v_dot4c_i32_i8_e32 v77, v49, v74
	v_dot4c_i32_i8_e32 v79, v54, v74
	s_nop 1
	v_mul_lo_u32 v38, v47, v77
	s_waitcnt vmcnt(0)
	v_cvt_f32_f16_e32 v36, v36
	v_cvt_f32_i32_e32 v70, v38
	v_mul_lo_u32 v40, v46, v79
	v_cvt_f32_i32_e32 v71, v40
	v_mov_b32_e32 v38, 0
	v_dot4c_i32_i8_e32 v82, v58, v74
	v_dot4c_i32_i8_e32 v38, v45, v74
	v_pk_fma_f32 v[66:67], v[36:37], v[70:71], v[66:67] op_sel_hi:[0,1,1]
	v_mov_b32_e32 v77, 0
	v_cvt_f32_i32_e32 v70, v82
	v_cvt_f32_i32_e32 v71, v38
	v_mov_b32_e32 v79, 0
	v_mov_b32_e32 v82, 0
	v_pk_fma_f32 v[68:69], v[36:37], v[70:71], v[68:69] op_sel_hi:[0,1,1]
	v_pk_mul_f32 v[68:69], v[68:69], v[34:35]
	v_add_u32_e32 v36, s24, v44
	v_pk_fma_f32 v[66:67], v[66:67], v[32:33], v[68:69] neg_lo:[0,0,1] neg_hi:[0,0,1]
	s_nop 0
	v_pk_add_f32 v[10:11], v[10:11], v[66:67]
	v_mad_u64_u32 v[66:67], s[30:31], v36, 36, v[22:23]
	v_lshl_add_u64 v[68:69], v[66:67], 0, v[30:31]
	global_load_dword v65, v[68:69], off offset:4
	global_load_dword v36, v[66:67], off
	v_lshl_add_u64 v[70:71], v[66:67], 0, 36
	v_lshl_add_u64 v[70:71], v[70:71], 0, v[30:31]
	v_mov_b32_e32 v69, 0
	s_waitcnt vmcnt(1)
	v_dot4c_i32_i8_e32 v69, v42, v65
	s_waitcnt vmcnt(0)
	v_cvt_f32_f16_e32 v68, v36
	global_load_dword v72, v[70:71], off offset:4
	global_load_dword v36, v[66:67], off offset:36
	v_lshl_add_u64 v[70:71], v[66:67], 0, s[16:17]
	v_lshl_add_u64 v[70:71], v[70:71], 0, v[30:31]
	s_waitcnt vmcnt(1)
	v_dot4c_i32_i8_e32 v75, v43, v72
	s_waitcnt vmcnt(0)
	v_cvt_f32_f16_e32 v40, v36
	global_load_dword v73, v[70:71], off offset:4
	global_load_dword v36, v[66:67], off offset:72
	v_lshl_add_u64 v[70:71], v[66:67], 0, s[20:21]
	v_lshl_add_u64 v[70:71], v[70:71], 0, v[30:31]
	v_dot4c_i32_i8_e32 v80, v52, v72
	s_waitcnt vmcnt(1)
	v_dot4c_i32_i8_e32 v76, v48, v73
	s_waitcnt vmcnt(0)
	v_cvt_f32_f16_e32 v38, v36
	global_load_dword v74, v[70:71], off offset:4
	global_load_dword v36, v[66:67], off offset:108
	v_mov_b32_e32 v66, 0
	v_mov_b32_e32 v67, 0
	v_dot4c_i32_i8_e32 v66, v41, v65
	v_dot4c_i32_i8_e32 v67, v50, v65
	v_mov_b32_e32 v70, 0
	v_dot4c_i32_i8_e32 v70, v56, v65
	v_mul_lo_u32 v66, v60, v66
	v_mul_lo_u32 v67, v59, v67
	v_cvt_f32_i32_e32 v67, v67
	v_cvt_f32_i32_e32 v66, v66
	;; [unrolled: 1-line block ×4, first 2 shown]
	v_mov_b32_e32 v65, 0
	v_dot4c_i32_i8_e32 v65, v51, v72
	v_pk_fma_f32 v[66:67], v[68:69], v[66:67], 0 op_sel_hi:[0,1,0]
	v_pk_fma_f32 v[68:69], v[68:69], v[70:71], 0 op_sel_hi:[0,1,0]
	v_mul_lo_u32 v70, v62, v75
	v_mul_lo_u32 v65, v61, v65
	v_cvt_f32_i32_e32 v71, v65
	v_cvt_f32_i32_e32 v70, v70
	v_mov_b32_e32 v65, 0
	v_dot4c_i32_i8_e32 v65, v55, v72
	v_dot4c_i32_i8_e32 v78, v53, v73
	v_pk_fma_f32 v[66:67], v[40:41], v[70:71], v[66:67] op_sel_hi:[0,1,1]
	v_cvt_f32_i32_e32 v70, v80
	v_cvt_f32_i32_e32 v71, v65
	v_mul_lo_u32 v65, v63, v78
	v_dot4c_i32_i8_e32 v81, v57, v73
	v_mov_b32_e32 v72, 0
	v_pk_fma_f32 v[68:69], v[40:41], v[70:71], v[68:69] op_sel_hi:[0,1,1]
	v_mul_lo_u32 v40, v64, v76
	v_cvt_f32_i32_e32 v71, v65
	v_cvt_f32_i32_e32 v70, v40
	v_mov_b32_e32 v40, 0
	v_dot4c_i32_i8_e32 v40, v39, v73
	v_mov_b32_e32 v78, 0
	v_pk_fma_f32 v[66:67], v[38:39], v[70:71], v[66:67] op_sel_hi:[0,1,1]
	v_cvt_f32_i32_e32 v70, v81
	v_cvt_f32_i32_e32 v71, v40
	v_mov_b32_e32 v81, 0
	v_mov_b32_e32 v80, 0
	v_pk_fma_f32 v[68:69], v[38:39], v[70:71], v[68:69] op_sel_hi:[0,1,1]
	s_waitcnt vmcnt(1)
	v_dot4c_i32_i8_e32 v77, v49, v74
	v_dot4c_i32_i8_e32 v79, v54, v74
	s_nop 1
	v_mul_lo_u32 v38, v47, v77
	s_waitcnt vmcnt(0)
	v_cvt_f32_f16_e32 v36, v36
	v_cvt_f32_i32_e32 v70, v38
	v_mul_lo_u32 v40, v46, v79
	v_cvt_f32_i32_e32 v71, v40
	v_mov_b32_e32 v38, 0
	v_dot4c_i32_i8_e32 v82, v58, v74
	v_dot4c_i32_i8_e32 v38, v45, v74
	v_pk_fma_f32 v[66:67], v[36:37], v[70:71], v[66:67] op_sel_hi:[0,1,1]
	v_mov_b32_e32 v77, 0
	v_cvt_f32_i32_e32 v70, v82
	v_cvt_f32_i32_e32 v71, v38
	v_mov_b32_e32 v79, 0
	v_mov_b32_e32 v82, 0
	v_pk_fma_f32 v[68:69], v[36:37], v[70:71], v[68:69] op_sel_hi:[0,1,1]
	v_pk_mul_f32 v[68:69], v[68:69], v[34:35]
	v_add_u32_e32 v36, s25, v44
	v_pk_fma_f32 v[66:67], v[66:67], v[32:33], v[68:69] neg_lo:[0,0,1] neg_hi:[0,0,1]
	v_mov_b32_e32 v71, 0
	v_pk_add_f32 v[4:5], v[4:5], v[66:67]
	v_mad_u64_u32 v[66:67], s[30:31], v36, 36, v[22:23]
	v_lshl_add_u64 v[68:69], v[66:67], 0, v[30:31]
	global_load_dword v65, v[68:69], off offset:4
	global_load_dword v36, v[66:67], off
	v_lshl_add_u64 v[68:69], v[66:67], 0, 36
	v_lshl_add_u64 v[68:69], v[68:69], 0, v[30:31]
	global_load_dword v74, v[68:69], off offset:4
	global_load_dword v38, v[66:67], off offset:36
	v_lshl_add_u64 v[68:69], v[66:67], 0, s[16:17]
	v_lshl_add_u64 v[68:69], v[68:69], 0, v[30:31]
	global_load_dword v75, v[68:69], off offset:4
	global_load_dword v40, v[66:67], off offset:72
	v_lshl_add_u64 v[68:69], v[66:67], 0, s[20:21]
	v_lshl_add_u64 v[68:69], v[68:69], 0, v[30:31]
	global_load_dword v76, v[68:69], off offset:4
	global_load_dword v70, v[66:67], off offset:108
	v_mov_b32_e32 v67, 0
	v_mov_b32_e32 v68, 0
	s_waitcnt vmcnt(7)
	v_dot4c_i32_i8_e32 v67, v41, v65
	v_dot4c_i32_i8_e32 v68, v50, v65
	;; [unrolled: 1-line block ×3, first 2 shown]
	s_nop 0
	v_mul_lo_u32 v67, v60, v67
	s_waitcnt vmcnt(6)
	v_cvt_f32_f16_e32 v36, v36
	v_mul_lo_u32 v68, v59, v68
	v_cvt_f32_i32_e32 v69, v68
	v_cvt_f32_i32_e32 v68, v67
	;; [unrolled: 1-line block ×3, first 2 shown]
	s_waitcnt vmcnt(5)
	v_dot4c_i32_i8_e32 v72, v43, v74
	s_waitcnt vmcnt(0)
	v_cvt_f32_f16_e32 v66, v70
	v_mov_b32_e32 v70, 0
	v_dot4c_i32_i8_e32 v70, v42, v65
	v_mov_b32_e32 v65, 0
	v_dot4c_i32_i8_e32 v65, v51, v74
	v_pk_fma_f32 v[68:69], v[36:37], v[68:69], 0 op_sel_hi:[0,1,0]
	v_cvt_f32_i32_e32 v70, v70
	v_cvt_f32_f16_e32 v38, v38
	v_mul_lo_u32 v65, v61, v65
	v_cvt_f32_i32_e32 v73, v65
	v_pk_fma_f32 v[70:71], v[36:37], v[70:71], 0 op_sel_hi:[0,1,0]
	v_mul_lo_u32 v36, v62, v72
	v_cvt_f32_i32_e32 v72, v36
	v_mov_b32_e32 v36, 0
	v_dot4c_i32_i8_e32 v81, v52, v74
	v_dot4c_i32_i8_e32 v36, v55, v74
	v_pk_fma_f32 v[68:69], v[38:39], v[72:73], v[68:69] op_sel_hi:[0,1,1]
	v_dot4c_i32_i8_e32 v77, v48, v75
	v_cvt_f32_i32_e32 v72, v81
	v_cvt_f32_i32_e32 v73, v36
	v_dot4c_i32_i8_e32 v79, v53, v75
	v_mul_lo_u32 v36, v64, v77
	v_cvt_f32_f16_e32 v40, v40
	v_pk_fma_f32 v[70:71], v[38:39], v[72:73], v[70:71] op_sel_hi:[0,1,1]
	v_mul_lo_u32 v38, v63, v79
	v_cvt_f32_i32_e32 v73, v38
	v_cvt_f32_i32_e32 v72, v36
	v_mov_b32_e32 v36, 0
	v_dot4c_i32_i8_e32 v82, v57, v75
	v_dot4c_i32_i8_e32 v36, v39, v75
	v_pk_fma_f32 v[68:69], v[40:41], v[72:73], v[68:69] op_sel_hi:[0,1,1]
	v_dot4c_i32_i8_e32 v78, v49, v76
	v_cvt_f32_i32_e32 v72, v82
	v_cvt_f32_i32_e32 v73, v36
	v_dot4c_i32_i8_e32 v80, v54, v76
	v_mul_lo_u32 v36, v47, v78
	v_dot4c_i32_i8_e32 v83, v58, v76
	v_pk_fma_f32 v[70:71], v[40:41], v[72:73], v[70:71] op_sel_hi:[0,1,1]
	v_mul_lo_u32 v38, v46, v80
	v_cvt_f32_i32_e32 v73, v38
	v_cvt_f32_i32_e32 v72, v36
	v_mov_b32_e32 v36, 0
	v_dot4c_i32_i8_e32 v36, v45, v76
	v_mov_b32_e32 v81, 0
	v_pk_fma_f32 v[68:69], v[66:67], v[72:73], v[68:69] op_sel_hi:[0,1,1]
	v_cvt_f32_i32_e32 v72, v83
	v_cvt_f32_i32_e32 v73, v36
	v_add_u32_e32 v36, s26, v44
	v_mov_b32_e32 v77, 0
	v_mov_b32_e32 v79, 0
	v_pk_fma_f32 v[66:67], v[66:67], v[72:73], v[70:71] op_sel_hi:[0,1,1]
	v_pk_mul_f32 v[66:67], v[66:67], v[34:35]
	v_mov_b32_e32 v71, 0
	v_pk_fma_f32 v[66:67], v[68:69], v[32:33], v[66:67] neg_lo:[0,0,1] neg_hi:[0,0,1]
	v_mov_b32_e32 v72, 0
	v_pk_add_f32 v[6:7], v[6:7], v[66:67]
	v_mad_u64_u32 v[66:67], s[30:31], v36, 36, v[22:23]
	v_lshl_add_u64 v[68:69], v[66:67], 0, v[30:31]
	global_load_dword v65, v[68:69], off offset:4
	global_load_dword v36, v[66:67], off
	v_lshl_add_u64 v[68:69], v[66:67], 0, 36
	v_lshl_add_u64 v[68:69], v[68:69], 0, v[30:31]
	global_load_dword v74, v[68:69], off offset:4
	global_load_dword v38, v[66:67], off offset:36
	v_lshl_add_u64 v[68:69], v[66:67], 0, s[16:17]
	v_lshl_add_u64 v[68:69], v[68:69], 0, v[30:31]
	global_load_dword v75, v[68:69], off offset:4
	global_load_dword v40, v[66:67], off offset:72
	;; [unrolled: 4-line block ×3, first 2 shown]
	v_mov_b32_e32 v67, 0
	v_mov_b32_e32 v68, 0
	;; [unrolled: 1-line block ×6, first 2 shown]
	s_waitcnt vmcnt(7)
	v_dot4c_i32_i8_e32 v67, v41, v65
	v_dot4c_i32_i8_e32 v68, v50, v65
	;; [unrolled: 1-line block ×3, first 2 shown]
	s_nop 0
	v_mul_lo_u32 v67, v60, v67
	s_waitcnt vmcnt(6)
	v_cvt_f32_f16_e32 v36, v36
	v_mul_lo_u32 v68, v59, v68
	v_cvt_f32_i32_e32 v69, v68
	v_cvt_f32_i32_e32 v68, v67
	;; [unrolled: 1-line block ×3, first 2 shown]
	s_waitcnt vmcnt(5)
	v_dot4c_i32_i8_e32 v72, v43, v74
	s_waitcnt vmcnt(0)
	v_cvt_f32_f16_e32 v66, v70
	v_mov_b32_e32 v70, 0
	v_dot4c_i32_i8_e32 v70, v42, v65
	v_mov_b32_e32 v65, 0
	v_dot4c_i32_i8_e32 v65, v51, v74
	v_pk_fma_f32 v[68:69], v[36:37], v[68:69], 0 op_sel_hi:[0,1,0]
	v_cvt_f32_i32_e32 v70, v70
	v_cvt_f32_f16_e32 v38, v38
	v_mul_lo_u32 v65, v61, v65
	v_cvt_f32_i32_e32 v73, v65
	v_pk_fma_f32 v[70:71], v[36:37], v[70:71], 0 op_sel_hi:[0,1,0]
	v_mul_lo_u32 v36, v62, v72
	v_cvt_f32_i32_e32 v72, v36
	v_mov_b32_e32 v36, 0
	v_dot4c_i32_i8_e32 v81, v52, v74
	v_dot4c_i32_i8_e32 v36, v55, v74
	v_pk_fma_f32 v[68:69], v[38:39], v[72:73], v[68:69] op_sel_hi:[0,1,1]
	v_dot4c_i32_i8_e32 v77, v48, v75
	v_cvt_f32_i32_e32 v72, v81
	v_cvt_f32_i32_e32 v73, v36
	v_dot4c_i32_i8_e32 v79, v53, v75
	v_mul_lo_u32 v36, v64, v77
	v_cvt_f32_f16_e32 v40, v40
	v_pk_fma_f32 v[70:71], v[38:39], v[72:73], v[70:71] op_sel_hi:[0,1,1]
	v_mul_lo_u32 v38, v63, v79
	v_cvt_f32_i32_e32 v73, v38
	v_cvt_f32_i32_e32 v72, v36
	v_mov_b32_e32 v36, 0
	v_dot4c_i32_i8_e32 v82, v57, v75
	v_dot4c_i32_i8_e32 v36, v39, v75
	v_pk_fma_f32 v[68:69], v[40:41], v[72:73], v[68:69] op_sel_hi:[0,1,1]
	v_dot4c_i32_i8_e32 v78, v49, v76
	v_cvt_f32_i32_e32 v72, v82
	v_cvt_f32_i32_e32 v73, v36
	v_dot4c_i32_i8_e32 v80, v54, v76
	v_mul_lo_u32 v36, v47, v78
	v_dot4c_i32_i8_e32 v83, v58, v76
	v_pk_fma_f32 v[70:71], v[40:41], v[72:73], v[70:71] op_sel_hi:[0,1,1]
	v_mul_lo_u32 v38, v46, v80
	v_cvt_f32_i32_e32 v73, v38
	v_cvt_f32_i32_e32 v72, v36
	v_mov_b32_e32 v36, 0
	v_dot4c_i32_i8_e32 v36, v45, v76
	v_pk_fma_f32 v[68:69], v[66:67], v[72:73], v[68:69] op_sel_hi:[0,1,1]
	v_cvt_f32_i32_e32 v72, v83
	s_nop 0
	v_cvt_f32_i32_e32 v73, v36
	v_add_u32_e32 v36, s27, v44
	v_add_u32_e32 v44, 32, v44
	v_pk_fma_f32 v[66:67], v[66:67], v[72:73], v[70:71] op_sel_hi:[0,1,1]
	v_pk_mul_f32 v[66:67], v[66:67], v[34:35]
	s_nop 0
	v_pk_fma_f32 v[66:67], v[68:69], v[32:33], v[66:67] neg_lo:[0,0,1] neg_hi:[0,0,1]
	v_mad_u64_u32 v[68:69], s[30:31], v36, 36, v[22:23]
	v_pk_add_f32 v[0:1], v[0:1], v[66:67]
	v_lshl_add_u64 v[66:67], v[68:69], 0, v[30:31]
	global_load_dword v71, v[66:67], off offset:4
	global_load_dword v36, v[68:69], off
	v_lshl_add_u64 v[66:67], v[68:69], 0, 36
	v_lshl_add_u64 v[66:67], v[66:67], 0, v[30:31]
	s_waitcnt vmcnt(0)
	v_cvt_f32_f16_e32 v70, v36
	global_load_dword v74, v[66:67], off offset:4
	global_load_dword v36, v[68:69], off offset:36
	v_lshl_add_u64 v[66:67], v[68:69], 0, s[16:17]
	v_lshl_add_u64 v[72:73], v[66:67], 0, v[30:31]
	v_mov_b32_e32 v67, 0
	s_waitcnt vmcnt(0)
	v_cvt_f32_f16_e32 v40, v36
	global_load_dword v66, v[72:73], off offset:4
	global_load_dword v36, v[68:69], off offset:72
	v_lshl_add_u64 v[72:73], v[68:69], 0, s[20:21]
	v_lshl_add_u64 v[72:73], v[72:73], 0, v[30:31]
	s_waitcnt vmcnt(0)
	v_cvt_f32_f16_e32 v38, v36
	global_load_dword v65, v[72:73], off offset:4
	global_load_dword v36, v[68:69], off offset:108
	v_mov_b32_e32 v68, 0
	v_dot4c_i32_i8_e32 v68, v41, v71
	v_mov_b32_e32 v41, 0
	v_dot4c_i32_i8_e32 v41, v42, v71
	v_mov_b32_e32 v42, 0
	v_mov_b32_e32 v73, 0
	;; [unrolled: 1-line block ×3, first 2 shown]
	v_dot4c_i32_i8_e32 v42, v50, v71
	v_dot4c_i32_i8_e32 v73, v56, v71
	v_mov_b32_e32 v56, 0
	v_dot4c_i32_i8_e32 v69, v43, v74
	v_dot4c_i32_i8_e32 v56, v51, v74
	v_mul_lo_u32 v42, v59, v42
	v_mov_b32_e32 v50, 0
	v_cvt_f32_i32_e32 v43, v42
	v_mul_lo_u32 v56, v61, v56
	v_dot4c_i32_i8_e32 v50, v57, v66
	v_cvt_f32_i32_e32 v57, v56
	v_mov_b32_e32 v51, 0
	v_dot4c_i32_i8_e32 v51, v53, v66
	v_cvt_f32_i32_e32 v53, v73
	v_mov_b32_e32 v72, 0
	v_dot4c_i32_i8_e32 v72, v48, v66
	v_mul_lo_u32 v51, v63, v51
	v_cvt_f32_i32_e32 v50, v50
	v_mov_b32_e32 v48, 0
	s_waitcnt vmcnt(1)
	v_dot4c_i32_i8_e32 v67, v49, v65
	v_mov_b32_e32 v49, 0
	v_dot4c_i32_i8_e32 v49, v54, v65
	v_mov_b32_e32 v54, 0
	v_dot4c_i32_i8_e32 v54, v52, v74
	v_mul_lo_u32 v52, v60, v68
	v_cvt_f32_i32_e32 v42, v52
	v_cvt_f32_i32_e32 v52, v41
	v_mul_lo_u32 v41, v62, v69
	v_cvt_f32_i32_e32 v56, v41
	v_pk_fma_f32 v[42:43], v[70:71], v[42:43], 0 op_sel_hi:[0,1,0]
	v_cvt_f32_i32_e32 v54, v54
	v_pk_fma_f32 v[52:53], v[70:71], v[52:53], 0 op_sel_hi:[0,1,0]
	v_pk_fma_f32 v[42:43], v[40:41], v[56:57], v[42:43] op_sel_hi:[0,1,1]
	v_mov_b32_e32 v41, 0
	v_dot4c_i32_i8_e32 v41, v55, v74
	s_waitcnt vmcnt(0)
	v_cvt_f32_f16_e32 v36, v36
	v_dot4c_i32_i8_e32 v48, v58, v65
	v_cvt_f32_i32_e32 v55, v41
	v_pk_fma_f32 v[40:41], v[40:41], v[54:55], v[52:53] op_sel_hi:[0,1,1]
	v_cvt_f32_i32_e32 v53, v51
	v_mov_b32_e32 v51, 0
	v_mul_lo_u32 v52, v64, v72
	v_dot4c_i32_i8_e32 v51, v39, v66
	v_cvt_f32_i32_e32 v52, v52
	v_pk_fma_f32 v[42:43], v[38:39], v[52:53], v[42:43] op_sel_hi:[0,1,1]
	s_nop 0
	v_cvt_f32_i32_e32 v51, v51
	v_pk_fma_f32 v[38:39], v[38:39], v[50:51], v[40:41] op_sel_hi:[0,1,1]
	v_mul_lo_u32 v40, v47, v67
	v_mul_lo_u32 v41, v46, v49
	v_cvt_f32_i32_e32 v41, v41
	v_cvt_f32_i32_e32 v40, v40
	v_pk_fma_f32 v[40:41], v[36:37], v[40:41], v[42:43] op_sel_hi:[0,1,1]
	v_mov_b32_e32 v42, 0
	v_dot4c_i32_i8_e32 v42, v45, v65
	s_nop 2
	v_cvt_f32_i32_e32 v43, v42
	v_cvt_f32_i32_e32 v42, v48
	v_pk_fma_f32 v[38:39], v[36:37], v[42:43], v[38:39] op_sel_hi:[0,1,1]
	v_pk_mul_f32 v[34:35], v[38:39], v[34:35]
	v_add_u32_e32 v37, 4, v37
	v_pk_fma_f32 v[32:33], v[40:41], v[32:33], v[34:35] neg_lo:[0,0,1] neg_hi:[0,0,1]
	v_cmp_le_u32_e32 vcc, s5, v37
	v_pk_add_f32 v[2:3], v[2:3], v[32:33]
	s_or_b64 s[12:13], vcc, s[12:13]
	s_andn2_b64 exec, exec, s[12:13]
	s_cbranch_execnz .LBB107_2
; %bb.3:
	s_or_b64 exec, exec, s[12:13]
	scratch_store_dwordx4 off, v[12:15], off
	scratch_store_dwordx4 off, v[8:11], off offset:16
	scratch_store_dwordx4 off, v[4:7], off offset:32
	;; [unrolled: 1-line block ×3, first 2 shown]
.LBB107_4:
	s_or_b64 exec, exec, s[6:7]
	s_mov_b32 s5, 0
	v_cmp_eq_u32_e32 vcc, 0, v17
	s_waitcnt lgkmcnt(0)
	; wave barrier
	s_and_saveexec_b64 s[6:7], vcc
	s_cbranch_execz .LBB107_21
; %bb.5:
	scratch_load_dwordx2 v[2:3], off, off
	v_mbcnt_lo_u32_b32 v0, -1, 0
	v_mbcnt_hi_u32_b32 v12, -1, v0
	s_load_dwordx2 s[6:7], s[0:1], 0x38
	s_mul_i32 s0, s3, s14
	v_or_b32_e32 v1, s2, v16
	v_and_b32_e32 v0, 64, v12
	s_mul_i32 s4, s4, s18
	s_add_i32 s2, s0, s2
	v_cmp_gt_u32_e64 s[0:1], s10, v1
	v_xor_b32_e32 v1, 32, v12
	v_add_u32_e32 v13, 64, v0
	s_add_i32 s4, s2, s4
	v_cmp_lt_i32_e64 s[2:3], v1, v13
	v_cmp_gt_u32_e32 vcc, 2, v16
	s_nop 0
	v_cndmask_b32_e64 v0, v12, v1, s[2:3]
	v_lshlrev_b32_e32 v0, 2, v0
	v_xor_b32_e32 v1, 16, v12
	v_cmp_lt_i32_e64 s[2:3], v1, v13
	s_waitcnt vmcnt(0)
	ds_bpermute_b32 v4, v0, v2
	ds_bpermute_b32 v5, v0, v3
	v_cndmask_b32_e64 v1, v12, v1, s[2:3]
	v_lshlrev_b32_e32 v1, 2, v1
	s_waitcnt lgkmcnt(0)
	v_pk_add_f32 v[4:5], v[2:3], v[4:5]
	ds_bpermute_b32 v6, v1, v4
	ds_bpermute_b32 v7, v1, v5
	v_xor_b32_e32 v2, 8, v12
	v_cmp_lt_i32_e64 s[2:3], v2, v13
	v_xor_b32_e32 v3, 4, v12
	s_waitcnt lgkmcnt(0)
	v_pk_add_f32 v[4:5], v[4:5], v[6:7]
	v_cndmask_b32_e64 v2, v12, v2, s[2:3]
	v_lshlrev_b32_e32 v2, 2, v2
	ds_bpermute_b32 v6, v2, v4
	ds_bpermute_b32 v7, v2, v5
	v_cmp_lt_i32_e64 s[2:3], v3, v13
	s_waitcnt lgkmcnt(0)
	v_pk_add_f32 v[6:7], v[4:5], v[6:7]
	v_cndmask_b32_e64 v3, v12, v3, s[2:3]
	v_lshlrev_b32_e32 v3, 2, v3
	ds_bpermute_b32 v8, v3, v6
	ds_bpermute_b32 v9, v3, v7
	v_xor_b32_e32 v4, 2, v12
	v_cmp_lt_i32_e64 s[2:3], v4, v13
	v_xor_b32_e32 v5, 1, v12
	s_waitcnt lgkmcnt(0)
	v_pk_add_f32 v[8:9], v[6:7], v[8:9]
	v_cndmask_b32_e64 v4, v12, v4, s[2:3]
	v_lshlrev_b32_e32 v4, 2, v4
	ds_bpermute_b32 v10, v4, v8
	ds_bpermute_b32 v11, v4, v9
	v_cmp_lt_i32_e64 s[2:3], v5, v13
	s_waitcnt lgkmcnt(0)
	v_pk_add_f32 v[8:9], v[8:9], v[10:11]
	v_cndmask_b32_e64 v5, v12, v5, s[2:3]
	v_lshlrev_b32_e32 v6, 2, v5
	ds_bpermute_b32 v10, v6, v8
	ds_bpermute_b32 v11, v6, v9
	s_lshl_b64 s[2:3], s[4:5], 2
	s_add_u32 s2, s6, s2
	s_addc_u32 s3, s7, s3
	s_and_b64 s[0:1], vcc, s[0:1]
	s_waitcnt lgkmcnt(0)
	v_pk_add_f32 v[8:9], v[8:9], v[10:11]
	v_lshlrev_b32_e32 v5, 2, v16
	scratch_store_dwordx2 off, v[8:9], off
	s_and_saveexec_b64 s[4:5], s[0:1]
	s_cbranch_execz .LBB107_7
; %bb.6:
	scratch_load_dword v7, v5, off
	s_waitcnt vmcnt(0)
	global_store_dword v5, v7, s[2:3]
.LBB107_7:
	s_or_b64 exec, exec, s[4:5]
	scratch_load_dwordx2 v[8:9], off, off offset:8
	s_waitcnt vmcnt(0)
	ds_bpermute_b32 v10, v0, v8
	ds_bpermute_b32 v11, v0, v9
	s_waitcnt lgkmcnt(0)
	v_pk_add_f32 v[8:9], v[8:9], v[10:11]
	ds_bpermute_b32 v10, v1, v8
	ds_bpermute_b32 v11, v1, v9
	s_waitcnt lgkmcnt(0)
	v_pk_add_f32 v[8:9], v[8:9], v[10:11]
	;; [unrolled: 4-line block ×6, first 2 shown]
	scratch_store_dwordx2 off, v[8:9], off offset:8
	s_and_saveexec_b64 s[4:5], s[0:1]
	s_cbranch_execz .LBB107_9
; %bb.8:
	scratch_load_dword v7, v5, off offset:8
	v_add_u32_e32 v8, s10, v16
	v_mov_b32_e32 v9, 0
	v_lshl_add_u64 v[8:9], v[8:9], 2, s[2:3]
	s_waitcnt vmcnt(0)
	global_store_dword v[8:9], v7, off
.LBB107_9:
	s_or_b64 exec, exec, s[4:5]
	scratch_load_dwordx2 v[8:9], off, off offset:16
	s_waitcnt vmcnt(0)
	ds_bpermute_b32 v10, v0, v8
	ds_bpermute_b32 v11, v0, v9
	s_waitcnt lgkmcnt(0)
	v_pk_add_f32 v[8:9], v[8:9], v[10:11]
	ds_bpermute_b32 v10, v1, v8
	ds_bpermute_b32 v11, v1, v9
	s_waitcnt lgkmcnt(0)
	v_pk_add_f32 v[8:9], v[8:9], v[10:11]
	ds_bpermute_b32 v10, v2, v8
	ds_bpermute_b32 v11, v2, v9
	s_waitcnt lgkmcnt(0)
	v_pk_add_f32 v[8:9], v[8:9], v[10:11]
	ds_bpermute_b32 v10, v3, v8
	ds_bpermute_b32 v11, v3, v9
	s_waitcnt lgkmcnt(0)
	v_pk_add_f32 v[8:9], v[8:9], v[10:11]
	ds_bpermute_b32 v10, v4, v8
	ds_bpermute_b32 v11, v4, v9
	s_waitcnt lgkmcnt(0)
	v_pk_add_f32 v[8:9], v[8:9], v[10:11]
	ds_bpermute_b32 v10, v6, v8
	ds_bpermute_b32 v11, v6, v9
	s_waitcnt lgkmcnt(0)
	v_pk_add_f32 v[8:9], v[8:9], v[10:11]
	scratch_store_dwordx2 off, v[8:9], off offset:16
	s_and_saveexec_b64 s[4:5], s[0:1]
	s_cbranch_execz .LBB107_11
; %bb.10:
	scratch_load_dword v7, v5, off offset:16
	v_lshl_or_b32 v8, s10, 1, v16
	v_mov_b32_e32 v9, 0
	v_lshl_add_u64 v[8:9], v[8:9], 2, s[2:3]
	s_waitcnt vmcnt(0)
	global_store_dword v[8:9], v7, off
.LBB107_11:
	s_or_b64 exec, exec, s[4:5]
	scratch_load_dwordx2 v[8:9], off, off offset:24
	s_waitcnt vmcnt(0)
	ds_bpermute_b32 v10, v0, v8
	ds_bpermute_b32 v11, v0, v9
	s_waitcnt lgkmcnt(0)
	v_pk_add_f32 v[8:9], v[8:9], v[10:11]
	ds_bpermute_b32 v10, v1, v8
	ds_bpermute_b32 v11, v1, v9
	s_waitcnt lgkmcnt(0)
	v_pk_add_f32 v[8:9], v[8:9], v[10:11]
	;; [unrolled: 4-line block ×6, first 2 shown]
	scratch_store_dwordx2 off, v[8:9], off offset:24
	s_and_saveexec_b64 s[4:5], s[0:1]
	s_cbranch_execz .LBB107_13
; %bb.12:
	scratch_load_dword v7, v5, off offset:24
	v_mad_u64_u32 v[8:9], s[6:7], s10, 3, v[16:17]
	v_mov_b32_e32 v9, 0
	v_lshl_add_u64 v[8:9], v[8:9], 2, s[2:3]
	s_waitcnt vmcnt(0)
	global_store_dword v[8:9], v7, off
.LBB107_13:
	s_or_b64 exec, exec, s[4:5]
	scratch_load_dwordx2 v[8:9], off, off offset:32
	s_waitcnt vmcnt(0)
	ds_bpermute_b32 v10, v0, v8
	ds_bpermute_b32 v11, v0, v9
	s_waitcnt lgkmcnt(0)
	v_pk_add_f32 v[8:9], v[8:9], v[10:11]
	ds_bpermute_b32 v10, v1, v8
	ds_bpermute_b32 v11, v1, v9
	s_waitcnt lgkmcnt(0)
	v_pk_add_f32 v[8:9], v[8:9], v[10:11]
	;; [unrolled: 4-line block ×6, first 2 shown]
	scratch_store_dwordx2 off, v[8:9], off offset:32
	s_and_saveexec_b64 s[4:5], s[0:1]
	s_cbranch_execz .LBB107_15
; %bb.14:
	scratch_load_dword v7, v5, off offset:32
	v_lshl_or_b32 v8, s10, 2, v16
	v_mov_b32_e32 v9, 0
	v_lshl_add_u64 v[8:9], v[8:9], 2, s[2:3]
	s_waitcnt vmcnt(0)
	global_store_dword v[8:9], v7, off
.LBB107_15:
	s_or_b64 exec, exec, s[4:5]
	scratch_load_dwordx2 v[8:9], off, off offset:40
	s_waitcnt vmcnt(0)
	ds_bpermute_b32 v10, v0, v8
	ds_bpermute_b32 v11, v0, v9
	s_waitcnt lgkmcnt(0)
	v_pk_add_f32 v[8:9], v[8:9], v[10:11]
	ds_bpermute_b32 v10, v1, v8
	ds_bpermute_b32 v11, v1, v9
	s_waitcnt lgkmcnt(0)
	v_pk_add_f32 v[8:9], v[8:9], v[10:11]
	;; [unrolled: 4-line block ×6, first 2 shown]
	scratch_store_dwordx2 off, v[8:9], off offset:40
	s_and_saveexec_b64 s[4:5], s[0:1]
	s_cbranch_execz .LBB107_17
; %bb.16:
	scratch_load_dword v7, v5, off offset:40
	v_mad_u64_u32 v[8:9], s[6:7], s10, 5, v[16:17]
	v_mov_b32_e32 v9, 0
	v_lshl_add_u64 v[8:9], v[8:9], 2, s[2:3]
	s_waitcnt vmcnt(0)
	global_store_dword v[8:9], v7, off
.LBB107_17:
	s_or_b64 exec, exec, s[4:5]
	scratch_load_dwordx2 v[8:9], off, off offset:48
	s_waitcnt vmcnt(0)
	ds_bpermute_b32 v10, v0, v8
	ds_bpermute_b32 v11, v0, v9
	s_waitcnt lgkmcnt(0)
	v_pk_add_f32 v[8:9], v[8:9], v[10:11]
	ds_bpermute_b32 v10, v1, v8
	ds_bpermute_b32 v11, v1, v9
	s_waitcnt lgkmcnt(0)
	v_pk_add_f32 v[8:9], v[8:9], v[10:11]
	;; [unrolled: 4-line block ×6, first 2 shown]
	scratch_store_dwordx2 off, v[8:9], off offset:48
	s_and_saveexec_b64 s[4:5], s[0:1]
	s_cbranch_execz .LBB107_19
; %bb.18:
	scratch_load_dword v7, v5, off offset:48
	s_mul_i32 s6, s10, 6
	v_or_b32_e32 v8, s6, v16
	v_mov_b32_e32 v9, 0
	v_lshl_add_u64 v[8:9], v[8:9], 2, s[2:3]
	s_waitcnt vmcnt(0)
	global_store_dword v[8:9], v7, off
.LBB107_19:
	s_or_b64 exec, exec, s[4:5]
	scratch_load_dwordx2 v[8:9], off, off offset:56
	s_waitcnt vmcnt(0)
	ds_bpermute_b32 v10, v0, v8
	ds_bpermute_b32 v11, v0, v9
	s_waitcnt lgkmcnt(0)
	v_pk_add_f32 v[8:9], v[8:9], v[10:11]
	ds_bpermute_b32 v0, v1, v8
	ds_bpermute_b32 v1, v1, v9
	s_waitcnt lgkmcnt(0)
	v_pk_add_f32 v[0:1], v[8:9], v[0:1]
	;; [unrolled: 4-line block ×6, first 2 shown]
	scratch_store_dwordx2 off, v[0:1], off offset:56
	s_and_b64 exec, exec, s[0:1]
	s_cbranch_execz .LBB107_21
; %bb.20:
	scratch_load_dword v2, v5, off offset:56
	v_mad_u64_u32 v[0:1], s[0:1], s10, 7, v[16:17]
	v_mov_b32_e32 v1, 0
	v_lshl_add_u64 v[0:1], v[0:1], 2, s[2:3]
	s_waitcnt vmcnt(0)
	global_store_dword v[0:1], v2, off
.LBB107_21:
	s_endpgm
	.section	.rodata,"a",@progbits
	.p2align	6, 0x0
	.amdhsa_kernel _ZL13mul_mat_vec_qIL9ggml_type10ELi8ELb0ELb0EEvPKvS2_PKi31ggml_cuda_mm_fusion_args_devicePfj15HIP_vector_typeIjLj3EEjjjS8_jjjS8_jjjj
		.amdhsa_group_segment_fixed_size 0
		.amdhsa_private_segment_fixed_size 80
		.amdhsa_kernarg_size 144
		.amdhsa_user_sgpr_count 2
		.amdhsa_user_sgpr_dispatch_ptr 0
		.amdhsa_user_sgpr_queue_ptr 0
		.amdhsa_user_sgpr_kernarg_segment_ptr 1
		.amdhsa_user_sgpr_dispatch_id 0
		.amdhsa_user_sgpr_kernarg_preload_length 0
		.amdhsa_user_sgpr_kernarg_preload_offset 0
		.amdhsa_user_sgpr_private_segment_size 0
		.amdhsa_uses_dynamic_stack 0
		.amdhsa_enable_private_segment 1
		.amdhsa_system_sgpr_workgroup_id_x 1
		.amdhsa_system_sgpr_workgroup_id_y 1
		.amdhsa_system_sgpr_workgroup_id_z 1
		.amdhsa_system_sgpr_workgroup_info 0
		.amdhsa_system_vgpr_workitem_id 1
		.amdhsa_next_free_vgpr 84
		.amdhsa_next_free_sgpr 32
		.amdhsa_accum_offset 84
		.amdhsa_reserve_vcc 1
		.amdhsa_float_round_mode_32 0
		.amdhsa_float_round_mode_16_64 0
		.amdhsa_float_denorm_mode_32 3
		.amdhsa_float_denorm_mode_16_64 3
		.amdhsa_dx10_clamp 1
		.amdhsa_ieee_mode 1
		.amdhsa_fp16_overflow 0
		.amdhsa_tg_split 0
		.amdhsa_exception_fp_ieee_invalid_op 0
		.amdhsa_exception_fp_denorm_src 0
		.amdhsa_exception_fp_ieee_div_zero 0
		.amdhsa_exception_fp_ieee_overflow 0
		.amdhsa_exception_fp_ieee_underflow 0
		.amdhsa_exception_fp_ieee_inexact 0
		.amdhsa_exception_int_div_zero 0
	.end_amdhsa_kernel
	.section	.text._ZL13mul_mat_vec_qIL9ggml_type10ELi8ELb0ELb0EEvPKvS2_PKi31ggml_cuda_mm_fusion_args_devicePfj15HIP_vector_typeIjLj3EEjjjS8_jjjS8_jjjj,"axG",@progbits,_ZL13mul_mat_vec_qIL9ggml_type10ELi8ELb0ELb0EEvPKvS2_PKi31ggml_cuda_mm_fusion_args_devicePfj15HIP_vector_typeIjLj3EEjjjS8_jjjS8_jjjj,comdat
.Lfunc_end107:
	.size	_ZL13mul_mat_vec_qIL9ggml_type10ELi8ELb0ELb0EEvPKvS2_PKi31ggml_cuda_mm_fusion_args_devicePfj15HIP_vector_typeIjLj3EEjjjS8_jjjS8_jjjj, .Lfunc_end107-_ZL13mul_mat_vec_qIL9ggml_type10ELi8ELb0ELb0EEvPKvS2_PKi31ggml_cuda_mm_fusion_args_devicePfj15HIP_vector_typeIjLj3EEjjjS8_jjjS8_jjjj
                                        ; -- End function
	.section	.AMDGPU.csdata,"",@progbits
; Kernel info:
; codeLenInByte = 7276
; NumSgprs: 38
; NumVgprs: 84
; NumAgprs: 0
; TotalNumVgprs: 84
; ScratchSize: 80
; MemoryBound: 0
; FloatMode: 240
; IeeeMode: 1
; LDSByteSize: 0 bytes/workgroup (compile time only)
; SGPRBlocks: 4
; VGPRBlocks: 10
; NumSGPRsForWavesPerEU: 38
; NumVGPRsForWavesPerEU: 84
; AccumOffset: 84
; Occupancy: 5
; WaveLimiterHint : 0
; COMPUTE_PGM_RSRC2:SCRATCH_EN: 1
; COMPUTE_PGM_RSRC2:USER_SGPR: 2
; COMPUTE_PGM_RSRC2:TRAP_HANDLER: 0
; COMPUTE_PGM_RSRC2:TGID_X_EN: 1
; COMPUTE_PGM_RSRC2:TGID_Y_EN: 1
; COMPUTE_PGM_RSRC2:TGID_Z_EN: 1
; COMPUTE_PGM_RSRC2:TIDIG_COMP_CNT: 1
; COMPUTE_PGM_RSRC3_GFX90A:ACCUM_OFFSET: 20
; COMPUTE_PGM_RSRC3_GFX90A:TG_SPLIT: 0
	.section	.text._ZL17mul_mat_vec_q_moeIL9ggml_type11ELi2EEvPKvS2_PKiPfj15HIP_vector_typeIjLj3EEjjjjjjjjj,"axG",@progbits,_ZL17mul_mat_vec_q_moeIL9ggml_type11ELi2EEvPKvS2_PKiPfj15HIP_vector_typeIjLj3EEjjjjjjjjj,comdat
	.globl	_ZL17mul_mat_vec_q_moeIL9ggml_type11ELi2EEvPKvS2_PKiPfj15HIP_vector_typeIjLj3EEjjjjjjjjj ; -- Begin function _ZL17mul_mat_vec_q_moeIL9ggml_type11ELi2EEvPKvS2_PKiPfj15HIP_vector_typeIjLj3EEjjjjjjjjj
	.p2align	8
	.type	_ZL17mul_mat_vec_q_moeIL9ggml_type11ELi2EEvPKvS2_PKiPfj15HIP_vector_typeIjLj3EEjjjjjjjjj,@function
_ZL17mul_mat_vec_q_moeIL9ggml_type11ELi2EEvPKvS2_PKiPfj15HIP_vector_typeIjLj3EEjjjjjjjjj: ; @_ZL17mul_mat_vec_q_moeIL9ggml_type11ELi2EEvPKvS2_PKiPfj15HIP_vector_typeIjLj3EEjjjjjjjjj
; %bb.0:
	s_load_dwordx8 s[4:11], s[0:1], 0x30
	v_bfe_u32 v30, v0, 10, 10
	s_waitcnt lgkmcnt(0)
	v_cmp_gt_u32_e32 vcc, s11, v30
	s_and_saveexec_b64 s[12:13], vcc
	s_cbranch_execz .LBB108_7
; %bb.1:
	s_load_dword s11, s[0:1], 0x20
	s_load_dword s20, s[0:1], 0x50
	s_load_dwordx8 s[12:19], s[0:1], 0x0
	v_and_b32_e32 v31, 0x3ff, v0
	v_lshrrev_b32_e32 v32, 4, v31
	s_waitcnt lgkmcnt(0)
	s_lshr_b32 s11, s11, 8
	s_lshl_b32 s2, s2, 1
	v_cmp_gt_u32_e32 vcc, s11, v32
	v_mov_b32_e32 v15, 0
	v_mov_b32_e32 v14, 0
	s_and_saveexec_b64 s[24:25], vcc
	s_cbranch_execz .LBB108_5
; %bb.2:
	v_mul_lo_u32 v0, v30, s20
	v_mov_b32_e32 v2, s16
	v_mov_b32_e32 v3, s17
	v_add_u32_e32 v0, s3, v0
	v_mov_b32_e32 v1, 0
	v_lshl_add_u64 v[2:3], v[0:1], 2, v[2:3]
	global_load_dword v15, v[2:3], off
	v_and_b32_e32 v2, 15, v31
	v_lshrrev_b32_e32 v0, 1, v31
	v_and_b32_e32 v20, 7, v31
	v_bfe_u32 v3, v31, 2, 1
	v_and_b32_e32 v33, 4, v0
	v_lshlrev_b32_e32 v0, 1, v2
	v_sub_u32_e32 v2, v2, v20
	v_add_u32_e32 v22, v2, v3
	s_load_dwordx4 s[20:23], s[0:1], 0x24
	v_lshrrev_b16_e32 v2, 12, v22
	v_lshrrev_b16_e32 v3, 6, v22
	v_add_u16_e32 v6, 4, v22
	v_mov_b32_e32 v16, 5
	v_add_u16_e32 v5, 2, v22
	v_and_b32_e32 v2, 7, v2
	v_and_b32_e32 v3, 3, v3
	v_lshrrev_b16_e32 v7, 7, v6
	v_mov_b32_e32 v21, 6
	v_lshrrev_b16_e32 v4, 7, v5
	v_add_u16_e32 v2, v22, v2
	v_add_u16_e32 v3, v22, v3
	v_lshrrev_b16_sdwa v9, v16, v7 dst_sel:DWORD dst_unused:UNUSED_PAD src0_sel:DWORD src1_sel:BYTE_0
	v_lshrrev_b16_sdwa v8, v16, v4 dst_sel:DWORD dst_unused:UNUSED_PAD src0_sel:DWORD src1_sel:BYTE_0
	;; [unrolled: 1-line block ×3, first 2 shown]
	v_and_b32_e32 v10, 0xf8, v2
	v_and_b32_e32 v11, 0xfc, v3
	v_add_u16_e32 v9, v6, v9
	v_mov_b32_e32 v18, 2
	v_add_u16_e32 v4, v5, v4
	v_sub_u16_e32 v10, v22, v10
	v_sub_u16_e32 v11, v22, v11
	v_and_b32_e32 v23, 0xf8, v9
	v_add_u16_e32 v22, 6, v22
	s_waitcnt lgkmcnt(0)
	s_mul_hi_u32 s0, s20, s3
	v_lshrrev_b16_sdwa v7, v21, v7 dst_sel:DWORD dst_unused:UNUSED_PAD src0_sel:DWORD src1_sel:BYTE_0
	v_and_b32_e32 v12, 0xfc, v4
	v_ashrrev_i16_sdwa v13, v18, sext(v4) dst_sel:DWORD dst_unused:UNUSED_PAD src0_sel:DWORD src1_sel:BYTE_0
	v_bfe_i32 v4, v11, 0, 8
	v_sub_u16_e32 v11, v6, v23
	v_lshrrev_b16_e32 v23, 7, v22
	v_mov_b32_e32 v17, 3
	s_add_i32 s0, s3, s0
	v_add_u16_e32 v7, v6, v7
	v_lshrrev_b16_sdwa v16, v16, v23 dst_sel:DWORD dst_unused:UNUSED_PAD src0_sel:DWORD src1_sel:BYTE_0
	v_lshrrev_b16_sdwa v21, v21, v23 dst_sel:DWORD dst_unused:UNUSED_PAD src0_sel:DWORD src1_sel:BYTE_0
	v_mov_b32_e32 v19, 1
	v_ashrrev_i16_e32 v3, 2, v3
	v_add_u16_e32 v8, v5, v8
	s_lshr_b32 s0, s0, s21
	v_ashrrev_i16_sdwa v9, v17, sext(v9) dst_sel:DWORD dst_unused:UNUSED_PAD src0_sel:DWORD src1_sel:BYTE_0
	v_and_b32_e32 v25, 0xfc, v7
	v_add_u16_e32 v16, v22, v16
	v_add_u16_e32 v21, v22, v21
	v_ashrrev_i16_e32 v2, 3, v2
	v_lshlrev_b32_sdwa v35, v19, sext(v3) dst_sel:DWORD dst_unused:UNUSED_PAD src0_sel:DWORD src1_sel:WORD_0
	v_and_b32_e32 v3, 0xf8, v8
	v_ashrrev_i16_sdwa v8, v17, sext(v8) dst_sel:DWORD dst_unused:UNUSED_PAD src0_sel:DWORD src1_sel:BYTE_0
	s_mul_i32 s0, s0, s22
	v_lshlrev_b32_sdwa v38, v18, sext(v9) dst_sel:DWORD dst_unused:UNUSED_PAD src0_sel:DWORD src1_sel:WORD_0
	v_sub_u16_e32 v9, v6, v25
	v_and_b32_e32 v25, 0xf8, v16
	v_ashrrev_i16_sdwa v16, v17, sext(v16) dst_sel:DWORD dst_unused:UNUSED_PAD src0_sel:DWORD src1_sel:BYTE_0
	v_and_b32_e32 v23, 0xfc, v21
	v_lshlrev_b32_sdwa v34, v18, sext(v2) dst_sel:DWORD dst_unused:UNUSED_PAD src0_sel:DWORD src1_sel:WORD_0
	v_ashrrev_i16_sdwa v7, v18, sext(v7) dst_sel:DWORD dst_unused:UNUSED_PAD src0_sel:DWORD src1_sel:BYTE_0
	v_lshlrev_b32_sdwa v36, v18, sext(v8) dst_sel:DWORD dst_unused:UNUSED_PAD src0_sel:DWORD src1_sel:WORD_0
	s_sub_i32 s0, s3, s0
	v_sub_u16_e32 v25, v22, v25
	v_lshlrev_b32_sdwa v40, v18, sext(v16) dst_sel:DWORD dst_unused:UNUSED_PAD src0_sel:DWORD src1_sel:WORD_0
	v_sub_u16_e32 v22, v22, v23
	v_ashrrev_i16_sdwa v18, v18, sext(v21) dst_sel:DWORD dst_unused:UNUSED_PAD src0_sel:DWORD src1_sel:BYTE_0
	v_mul_lo_u32 v24, v30, s6
	s_mul_i32 s6, s0, s9
	v_lshlrev_b32_sdwa v41, v19, sext(v18) dst_sel:DWORD dst_unused:UNUSED_PAD src0_sel:DWORD src1_sel:WORD_0
	v_bfe_i32 v18, v22, 0, 8
	s_mul_i32 s0, s2, s5
	v_bfe_u32 v22, v31, 3, 1
	v_bfe_i32 v16, v25, 0, 8
	v_lshrrev_b32_e32 v25, 4, v31
	s_waitcnt vmcnt(0)
	v_mul_lo_u32 v15, v15, s8
	v_add_u32_e32 v42, s0, v15
	v_mul_hi_u32_u24_e32 v23, 0x90, v22
	v_mul_u32_u24_e32 v22, 0x90, v22
	s_movk_i32 s0, 0x120
	v_mad_u64_u32 v[22:23], s[0:1], v25, s0, v[22:23]
	v_mad_u64_u32 v[22:23], s[0:1], v24, 36, v[22:23]
	s_mul_hi_u32 s1, s6, 36
	s_mul_i32 s6, s6, 36
	s_add_u32 s0, s14, s6
	s_addc_u32 s1, s15, s1
	v_bfe_i32 v2, v10, 0, 8
	v_sub_u16_e32 v10, v5, v3
	v_sub_u16_e32 v8, v5, v12
	v_lshl_add_u64 v[22:23], s[0:1], 0, v[22:23]
	s_add_i32 s0, s2, 1
	v_lshlrev_b32_e32 v14, 1, v20
	v_bfe_i32 v6, v10, 0, 8
	v_bfe_i32 v8, v8, 0, 8
	;; [unrolled: 1-line block ×4, first 2 shown]
	s_mul_i32 s0, s5, s0
	v_lshlrev_b32_sdwa v37, v19, sext(v13) dst_sel:DWORD dst_unused:UNUSED_PAD src0_sel:DWORD src1_sel:WORD_0
	v_lshlrev_b32_sdwa v39, v19, sext(v7) dst_sel:DWORD dst_unused:UNUSED_PAD src0_sel:DWORD src1_sel:WORD_0
	v_ashrrev_i32_e32 v3, 31, v2
	v_ashrrev_i32_e32 v5, 31, v4
	;; [unrolled: 1-line block ×8, first 2 shown]
	v_lshlrev_b32_e32 v20, 2, v20
	v_mov_b32_e32 v21, v1
	v_add_u32_e32 v43, s0, v15
	s_mov_b64 s[0:1], 0
	s_movk_i32 s5, 0x6e
	v_lshlrev_b32_e32 v0, 1, v0
	v_lshlrev_b32_e32 v24, 1, v14
	s_mov_b64 s[8:9], 0x480
	v_mov_b32_e32 v14, v1
	v_mov_b32_e32 v15, v1
.LBB108_3:                              ; =>This Inner Loop Header: Depth=1
	v_lshl_add_u64 v[26:27], v[22:23], 0, v[20:21]
	v_add_u32_e32 v44, v42, v32
	v_mov_b64_e32 v[28:29], s[12:13]
	v_mov_b32_e32 v25, v1
	v_add_u32_e32 v45, v43, v32
	global_load_dword v65, v[26:27], off offset:4
	global_load_dword v66, v[26:27], off offset:40
	;; [unrolled: 1-line block ×4, first 2 shown]
	v_mad_i64_i32 v[26:27], s[14:15], v44, s5, v[28:29]
	v_mad_i64_i32 v[28:29], s[14:15], v45, s5, v[28:29]
	v_lshl_add_u64 v[44:45], v[26:27], 0, v[0:1]
	v_lshl_add_u64 v[46:47], v[26:27], 0, v[24:25]
	;; [unrolled: 1-line block ×10, first 2 shown]
	global_load_ubyte v25, v[50:51], off offset:104
	v_lshl_add_u64 v[50:51], v[28:29], 0, v[4:5]
	global_load_ubyte v69, v[52:53], off offset:96
	global_load_ubyte v70, v[54:55], off offset:104
	v_lshl_add_u64 v[52:53], v[26:27], 0, v[12:13]
	global_load_ubyte v54, v[56:57], off offset:96
	global_load_dword v55, v[46:47], off
	v_lshl_add_u64 v[46:47], v[26:27], 0, v[16:17]
	global_load_dword v56, v[44:45], off offset:32
	global_load_ubyte v57, v[62:63], off offset:96
	v_lshl_add_u64 v[44:45], v[26:27], 0, v[18:19]
	global_load_ubyte v62, v[50:51], off offset:104
	global_load_dword v63, v[60:61], off
	v_lshl_add_u64 v[50:51], v[28:29], 0, v[6:7]
	global_load_dword v60, v[58:59], off offset:32
	global_load_ubyte v61, v[48:49], off offset:96
	v_lshl_add_u64 v[48:49], v[28:29], 0, v[8:9]
	global_load_ubyte v58, v[52:53], off offset:104
	global_load_ubyte v59, v[46:47], off offset:96
	v_lshl_add_u64 v[46:47], v[28:29], 0, v[10:11]
	global_load_ubyte v52, v[44:45], off offset:104
	;; [unrolled: 3-line block ×5, first 2 shown]
	s_nop 0
	global_load_ushort v46, v[26:27], off offset:108
	global_load_ushort v47, v[28:29], off offset:108
	v_mov_b32_e32 v64, v1
	v_mov_b32_e32 v45, v1
	v_add_u32_e32 v32, 4, v32
	v_cmp_le_u32_e32 vcc, s11, v32
	s_or_b64 s[0:1], vcc, s[0:1]
	s_waitcnt vmcnt(21)
	v_lshrrev_b32_e32 v25, v35, v25
	v_lshlrev_b32_e32 v25, 4, v25
	s_waitcnt vmcnt(18)
	v_bfe_u32 v54, v54, v38, 4
	s_waitcnt vmcnt(17)
	v_ashrrev_i32_e32 v26, v33, v55
	s_waitcnt vmcnt(16)
	v_lshrrev_b32_e32 v27, 4, v56
	v_not_b32_e32 v26, v26
	s_waitcnt vmcnt(14)
	v_lshrrev_b32_e32 v62, v35, v62
	s_waitcnt vmcnt(13)
	v_ashrrev_i32_e32 v28, v33, v63
	v_lshrrev_b32_e32 v63, v37, v70
	s_waitcnt vmcnt(11)
	v_bfe_u32 v55, v61, v34, 4
	v_bfe_u32 v61, v69, v36, 4
	s_waitcnt vmcnt(9)
	v_bfe_u32 v59, v59, v40, 4
	s_waitcnt vmcnt(8)
	v_lshrrev_b32_e32 v52, v41, v52
	v_lshlrev_b32_e32 v63, 4, v63
	s_waitcnt vmcnt(6)
	v_lshrrev_b32_e32 v50, v37, v50
	v_lshlrev_b32_e32 v52, 4, v52
	s_waitcnt vmcnt(4)
	v_lshrrev_b32_e32 v48, v39, v48
	v_lshrrev_b32_e32 v58, v39, v58
	v_bfe_u32 v53, v53, v36, 4
	s_waitcnt vmcnt(2)
	v_lshrrev_b32_e32 v44, v41, v44
	v_bfe_u32 v51, v51, v38, 4
	v_bfe_u32 v49, v49, v40, 4
	v_and_or_b32 v61, v63, 48, v61
	v_and_b32_e32 v63, 0x3030303, v27
	v_bfe_u32 v27, v27, 24, 2
	v_lshlrev_b32_e32 v50, 4, v50
	v_lshlrev_b32_e32 v48, 4, v48
	;; [unrolled: 1-line block ×3, first 2 shown]
	v_and_or_b32 v52, v52, 48, v59
	v_and_b32_e32 v59, 0x4040404, v26
	v_lshrrev_b32_e32 v29, 4, v60
	v_bfe_u32 v57, v57, v34, 4
	v_not_b32_e32 v28, v28
	v_lshlrev_b32_e32 v58, 4, v58
	v_lshlrev_b32_e32 v62, 4, v62
	v_and_or_b32 v50, v50, 48, v53
	v_and_or_b32 v48, v48, 48, v51
	v_and_or_b32 v44, v44, 48, v49
	v_sub_u16_sdwa v27, v27, v59 dst_sel:BYTE_1 dst_unused:UNUSED_PAD src0_sel:DWORD src1_sel:BYTE_3
	v_sub_u16_e32 v49, v63, v59
	v_sub_u16_sdwa v51, v63, v59 dst_sel:BYTE_1 dst_unused:UNUSED_PAD src0_sel:BYTE_1 src1_sel:BYTE_1
	v_sub_u16_sdwa v53, v63, v59 dst_sel:DWORD dst_unused:UNUSED_PAD src0_sel:WORD_1 src1_sel:WORD_1
	v_and_or_b32 v54, v58, 48, v54
	v_and_b32_e32 v58, 0x3030303, v29
	v_bfe_u32 v29, v29, 24, 2
	v_and_or_b32 v57, v62, 48, v57
	v_and_b32_e32 v62, 0x4040404, v28
	v_or_b32_sdwa v49, v49, v51 dst_sel:DWORD dst_unused:UNUSED_PAD src0_sel:BYTE_0 src1_sel:DWORD
	v_or_b32_sdwa v27, v53, v27 dst_sel:WORD_1 dst_unused:UNUSED_PAD src0_sel:BYTE_0 src1_sel:DWORD
	v_sub_u16_sdwa v29, v29, v62 dst_sel:BYTE_1 dst_unused:UNUSED_PAD src0_sel:DWORD src1_sel:BYTE_3
	v_sub_u16_e32 v59, v58, v62
	v_sub_u16_sdwa v63, v58, v62 dst_sel:BYTE_1 dst_unused:UNUSED_PAD src0_sel:BYTE_1 src1_sel:BYTE_1
	v_sub_u16_sdwa v58, v58, v62 dst_sel:DWORD dst_unused:UNUSED_PAD src0_sel:WORD_1 src1_sel:WORD_1
	v_lshlrev_b32_e32 v53, 2, v26
	v_or_b32_sdwa v27, v49, v27 dst_sel:DWORD dst_unused:UNUSED_PAD src0_sel:WORD_0 src1_sel:DWORD
	v_and_or_b32 v25, v25, 48, v55
	v_bfe_u32 v55, v56, 24, 2
	v_and_b32_e32 v62, 0x3030303, v56
	v_and_b32_e32 v53, 0x4040404, v53
	v_or_b32_sdwa v59, v59, v63 dst_sel:DWORD dst_unused:UNUSED_PAD src0_sel:BYTE_0 src1_sel:DWORD
	v_or_b32_sdwa v29, v58, v29 dst_sel:WORD_1 dst_unused:UNUSED_PAD src0_sel:BYTE_0 src1_sel:DWORD
	v_dot4c_i32_i8_e32 v64, v27, v67
	v_lshlrev_b32_e32 v27, 2, v28
	v_bfe_u32 v51, v60, 24, 2
	v_sub_u16_sdwa v55, v55, v53 dst_sel:BYTE_1 dst_unused:UNUSED_PAD src0_sel:DWORD src1_sel:BYTE_3
	v_sub_u16_e32 v58, v62, v53
	v_sub_u16_sdwa v63, v62, v53 dst_sel:BYTE_1 dst_unused:UNUSED_PAD src0_sel:BYTE_1 src1_sel:BYTE_1
	v_sub_u16_sdwa v53, v62, v53 dst_sel:DWORD dst_unused:UNUSED_PAD src0_sel:WORD_1 src1_sel:WORD_1
	v_and_b32_e32 v62, 0x3030303, v60
	v_or_b32_sdwa v29, v59, v29 dst_sel:DWORD dst_unused:UNUSED_PAD src0_sel:WORD_0 src1_sel:DWORD
	v_and_b32_e32 v27, 0x4040404, v27
	v_lshrrev_b32_e32 v49, 2, v56
	v_sub_u16_sdwa v51, v51, v27 dst_sel:BYTE_1 dst_unused:UNUSED_PAD src0_sel:DWORD src1_sel:BYTE_3
	v_dot4c_i32_i8_e32 v45, v29, v67
	v_sub_u16_e32 v29, v62, v27
	v_sub_u16_sdwa v67, v62, v27 dst_sel:BYTE_1 dst_unused:UNUSED_PAD src0_sel:BYTE_1 src1_sel:BYTE_1
	v_sub_u16_sdwa v27, v62, v27 dst_sel:DWORD dst_unused:UNUSED_PAD src0_sel:WORD_1 src1_sel:WORD_1
	v_lshlrev_b32_e32 v62, 1, v26
	v_and_b32_e32 v59, 0x3030303, v49
	v_bfe_u32 v49, v49, 24, 2
	v_and_b32_e32 v62, 0x4040404, v62
	v_sub_u16_sdwa v49, v49, v62 dst_sel:BYTE_1 dst_unused:UNUSED_PAD src0_sel:DWORD src1_sel:BYTE_3
	v_sub_u16_e32 v69, v59, v62
	v_sub_u16_sdwa v70, v59, v62 dst_sel:BYTE_1 dst_unused:UNUSED_PAD src0_sel:BYTE_1 src1_sel:BYTE_1
	v_sub_u16_sdwa v59, v59, v62 dst_sel:DWORD dst_unused:UNUSED_PAD src0_sel:WORD_1 src1_sel:WORD_1
	v_lshrrev_b32_e32 v62, 2, v60
	v_lshlrev_b32_e32 v72, 1, v28
	v_and_b32_e32 v71, 0x3030303, v62
	v_bfe_u32 v62, v62, 24, 2
	v_and_b32_e32 v72, 0x4040404, v72
	v_sub_u16_sdwa v62, v62, v72 dst_sel:BYTE_1 dst_unused:UNUSED_PAD src0_sel:DWORD src1_sel:BYTE_3
	v_sub_u16_e32 v73, v71, v72
	v_sub_u16_sdwa v74, v71, v72 dst_sel:BYTE_1 dst_unused:UNUSED_PAD src0_sel:BYTE_1 src1_sel:BYTE_1
	v_sub_u16_sdwa v71, v71, v72 dst_sel:DWORD dst_unused:UNUSED_PAD src0_sel:WORD_1 src1_sel:WORD_1
	v_lshrrev_b32_e32 v72, 6, v56
	v_lshrrev_b32_e32 v26, 1, v26
	;; [unrolled: 1-line block ×3, first 2 shown]
	v_and_b32_e32 v72, 0x3030303, v72
	v_and_b32_e32 v26, 0x4040404, v26
	v_sub_u16_sdwa v56, v56, v26 dst_sel:BYTE_1 dst_unused:UNUSED_PAD src0_sel:DWORD src1_sel:BYTE_3
	v_sub_u16_e32 v75, v72, v26
	v_sub_u16_sdwa v76, v72, v26 dst_sel:BYTE_1 dst_unused:UNUSED_PAD src0_sel:BYTE_1 src1_sel:BYTE_1
	v_sub_u16_sdwa v26, v72, v26 dst_sel:DWORD dst_unused:UNUSED_PAD src0_sel:WORD_1 src1_sel:WORD_1
	v_lshrrev_b32_e32 v72, 6, v60
	v_lshrrev_b32_e32 v28, 1, v28
	;; [unrolled: 1-line block ×3, first 2 shown]
	v_and_b32_e32 v72, 0x3030303, v72
	v_and_b32_e32 v28, 0x4040404, v28
	v_or_b32_sdwa v26, v26, v56 dst_sel:WORD_1 dst_unused:UNUSED_PAD src0_sel:BYTE_0 src1_sel:DWORD
	global_load_dword v56, v[22:23], off
	v_sub_u16_sdwa v60, v60, v28 dst_sel:BYTE_1 dst_unused:UNUSED_PAD src0_sel:DWORD src1_sel:BYTE_3
	v_sub_u16_e32 v77, v72, v28
	v_sub_u16_sdwa v78, v72, v28 dst_sel:BYTE_1 dst_unused:UNUSED_PAD src0_sel:BYTE_1 src1_sel:BYTE_1
	v_sub_u16_sdwa v28, v72, v28 dst_sel:DWORD dst_unused:UNUSED_PAD src0_sel:WORD_1 src1_sel:WORD_1
	v_or_b32_sdwa v29, v29, v67 dst_sel:DWORD dst_unused:UNUSED_PAD src0_sel:BYTE_0 src1_sel:DWORD
	global_load_dword v67, v[22:23], off offset:36
	v_or_b32_sdwa v58, v58, v63 dst_sel:DWORD dst_unused:UNUSED_PAD src0_sel:BYTE_0 src1_sel:DWORD
	v_or_b32_sdwa v53, v53, v55 dst_sel:WORD_1 dst_unused:UNUSED_PAD src0_sel:BYTE_0 src1_sel:DWORD
	v_or_b32_sdwa v28, v28, v60 dst_sel:WORD_1 dst_unused:UNUSED_PAD src0_sel:BYTE_0 src1_sel:DWORD
	global_load_dword v60, v[22:23], off offset:72
	v_or_b32_sdwa v53, v58, v53 dst_sel:DWORD dst_unused:UNUSED_PAD src0_sel:WORD_0 src1_sel:DWORD
	global_load_dword v58, v[22:23], off offset:108
	v_or_b32_sdwa v27, v27, v51 dst_sel:WORD_1 dst_unused:UNUSED_PAD src0_sel:BYTE_0 src1_sel:DWORD
	v_or_b32_sdwa v51, v69, v70 dst_sel:DWORD dst_unused:UNUSED_PAD src0_sel:BYTE_0 src1_sel:DWORD
	v_or_b32_sdwa v49, v59, v49 dst_sel:WORD_1 dst_unused:UNUSED_PAD src0_sel:BYTE_0 src1_sel:DWORD
	v_or_b32_sdwa v55, v73, v74 dst_sel:DWORD dst_unused:UNUSED_PAD src0_sel:BYTE_0 src1_sel:DWORD
	;; [unrolled: 2-line block ×3, first 2 shown]
	v_or_b32_sdwa v63, v77, v78 dst_sel:DWORD dst_unused:UNUSED_PAD src0_sel:BYTE_0 src1_sel:DWORD
	v_or_b32_sdwa v27, v29, v27 dst_sel:DWORD dst_unused:UNUSED_PAD src0_sel:WORD_0 src1_sel:DWORD
	v_mov_b32_e32 v29, v1
	v_or_b32_sdwa v49, v51, v49 dst_sel:DWORD dst_unused:UNUSED_PAD src0_sel:WORD_0 src1_sel:DWORD
	v_mov_b32_e32 v51, v1
	v_or_b32_sdwa v55, v55, v59 dst_sel:DWORD dst_unused:UNUSED_PAD src0_sel:WORD_0 src1_sel:DWORD
	v_mov_b32_e32 v59, v1
	v_or_b32_sdwa v26, v62, v26 dst_sel:DWORD dst_unused:UNUSED_PAD src0_sel:WORD_0 src1_sel:DWORD
	v_mov_b32_e32 v62, v1
	v_or_b32_sdwa v28, v63, v28 dst_sel:DWORD dst_unused:UNUSED_PAD src0_sel:WORD_0 src1_sel:DWORD
	v_mov_b32_e32 v63, v1
	v_dot4c_i32_i8_e32 v29, v53, v65
	v_subrev_u32_e32 v48, 32, v48
	v_subrev_u32_e32 v25, 32, v25
	;; [unrolled: 1-line block ×3, first 2 shown]
	v_dot4c_i32_i8_e32 v51, v27, v65
	v_mov_b32_e32 v53, v1
	v_subrev_u32_e32 v61, 32, v61
	v_subrev_u32_e32 v50, 32, v50
	v_dot4c_i32_i8_e32 v59, v49, v66
	v_dot4c_i32_i8_e32 v62, v55, v66
	v_dot4c_i32_i8_e32 v63, v26, v68
	v_mul_lo_u32 v26, v48, v45
	v_mul_lo_u32 v25, v25, v29
	;; [unrolled: 1-line block ×3, first 2 shown]
	v_subrev_u32_e32 v54, 32, v54
	v_dot4c_i32_i8_e32 v53, v28, v68
	v_mul_lo_u32 v28, v61, v59
	v_mul_lo_u32 v48, v50, v62
	v_cvt_f32_i32_e32 v25, v25
	v_cvt_f32_i32_e32 v45, v45
	v_subrev_u32_e32 v52, 32, v52
	v_subrev_u32_e32 v44, 32, v44
	v_mul_lo_u32 v27, v54, v64
	v_cvt_f32_i32_e32 v28, v28
	v_cvt_f32_i32_e32 v48, v48
	;; [unrolled: 1-line block ×3, first 2 shown]
	v_mul_lo_u32 v29, v52, v63
	v_cvt_f32_i32_e32 v26, v26
	v_mul_lo_u32 v44, v44, v53
	v_cvt_f32_i32_e32 v29, v29
	v_cvt_f32_i32_e32 v44, v44
	v_lshl_add_u64 v[22:23], v[22:23], 0, s[8:9]
	s_waitcnt vmcnt(3)
	v_fma_mix_f32 v25, v56, v25, 0 op_sel_hi:[1,0,0]
	v_fma_mix_f32 v45, v56, v45, 0 op_sel_hi:[1,0,0]
	s_waitcnt vmcnt(2)
	v_fma_mix_f32 v25, v67, v28, v25 op_sel_hi:[1,0,0]
	v_fma_mix_f32 v28, v67, v48, v45 op_sel_hi:[1,0,0]
	;; [unrolled: 3-line block ×4, first 2 shown]
	v_fma_mix_f32 v14, v25, v46, v14 op_sel_hi:[0,1,0]
	v_fma_mix_f32 v15, v26, v47, v15 op_sel_hi:[0,1,0]
	s_andn2_b64 exec, exec, s[0:1]
	s_cbranch_execnz .LBB108_3
; %bb.4:
	s_or_b64 exec, exec, s[0:1]
.LBB108_5:
	s_or_b64 exec, exec, s[24:25]
	v_mbcnt_lo_u32_b32 v0, -1, 0
	v_mbcnt_hi_u32_b32 v4, -1, v0
	v_and_b32_e32 v0, 64, v4
	v_add_u32_e32 v5, 64, v0
	v_xor_b32_e32 v0, 32, v4
	v_cmp_lt_i32_e32 vcc, v0, v5
	v_xor_b32_e32 v2, 16, v4
	v_xor_b32_e32 v6, 8, v4
	v_cndmask_b32_e32 v0, v4, v0, vcc
	v_lshlrev_b32_e32 v1, 2, v0
	ds_bpermute_b32 v0, v1, v14
	ds_bpermute_b32 v1, v1, v15
	v_cmp_lt_i32_e32 vcc, v2, v5
	s_waitcnt lgkmcnt(0)
	v_pk_add_f32 v[0:1], v[14:15], v[0:1]
	v_cndmask_b32_e32 v2, v4, v2, vcc
	v_lshlrev_b32_e32 v3, 2, v2
	ds_bpermute_b32 v2, v3, v0
	ds_bpermute_b32 v3, v3, v1
	v_cmp_lt_i32_e32 vcc, v6, v5
	s_waitcnt lgkmcnt(0)
	v_pk_add_f32 v[0:1], v[0:1], v[2:3]
	v_cndmask_b32_e32 v6, v4, v6, vcc
	v_lshlrev_b32_e32 v6, 2, v6
	ds_bpermute_b32 v2, v6, v0
	ds_bpermute_b32 v3, v6, v1
	v_xor_b32_e32 v6, 4, v4
	v_cmp_lt_i32_e32 vcc, v6, v5
	s_waitcnt lgkmcnt(0)
	v_pk_add_f32 v[0:1], v[0:1], v[2:3]
	v_cndmask_b32_e32 v6, v4, v6, vcc
	v_lshlrev_b32_e32 v6, 2, v6
	ds_bpermute_b32 v2, v6, v0
	ds_bpermute_b32 v3, v6, v1
	v_xor_b32_e32 v6, 2, v4
	;; [unrolled: 8-line block ×3, first 2 shown]
	v_cmp_lt_i32_e32 vcc, v6, v5
	s_waitcnt lgkmcnt(0)
	v_pk_add_f32 v[0:1], v[0:1], v[2:3]
	v_cndmask_b32_e32 v4, v4, v6, vcc
	v_lshlrev_b32_e32 v4, 2, v4
	ds_bpermute_b32 v2, v4, v0
	ds_bpermute_b32 v3, v4, v1
	v_add_u32_e32 v4, s2, v31
	v_cmp_gt_u32_e32 vcc, 2, v31
	v_cmp_gt_u32_e64 s[0:1], s4, v4
	s_and_b64 s[0:1], vcc, s[0:1]
	s_and_b64 exec, exec, s[0:1]
	s_cbranch_execz .LBB108_7
; %bb.6:
	v_cmp_eq_u32_e32 vcc, 1, v31
	s_mul_i32 s3, s3, s10
	v_mov_b32_e32 v4, s18
	s_waitcnt lgkmcnt(0)
	v_cndmask_b32_e32 v2, v2, v3, vcc
	v_cndmask_b32_e32 v0, v0, v1, vcc
	v_add_f32_e32 v2, v0, v2
	v_mul_lo_u32 v0, v30, s7
	v_or_b32_e32 v1, s2, v31
	v_mov_b32_e32 v5, s19
	v_add3_u32 v0, v1, v0, s3
	v_mov_b32_e32 v1, 0
	v_lshl_add_u64 v[0:1], v[0:1], 2, v[4:5]
	global_store_dword v[0:1], v2, off
.LBB108_7:
	s_endpgm
	.section	.rodata,"a",@progbits
	.p2align	6, 0x0
	.amdhsa_kernel _ZL17mul_mat_vec_q_moeIL9ggml_type11ELi2EEvPKvS2_PKiPfj15HIP_vector_typeIjLj3EEjjjjjjjjj
		.amdhsa_group_segment_fixed_size 0
		.amdhsa_private_segment_fixed_size 0
		.amdhsa_kernarg_size 84
		.amdhsa_user_sgpr_count 2
		.amdhsa_user_sgpr_dispatch_ptr 0
		.amdhsa_user_sgpr_queue_ptr 0
		.amdhsa_user_sgpr_kernarg_segment_ptr 1
		.amdhsa_user_sgpr_dispatch_id 0
		.amdhsa_user_sgpr_kernarg_preload_length 0
		.amdhsa_user_sgpr_kernarg_preload_offset 0
		.amdhsa_user_sgpr_private_segment_size 0
		.amdhsa_uses_dynamic_stack 0
		.amdhsa_enable_private_segment 0
		.amdhsa_system_sgpr_workgroup_id_x 1
		.amdhsa_system_sgpr_workgroup_id_y 1
		.amdhsa_system_sgpr_workgroup_id_z 0
		.amdhsa_system_sgpr_workgroup_info 0
		.amdhsa_system_vgpr_workitem_id 1
		.amdhsa_next_free_vgpr 79
		.amdhsa_next_free_sgpr 26
		.amdhsa_accum_offset 80
		.amdhsa_reserve_vcc 1
		.amdhsa_float_round_mode_32 0
		.amdhsa_float_round_mode_16_64 0
		.amdhsa_float_denorm_mode_32 3
		.amdhsa_float_denorm_mode_16_64 3
		.amdhsa_dx10_clamp 1
		.amdhsa_ieee_mode 1
		.amdhsa_fp16_overflow 0
		.amdhsa_tg_split 0
		.amdhsa_exception_fp_ieee_invalid_op 0
		.amdhsa_exception_fp_denorm_src 0
		.amdhsa_exception_fp_ieee_div_zero 0
		.amdhsa_exception_fp_ieee_overflow 0
		.amdhsa_exception_fp_ieee_underflow 0
		.amdhsa_exception_fp_ieee_inexact 0
		.amdhsa_exception_int_div_zero 0
	.end_amdhsa_kernel
	.section	.text._ZL17mul_mat_vec_q_moeIL9ggml_type11ELi2EEvPKvS2_PKiPfj15HIP_vector_typeIjLj3EEjjjjjjjjj,"axG",@progbits,_ZL17mul_mat_vec_q_moeIL9ggml_type11ELi2EEvPKvS2_PKiPfj15HIP_vector_typeIjLj3EEjjjjjjjjj,comdat
.Lfunc_end108:
	.size	_ZL17mul_mat_vec_q_moeIL9ggml_type11ELi2EEvPKvS2_PKiPfj15HIP_vector_typeIjLj3EEjjjjjjjjj, .Lfunc_end108-_ZL17mul_mat_vec_q_moeIL9ggml_type11ELi2EEvPKvS2_PKiPfj15HIP_vector_typeIjLj3EEjjjjjjjjj
                                        ; -- End function
	.section	.AMDGPU.csdata,"",@progbits
; Kernel info:
; codeLenInByte = 2872
; NumSgprs: 32
; NumVgprs: 79
; NumAgprs: 0
; TotalNumVgprs: 79
; ScratchSize: 0
; MemoryBound: 0
; FloatMode: 240
; IeeeMode: 1
; LDSByteSize: 0 bytes/workgroup (compile time only)
; SGPRBlocks: 3
; VGPRBlocks: 9
; NumSGPRsForWavesPerEU: 32
; NumVGPRsForWavesPerEU: 79
; AccumOffset: 80
; Occupancy: 6
; WaveLimiterHint : 1
; COMPUTE_PGM_RSRC2:SCRATCH_EN: 0
; COMPUTE_PGM_RSRC2:USER_SGPR: 2
; COMPUTE_PGM_RSRC2:TRAP_HANDLER: 0
; COMPUTE_PGM_RSRC2:TGID_X_EN: 1
; COMPUTE_PGM_RSRC2:TGID_Y_EN: 1
; COMPUTE_PGM_RSRC2:TGID_Z_EN: 0
; COMPUTE_PGM_RSRC2:TIDIG_COMP_CNT: 1
; COMPUTE_PGM_RSRC3_GFX90A:ACCUM_OFFSET: 19
; COMPUTE_PGM_RSRC3_GFX90A:TG_SPLIT: 0
	.section	.text._ZL13mul_mat_vec_qIL9ggml_type11ELi1ELb1ELb1EEvPKvS2_PKi31ggml_cuda_mm_fusion_args_devicePfj15HIP_vector_typeIjLj3EEjjjS8_jjjS8_jjjj,"axG",@progbits,_ZL13mul_mat_vec_qIL9ggml_type11ELi1ELb1ELb1EEvPKvS2_PKi31ggml_cuda_mm_fusion_args_devicePfj15HIP_vector_typeIjLj3EEjjjS8_jjjS8_jjjj,comdat
	.globl	_ZL13mul_mat_vec_qIL9ggml_type11ELi1ELb1ELb1EEvPKvS2_PKi31ggml_cuda_mm_fusion_args_devicePfj15HIP_vector_typeIjLj3EEjjjS8_jjjS8_jjjj ; -- Begin function _ZL13mul_mat_vec_qIL9ggml_type11ELi1ELb1ELb1EEvPKvS2_PKi31ggml_cuda_mm_fusion_args_devicePfj15HIP_vector_typeIjLj3EEjjjS8_jjjS8_jjjj
	.p2align	8
	.type	_ZL13mul_mat_vec_qIL9ggml_type11ELi1ELb1ELb1EEvPKvS2_PKi31ggml_cuda_mm_fusion_args_devicePfj15HIP_vector_typeIjLj3EEjjjS8_jjjS8_jjjj,@function
_ZL13mul_mat_vec_qIL9ggml_type11ELi1ELb1ELb1EEvPKvS2_PKi31ggml_cuda_mm_fusion_args_devicePfj15HIP_vector_typeIjLj3EEjjjS8_jjjS8_jjjj: ; @_ZL13mul_mat_vec_qIL9ggml_type11ELi1ELb1ELb1EEvPKvS2_PKi31ggml_cuda_mm_fusion_args_devicePfj15HIP_vector_typeIjLj3EEjjjS8_jjjS8_jjjj
; %bb.0:
	s_load_dwordx8 s[16:23], s[2:3], 0x0
	s_load_dwordx4 s[36:39], s[2:3], 0x20
	s_load_dwordx4 s[40:43], s[2:3], 0x40
	;; [unrolled: 1-line block ×3, first 2 shown]
	s_mov_b32 s14, s5
	s_waitcnt lgkmcnt(0)
	s_cmp_lg_u64 s[20:21], 0
	s_cselect_b64 s[8:9], -1, 0
	s_cmp_eq_u64 s[20:21], 0
	s_mov_b64 s[10:11], 0
	s_cbranch_scc1 .LBB109_5
; %bb.1:
	s_mov_b32 s15, 0
	s_lshl_b64 s[12:13], s[14:15], 2
	s_add_u32 s12, s20, s12
	s_addc_u32 s13, s21, s13
	s_load_dword s44, s[12:13], 0x0
	s_load_dword s33, s[2:3], 0x50
	;; [unrolled: 1-line block ×3, first 2 shown]
	s_andn2_b64 vcc, exec, s[10:11]
	s_cbranch_vccnz .LBB109_3
.LBB109_2:
	s_load_dwordx2 s[10:11], s[2:3], 0x5c
	s_waitcnt lgkmcnt(0)
	s_mul_hi_u32 s5, s10, s14
	s_add_i32 s5, s14, s5
	s_lshr_b32 s44, s5, s11
.LBB109_3:
	s_andn2_b64 vcc, exec, s[8:9]
	s_cbranch_vccnz .LBB109_6
; %bb.4:
	s_mul_hi_u32 s5, s41, s14
	s_add_i32 s5, s14, s5
	s_lshr_b32 s5, s5, s42
	s_mul_i32 s5, s5, s43
	s_sub_i32 s41, s14, s5
	s_waitcnt lgkmcnt(0)
	s_mov_b32 s15, s44
	s_branch .LBB109_7
.LBB109_5:
                                        ; implicit-def: $sgpr44
	s_load_dword s33, s[2:3], 0x50
	s_load_dword s45, s[2:3], 0x78
	s_branch .LBB109_2
.LBB109_6:
	s_mov_b32 s15, s14
	s_mov_b32 s41, s14
.LBB109_7:
	s_load_dword s7, s[2:3], 0x58
	s_load_dwordx4 s[28:31], s[2:3], 0x80
	s_lshl_b32 s20, s4, 1
	s_cmp_eq_u64 s[22:23], 0
	v_and_b32_e32 v1, 0x3ff, v0
	v_bfe_u32 v30, v0, 10, 10
	s_cselect_b64 s[8:9], -1, 0
	s_and_b64 vcc, exec, s[8:9]
	v_mov_b32_e32 v26, 0
	v_cmp_gt_u32_e64 s[4:5], 2, v1
	v_cmp_eq_u32_e64 s[10:11], 0, v30
	v_or_b32_e32 v2, s20, v1
	v_mov_b32_e32 v27, 0
	s_cbranch_vccnz .LBB109_11
; %bb.8:
	s_waitcnt lgkmcnt(0)
	v_cmp_gt_u32_e32 vcc, s7, v2
	s_and_b64 s[4:5], s[4:5], vcc
	s_mov_b32 s13, 0
	s_and_b64 s[10:11], s[4:5], s[10:11]
	v_mov_b32_e32 v27, 0
	s_and_saveexec_b64 s[4:5], s[10:11]
	s_cbranch_execz .LBB109_10
; %bb.9:
	s_mul_i32 s12, s6, s30
	s_lshl_b64 s[10:11], s[12:13], 2
	s_add_u32 s21, s22, s10
	s_mul_i32 s12, s15, s26
	s_addc_u32 s22, s23, s11
	s_lshl_b64 s[10:11], s[12:13], 2
	s_add_u32 s12, s21, s10
	s_addc_u32 s13, s22, s11
	s_ashr_i32 s21, s20, 31
	s_lshl_b64 s[10:11], s[20:21], 2
	s_add_u32 s10, s12, s10
	s_addc_u32 s11, s13, s11
	v_lshlrev_b32_e32 v3, 2, v1
	global_load_dword v27, v3, s[10:11]
.LBB109_10:
	s_or_b64 exec, exec, s[4:5]
.LBB109_11:
	s_cmp_lg_u64 s[36:37], 0
	s_cselect_b64 s[22:23], -1, 0
	s_cmp_eq_u64 s[36:37], 0
	s_cselect_b64 s[34:35], -1, 0
	s_cmp_lg_u64 s[38:39], 0
	s_cselect_b64 s[4:5], -1, 0
	s_and_b64 s[10:11], s[4:5], s[22:23]
	s_andn2_b64 vcc, exec, s[10:11]
	s_cbranch_vccnz .LBB109_15
; %bb.12:
	v_cmp_gt_u32_e32 vcc, 2, v1
	s_waitcnt lgkmcnt(0)
	v_cmp_gt_u32_e64 s[12:13], s7, v2
	v_cmp_eq_u32_e64 s[10:11], 0, v30
	s_and_b64 s[12:13], vcc, s[12:13]
	s_mov_b32 s43, 0
	s_and_b64 s[12:13], s[12:13], s[10:11]
	v_mov_b32_e32 v26, 0
	s_and_saveexec_b64 s[10:11], s[12:13]
	s_cbranch_execz .LBB109_14
; %bb.13:
	s_mul_i32 s42, s6, s30
	s_lshl_b64 s[12:13], s[42:43], 2
	s_add_u32 s21, s38, s12
	s_mul_i32 s42, s15, s26
	s_addc_u32 s31, s39, s13
	s_lshl_b64 s[12:13], s[42:43], 2
	s_add_u32 s15, s21, s12
	s_addc_u32 s31, s31, s13
	s_ashr_i32 s21, s20, 31
	s_lshl_b64 s[12:13], s[20:21], 2
	s_add_u32 s12, s15, s12
	s_addc_u32 s13, s31, s13
	v_lshlrev_b32_e32 v2, 2, v1
	global_load_dword v26, v2, s[12:13]
.LBB109_14:
	s_or_b64 exec, exec, s[10:11]
.LBB109_15:
	s_load_dwordx2 s[0:1], s[0:1], 0x4
	v_bfe_u32 v0, v0, 20, 10
	v_lshl_add_u32 v2, v30, 6, v1
	s_lshr_b32 s15, s40, 8
	v_lshrrev_b32_e32 v31, 4, v2
	s_waitcnt lgkmcnt(0)
	s_lshr_b32 s0, s0, 16
	v_mul_u32_u24_e32 v3, s1, v30
	s_mul_i32 s0, s0, s1
	v_mad_u32_u24 v3, s0, v1, v3
	v_add_lshl_u32 v0, v3, v0, 3
	v_add_u32_e32 v29, 0x800, v0
	v_add_u32_e32 v28, 0x400, v0
	v_mov_b32_e32 v43, 0
	v_cmp_gt_u32_e32 vcc, s15, v31
	v_mov_b32_e32 v39, 0
	v_mov_b32_e32 v41, 0
	;; [unrolled: 1-line block ×3, first 2 shown]
	ds_write2_b32 v29, v43, v43 offset1:1
	ds_write2_b32 v28, v43, v43 offset1:1
	s_and_saveexec_b64 s[10:11], vcc
	s_cbranch_execz .LBB109_23
; %bb.16:
	v_and_b32_e32 v4, 15, v1
	v_lshrrev_b32_e32 v0, 1, v1
	v_and_b32_e32 v20, 7, v1
	v_and_b32_e32 v32, 4, v0
	v_lshlrev_b32_e32 v0, 1, v4
	v_sub_u32_e32 v4, v4, v20
	v_bfe_u32 v5, v1, 2, 1
	v_add_u32_e32 v16, v4, v5
	v_add_u16_e32 v10, 2, v16
	v_lshrrev_b16_e32 v11, 7, v10
	v_mov_b32_e32 v17, 5
	v_mov_b32_e32 v22, 6
	v_lshrrev_b16_sdwa v8, v17, v11 dst_sel:DWORD dst_unused:UNUSED_PAD src0_sel:DWORD src1_sel:BYTE_0
	v_lshrrev_b16_sdwa v11, v22, v11 dst_sel:DWORD dst_unused:UNUSED_PAD src0_sel:DWORD src1_sel:BYTE_0
	v_add_u16_e32 v8, v10, v8
	v_add_u16_e32 v11, v10, v11
	;; [unrolled: 1-line block ×3, first 2 shown]
	v_and_b32_e32 v9, 0xf8, v8
	v_and_b32_e32 v12, 0xfc, v11
	v_lshrrev_b16_e32 v15, 7, v14
	v_sub_u16_e32 v9, v10, v9
	v_sub_u16_e32 v10, v10, v12
	v_lshrrev_b16_sdwa v12, v17, v15 dst_sel:DWORD dst_unused:UNUSED_PAD src0_sel:DWORD src1_sel:BYTE_0
	v_lshrrev_b16_sdwa v15, v22, v15 dst_sel:DWORD dst_unused:UNUSED_PAD src0_sel:DWORD src1_sel:BYTE_0
	v_lshrrev_b16_e32 v4, 12, v16
	v_lshrrev_b16_e32 v6, 6, v16
	v_add_u16_e32 v12, v14, v12
	v_add_u16_e32 v15, v14, v15
	v_and_b32_e32 v4, 7, v4
	v_and_b32_e32 v6, 3, v6
	;; [unrolled: 1-line block ×4, first 2 shown]
	v_add_u16_e32 v4, v16, v4
	v_add_u16_e32 v6, v16, v6
	v_sub_u16_e32 v13, v14, v13
	v_sub_u16_e32 v14, v14, v23
	v_add_u16_e32 v23, 6, v16
	v_and_b32_e32 v5, 0xf8, v4
	v_and_b32_e32 v7, 0xfc, v6
	v_lshrrev_b16_e32 v25, 7, v23
	v_sub_u16_e32 v5, v16, v5
	v_sub_u16_e32 v7, v16, v7
	v_lshrrev_b16_sdwa v16, v17, v25 dst_sel:DWORD dst_unused:UNUSED_PAD src0_sel:DWORD src1_sel:BYTE_0
	v_mov_b32_e32 v21, 3
	v_add_u16_e32 v16, v23, v16
	v_ashrrev_i16_sdwa v8, v21, sext(v8) dst_sel:DWORD dst_unused:UNUSED_PAD src0_sel:DWORD src1_sel:BYTE_0
	v_ashrrev_i16_sdwa v12, v21, sext(v12) dst_sel:DWORD dst_unused:UNUSED_PAD src0_sel:DWORD src1_sel:BYTE_0
	v_and_b32_e32 v17, 0xf8, v16
	v_ashrrev_i16_sdwa v16, v21, sext(v16) dst_sel:DWORD dst_unused:UNUSED_PAD src0_sel:DWORD src1_sel:BYTE_0
	v_lshrrev_b16_sdwa v21, v22, v25 dst_sel:DWORD dst_unused:UNUSED_PAD src0_sel:DWORD src1_sel:BYTE_0
	s_mul_hi_u32 s0, s27, s6
	v_add_u16_e32 v21, v23, v21
	s_add_i32 s0, s6, s0
	v_ashrrev_i16_e32 v4, 3, v4
	v_mov_b32_e32 v18, 2
	v_and_b32_e32 v22, 0xfc, v21
	s_lshr_b32 s0, s0, s45
	v_lshlrev_b32_sdwa v33, v18, sext(v4) dst_sel:DWORD dst_unused:UNUSED_PAD src0_sel:DWORD src1_sel:WORD_0
	v_mov_b32_e32 v19, 1
	v_lshlrev_b32_sdwa v35, v18, sext(v8) dst_sel:DWORD dst_unused:UNUSED_PAD src0_sel:DWORD src1_sel:WORD_0
	v_ashrrev_i16_sdwa v11, v18, sext(v11) dst_sel:DWORD dst_unused:UNUSED_PAD src0_sel:DWORD src1_sel:BYTE_0
	v_lshlrev_b32_sdwa v37, v18, sext(v12) dst_sel:DWORD dst_unused:UNUSED_PAD src0_sel:DWORD src1_sel:WORD_0
	v_ashrrev_i16_sdwa v15, v18, sext(v15) dst_sel:DWORD dst_unused:UNUSED_PAD src0_sel:DWORD src1_sel:BYTE_0
	v_lshlrev_b32_sdwa v42, v18, sext(v16) dst_sel:DWORD dst_unused:UNUSED_PAD src0_sel:DWORD src1_sel:WORD_0
	v_sub_u16_e32 v22, v23, v22
	v_ashrrev_i16_sdwa v18, v18, sext(v21) dst_sel:DWORD dst_unused:UNUSED_PAD src0_sel:DWORD src1_sel:BYTE_0
	s_mul_i32 s1, s44, s24
	s_mul_i32 s0, s0, s28
	v_lshlrev_b32_sdwa v44, v19, sext(v18) dst_sel:DWORD dst_unused:UNUSED_PAD src0_sel:DWORD src1_sel:WORD_0
	v_bfe_i32 v18, v22, 0, 8
	v_bfe_u32 v22, v1, 3, 1
	v_sub_u16_e32 v17, v23, v17
	s_add_i32 s24, s0, s1
	v_lshrrev_b32_e32 v2, 4, v2
	v_mul_hi_u32_u24_e32 v23, 0x90, v22
	v_mul_u32_u24_e32 v22, 0x90, v22
	s_movk_i32 s0, 0x120
	s_mul_i32 s12, s6, s29
	s_mul_i32 s21, s20, s33
	v_mad_u64_u32 v[22:23], s[0:1], v2, s0, v[22:23]
	s_add_i32 s21, s24, s21
	s_mul_hi_u32 s0, s12, 36
	s_mul_i32 s12, s12, 36
	s_mul_i32 s13, s41, s25
	s_add_u32 s12, s18, s12
	s_mul_hi_u32 s1, s13, 36
	s_mul_i32 s13, s13, 36
	s_addc_u32 s18, s19, s0
	s_add_u32 s0, s12, s13
	s_addc_u32 s1, s18, s1
	v_ashrrev_i16_e32 v6, 2, v6
	v_lshl_add_u64 v[22:23], s[0:1], 0, v[22:23]
	s_add_i32 s0, s20, 1
	v_mov_b32_e32 v3, 0
	v_lshlrev_b32_e32 v24, 1, v20
	v_bfe_i32 v4, v5, 0, 8
	v_lshlrev_b32_sdwa v34, v19, sext(v6) dst_sel:DWORD dst_unused:UNUSED_PAD src0_sel:DWORD src1_sel:WORD_0
	v_bfe_i32 v6, v7, 0, 8
	v_bfe_i32 v8, v9, 0, 8
	;; [unrolled: 1-line block ×6, first 2 shown]
	s_mul_i32 s33, s33, s0
	v_ashrrev_i32_e32 v5, 31, v4
	v_ashrrev_i32_e32 v7, 31, v6
	;; [unrolled: 1-line block ×3, first 2 shown]
	v_lshlrev_b32_sdwa v36, v19, sext(v11) dst_sel:DWORD dst_unused:UNUSED_PAD src0_sel:DWORD src1_sel:WORD_0
	v_ashrrev_i32_e32 v11, 31, v10
	v_ashrrev_i32_e32 v13, 31, v12
	v_lshlrev_b32_sdwa v38, v19, sext(v15) dst_sel:DWORD dst_unused:UNUSED_PAD src0_sel:DWORD src1_sel:WORD_0
	v_ashrrev_i32_e32 v15, 31, v14
	v_ashrrev_i32_e32 v17, 31, v16
	;; [unrolled: 1-line block ×3, first 2 shown]
	v_lshlrev_b32_e32 v20, 2, v20
	v_mov_b32_e32 v21, v3
	s_add_i32 s24, s24, s33
	s_mov_b64 s[12:13], 0
	s_movk_i32 s25, 0x6e
	v_lshlrev_b32_e32 v24, 1, v24
	s_mov_b64 s[18:19], 0x900
	v_mov_b32_e32 v40, 0
	v_mov_b32_e32 v39, 0
	;; [unrolled: 1-line block ×4, first 2 shown]
	s_branch .LBB109_18
.LBB109_17:                             ;   in Loop: Header=BB109_18 Depth=1
	s_waitcnt vmcnt(8)
	v_ashrrev_i32_e32 v2, v32, v72
	v_not_b32_e32 v2, v2
	s_waitcnt vmcnt(7)
	v_and_b32_e32 v25, 0xff, v73
	s_waitcnt vmcnt(6)
	v_lshrrev_b32_sdwa v72, v34, v74 dst_sel:DWORD dst_unused:UNUSED_PAD src0_sel:DWORD src1_sel:BYTE_0
	v_bfe_u32 v25, v25, v33, 4
	v_lshlrev_b32_e32 v72, 4, v72
	v_lshlrev_b32_e32 v74, 2, v2
	v_and_or_b32 v25, v72, 48, v25
	v_and_b32_e32 v72, 0x3030303, v65
	v_bfe_u32 v73, v65, 24, 2
	v_and_b32_e32 v74, 0x4040404, v74
	v_sub_u16_e32 v75, v72, v74
	v_sub_u16_sdwa v76, v72, v74 dst_sel:BYTE_1 dst_unused:UNUSED_PAD src0_sel:BYTE_1 src1_sel:BYTE_1
	v_sub_u16_sdwa v72, v72, v74 dst_sel:DWORD dst_unused:UNUSED_PAD src0_sel:WORD_1 src1_sel:WORD_1
	v_sub_u16_sdwa v73, v73, v74 dst_sel:BYTE_1 dst_unused:UNUSED_PAD src0_sel:DWORD src1_sel:BYTE_3
	v_or_b32_sdwa v75, v75, v76 dst_sel:DWORD dst_unused:UNUSED_PAD src0_sel:BYTE_0 src1_sel:DWORD
	v_or_b32_sdwa v72, v72, v73 dst_sel:WORD_1 dst_unused:UNUSED_PAD src0_sel:BYTE_0 src1_sel:DWORD
	v_mov_b32_e32 v73, v3
	v_or_b32_sdwa v72, v75, v72 dst_sel:DWORD dst_unused:UNUSED_PAD src0_sel:WORD_0 src1_sel:DWORD
	s_waitcnt vmcnt(5)
	v_and_b32_e32 v70, 0xff, v70
	s_waitcnt vmcnt(4)
	v_lshrrev_b32_sdwa v71, v36, v71 dst_sel:DWORD dst_unused:UNUSED_PAD src0_sel:DWORD src1_sel:BYTE_0
	v_subrev_u32_e32 v25, 32, v25
	v_dot4c_i32_i8_e32 v73, v72, v54
	v_bfe_u32 v70, v70, v35, 4
	v_lshlrev_b32_e32 v71, 4, v71
	v_and_or_b32 v70, v71, 48, v70
	v_mul_lo_u32 v25, v25, v73
	v_lshrrev_b32_e32 v71, 2, v65
	v_lshlrev_b32_e32 v73, 1, v2
	v_and_b32_e32 v72, 0x3030303, v71
	v_bfe_u32 v71, v71, 24, 2
	v_and_b32_e32 v73, 0x4040404, v73
	v_sub_u16_e32 v74, v72, v73
	v_sub_u16_sdwa v75, v72, v73 dst_sel:BYTE_1 dst_unused:UNUSED_PAD src0_sel:BYTE_1 src1_sel:BYTE_1
	v_sub_u16_sdwa v71, v71, v73 dst_sel:BYTE_1 dst_unused:UNUSED_PAD src0_sel:DWORD src1_sel:BYTE_3
	v_sub_u16_sdwa v72, v72, v73 dst_sel:DWORD dst_unused:UNUSED_PAD src0_sel:WORD_1 src1_sel:WORD_1
	v_or_b32_sdwa v74, v74, v75 dst_sel:DWORD dst_unused:UNUSED_PAD src0_sel:BYTE_0 src1_sel:DWORD
	v_or_b32_sdwa v71, v72, v71 dst_sel:WORD_1 dst_unused:UNUSED_PAD src0_sel:BYTE_0 src1_sel:DWORD
	s_waitcnt vmcnt(3)
	v_and_b32_e32 v68, 0xff, v68
	s_waitcnt vmcnt(2)
	v_lshrrev_b32_sdwa v69, v38, v69 dst_sel:DWORD dst_unused:UNUSED_PAD src0_sel:DWORD src1_sel:BYTE_0
	v_or_b32_sdwa v71, v74, v71 dst_sel:DWORD dst_unused:UNUSED_PAD src0_sel:WORD_0 src1_sel:DWORD
	v_mov_b32_e32 v72, v3
	v_bfe_u32 v68, v68, v37, 4
	v_lshlrev_b32_e32 v69, 4, v69
	v_subrev_u32_e32 v70, 32, v70
	v_dot4c_i32_i8_e32 v72, v71, v48
	v_and_or_b32 v68, v69, 48, v68
	v_lshrrev_b32_e32 v69, 4, v65
	v_and_b32_e32 v71, 0x3030303, v69
	v_mul_lo_u32 v70, v70, v72
	v_bfe_u32 v69, v69, 24, 2
	v_and_b32_e32 v72, 0x4040404, v2
	v_sub_u16_e32 v73, v71, v72
	v_sub_u16_sdwa v74, v71, v72 dst_sel:BYTE_1 dst_unused:UNUSED_PAD src0_sel:BYTE_1 src1_sel:BYTE_1
	v_sub_u16_sdwa v69, v69, v72 dst_sel:BYTE_1 dst_unused:UNUSED_PAD src0_sel:DWORD src1_sel:BYTE_3
	v_sub_u16_sdwa v71, v71, v72 dst_sel:DWORD dst_unused:UNUSED_PAD src0_sel:WORD_1 src1_sel:WORD_1
	s_waitcnt vmcnt(1)
	v_and_b32_e32 v66, 0xff, v66
	s_waitcnt vmcnt(0)
	v_lshrrev_b32_sdwa v67, v44, v67 dst_sel:DWORD dst_unused:UNUSED_PAD src0_sel:DWORD src1_sel:BYTE_0
	v_or_b32_sdwa v73, v73, v74 dst_sel:DWORD dst_unused:UNUSED_PAD src0_sel:BYTE_0 src1_sel:DWORD
	v_or_b32_sdwa v69, v71, v69 dst_sel:WORD_1 dst_unused:UNUSED_PAD src0_sel:BYTE_0 src1_sel:DWORD
	v_bfe_u32 v66, v66, v42, 4
	v_lshlrev_b32_e32 v67, 4, v67
	v_or_b32_sdwa v69, v73, v69 dst_sel:DWORD dst_unused:UNUSED_PAD src0_sel:WORD_0 src1_sel:DWORD
	v_mov_b32_e32 v71, v3
	v_and_or_b32 v66, v67, 48, v66
	v_lshrrev_b32_e32 v67, 6, v65
	v_lshrrev_b32_e32 v2, 1, v2
	v_subrev_u32_e32 v68, 32, v68
	v_dot4c_i32_i8_e32 v71, v69, v46
	v_and_b32_e32 v67, 0x3030303, v67
	v_lshrrev_b32_e32 v65, 30, v65
	v_and_b32_e32 v2, 0x4040404, v2
	v_mul_lo_u32 v68, v68, v71
	v_sub_u16_e32 v69, v67, v2
	v_sub_u16_sdwa v71, v67, v2 dst_sel:BYTE_1 dst_unused:UNUSED_PAD src0_sel:BYTE_1 src1_sel:BYTE_1
	v_sub_u16_sdwa v65, v65, v2 dst_sel:BYTE_1 dst_unused:UNUSED_PAD src0_sel:DWORD src1_sel:BYTE_3
	v_sub_u16_sdwa v2, v67, v2 dst_sel:DWORD dst_unused:UNUSED_PAD src0_sel:WORD_1 src1_sel:WORD_1
	v_or_b32_sdwa v69, v69, v71 dst_sel:DWORD dst_unused:UNUSED_PAD src0_sel:BYTE_0 src1_sel:DWORD
	v_or_b32_sdwa v2, v2, v65 dst_sel:WORD_1 dst_unused:UNUSED_PAD src0_sel:BYTE_0 src1_sel:DWORD
	v_cvt_f32_i32_e32 v25, v25
	v_or_b32_sdwa v2, v69, v2 dst_sel:DWORD dst_unused:UNUSED_PAD src0_sel:WORD_0 src1_sel:DWORD
	v_mov_b32_e32 v65, v3
	v_cvt_f32_i32_e32 v70, v70
	v_subrev_u32_e32 v66, 32, v66
	v_dot4c_i32_i8_e32 v65, v2, v45
	v_cvt_f32_i32_e32 v68, v68
	v_fma_f32 v25, v51, v25, 0
	v_fmac_f32_e32 v25, v52, v70
	v_mul_lo_u32 v2, v66, v65
	v_cvt_f32_i32_e32 v2, v2
	v_fmac_f32_e32 v25, v53, v68
	v_lshrrev_b32_sdwa v61, v34, v61 dst_sel:DWORD dst_unused:UNUSED_PAD src0_sel:DWORD src1_sel:BYTE_0
	v_lshlrev_b32_e32 v61, 4, v61
	v_fmac_f32_e32 v25, v50, v2
	v_ashrrev_i32_e32 v2, v32, v63
	v_fma_mix_f32 v39, v25, v64, v39 op_sel_hi:[0,1,0]
	v_not_b32_e32 v2, v2
	v_and_b32_e32 v25, 0xff, v62
	v_bfe_u32 v25, v25, v33, 4
	v_lshlrev_b32_e32 v63, 2, v2
	v_and_or_b32 v25, v61, 48, v25
	v_and_b32_e32 v61, 0x3030303, v49
	v_bfe_u32 v62, v49, 24, 2
	v_and_b32_e32 v63, 0x4040404, v63
	v_sub_u16_e32 v64, v61, v63
	v_sub_u16_sdwa v65, v61, v63 dst_sel:BYTE_1 dst_unused:UNUSED_PAD src0_sel:BYTE_1 src1_sel:BYTE_1
	v_sub_u16_sdwa v61, v61, v63 dst_sel:DWORD dst_unused:UNUSED_PAD src0_sel:WORD_1 src1_sel:WORD_1
	v_sub_u16_sdwa v62, v62, v63 dst_sel:BYTE_1 dst_unused:UNUSED_PAD src0_sel:DWORD src1_sel:BYTE_3
	v_or_b32_sdwa v64, v64, v65 dst_sel:DWORD dst_unused:UNUSED_PAD src0_sel:BYTE_0 src1_sel:DWORD
	v_or_b32_sdwa v61, v61, v62 dst_sel:WORD_1 dst_unused:UNUSED_PAD src0_sel:BYTE_0 src1_sel:DWORD
	v_mov_b32_e32 v62, v3
	v_or_b32_sdwa v61, v64, v61 dst_sel:DWORD dst_unused:UNUSED_PAD src0_sel:WORD_0 src1_sel:DWORD
	v_dot4c_i32_i8_e32 v62, v61, v54
	v_and_b32_e32 v54, 0xff, v60
	v_lshrrev_b32_sdwa v59, v36, v59 dst_sel:DWORD dst_unused:UNUSED_PAD src0_sel:DWORD src1_sel:BYTE_0
	v_bfe_u32 v54, v54, v35, 4
	v_lshlrev_b32_e32 v59, 4, v59
	v_and_or_b32 v54, v59, 48, v54
	v_lshrrev_b32_e32 v59, 2, v49
	v_lshlrev_b32_e32 v61, 1, v2
	v_subrev_u32_e32 v25, 32, v25
	v_and_b32_e32 v60, 0x3030303, v59
	v_bfe_u32 v59, v59, 24, 2
	v_and_b32_e32 v61, 0x4040404, v61
	v_mul_lo_u32 v25, v25, v62
	v_sub_u16_e32 v62, v60, v61
	v_sub_u16_sdwa v63, v60, v61 dst_sel:BYTE_1 dst_unused:UNUSED_PAD src0_sel:BYTE_1 src1_sel:BYTE_1
	v_sub_u16_sdwa v59, v59, v61 dst_sel:BYTE_1 dst_unused:UNUSED_PAD src0_sel:DWORD src1_sel:BYTE_3
	v_sub_u16_sdwa v60, v60, v61 dst_sel:DWORD dst_unused:UNUSED_PAD src0_sel:WORD_1 src1_sel:WORD_1
	v_or_b32_sdwa v62, v62, v63 dst_sel:DWORD dst_unused:UNUSED_PAD src0_sel:BYTE_0 src1_sel:DWORD
	v_or_b32_sdwa v59, v60, v59 dst_sel:WORD_1 dst_unused:UNUSED_PAD src0_sel:BYTE_0 src1_sel:DWORD
	v_mov_b32_e32 v60, v3
	v_or_b32_sdwa v59, v62, v59 dst_sel:DWORD dst_unused:UNUSED_PAD src0_sel:WORD_0 src1_sel:DWORD
	v_subrev_u32_e32 v54, 32, v54
	v_dot4c_i32_i8_e32 v60, v59, v48
	v_and_b32_e32 v59, 0x4040404, v2
	v_lshrrev_b32_sdwa v55, v44, v55 dst_sel:DWORD dst_unused:UNUSED_PAD src0_sel:DWORD src1_sel:BYTE_0
	v_lshlrev_b32_e32 v55, 4, v55
	v_mul_lo_u32 v48, v54, v60
	v_and_b32_e32 v54, 0xff, v57
	v_lshrrev_b32_sdwa v57, v38, v58 dst_sel:DWORD dst_unused:UNUSED_PAD src0_sel:DWORD src1_sel:BYTE_0
	v_bfe_u32 v54, v54, v37, 4
	v_lshlrev_b32_e32 v57, 4, v57
	v_and_or_b32 v54, v57, 48, v54
	v_lshrrev_b32_e32 v57, 4, v49
	v_and_b32_e32 v58, 0x3030303, v57
	v_bfe_u32 v57, v57, 24, 2
	v_sub_u16_e32 v60, v58, v59
	v_sub_u16_sdwa v61, v58, v59 dst_sel:BYTE_1 dst_unused:UNUSED_PAD src0_sel:BYTE_1 src1_sel:BYTE_1
	v_sub_u16_sdwa v57, v57, v59 dst_sel:BYTE_1 dst_unused:UNUSED_PAD src0_sel:DWORD src1_sel:BYTE_3
	v_sub_u16_sdwa v58, v58, v59 dst_sel:DWORD dst_unused:UNUSED_PAD src0_sel:WORD_1 src1_sel:WORD_1
	v_or_b32_sdwa v60, v60, v61 dst_sel:DWORD dst_unused:UNUSED_PAD src0_sel:BYTE_0 src1_sel:DWORD
	v_or_b32_sdwa v57, v58, v57 dst_sel:WORD_1 dst_unused:UNUSED_PAD src0_sel:BYTE_0 src1_sel:DWORD
	v_mov_b32_e32 v58, v3
	v_or_b32_sdwa v57, v60, v57 dst_sel:DWORD dst_unused:UNUSED_PAD src0_sel:WORD_0 src1_sel:DWORD
	v_subrev_u32_e32 v54, 32, v54
	v_dot4c_i32_i8_e32 v58, v57, v46
	v_lshrrev_b32_e32 v2, 1, v2
	v_and_b32_e32 v2, 0x4040404, v2
	v_cvt_f32_i32_e32 v25, v25
	v_mul_lo_u32 v46, v54, v58
	v_and_b32_e32 v54, 0xff, v56
	v_bfe_u32 v54, v54, v42, 4
	v_and_or_b32 v54, v55, 48, v54
	v_lshrrev_b32_e32 v55, 6, v49
	v_and_b32_e32 v55, 0x3030303, v55
	v_lshrrev_b32_e32 v49, 30, v49
	v_sub_u16_e32 v56, v55, v2
	v_sub_u16_sdwa v57, v55, v2 dst_sel:BYTE_1 dst_unused:UNUSED_PAD src0_sel:BYTE_1 src1_sel:BYTE_1
	v_sub_u16_sdwa v49, v49, v2 dst_sel:BYTE_1 dst_unused:UNUSED_PAD src0_sel:DWORD src1_sel:BYTE_3
	v_sub_u16_sdwa v2, v55, v2 dst_sel:DWORD dst_unused:UNUSED_PAD src0_sel:WORD_1 src1_sel:WORD_1
	v_or_b32_sdwa v56, v56, v57 dst_sel:DWORD dst_unused:UNUSED_PAD src0_sel:BYTE_0 src1_sel:DWORD
	v_or_b32_sdwa v2, v2, v49 dst_sel:WORD_1 dst_unused:UNUSED_PAD src0_sel:BYTE_0 src1_sel:DWORD
	v_mov_b32_e32 v49, v3
	v_or_b32_sdwa v2, v56, v2 dst_sel:DWORD dst_unused:UNUSED_PAD src0_sel:WORD_0 src1_sel:DWORD
	v_cvt_f32_i32_e32 v48, v48
	v_subrev_u32_e32 v54, 32, v54
	v_dot4c_i32_i8_e32 v49, v2, v45
	v_cvt_f32_i32_e32 v46, v46
	v_fma_f32 v25, v51, v25, 0
	v_fmac_f32_e32 v25, v52, v48
	v_mul_lo_u32 v2, v54, v49
	v_cvt_f32_i32_e32 v2, v2
	v_fmac_f32_e32 v25, v53, v46
	v_add_u32_e32 v31, 8, v31
	v_cmp_le_u32_e32 vcc, s15, v31
	v_fmac_f32_e32 v25, v50, v2
	v_fma_mix_f32 v43, v25, v47, v43 op_sel_hi:[0,1,0]
	s_or_b64 s[12:13], vcc, s[12:13]
	v_lshl_add_u64 v[22:23], v[22:23], 0, s[18:19]
	s_andn2_b64 exec, exec, s[12:13]
	s_cbranch_execz .LBB109_22
.LBB109_18:                             ; =>This Inner Loop Header: Depth=1
	v_lshl_add_u64 v[50:51], v[22:23], 0, v[20:21]
	global_load_dword v54, v[50:51], off offset:4
	global_load_dword v48, v[50:51], off offset:40
	;; [unrolled: 1-line block ×4, first 2 shown]
	global_load_dword v65, v[22:23], off
	global_load_dword v78, v[22:23], off offset:36
	global_load_dword v79, v[22:23], off offset:72
	;; [unrolled: 1-line block ×3, first 2 shown]
	v_add_u32_e32 v64, s21, v31
	v_mov_b64_e32 v[50:51], s[16:17]
	v_mad_i64_i32 v[50:51], s[0:1], v64, s25, v[50:51]
	v_lshlrev_b32_e32 v2, 1, v0
	v_mov_b32_e32 v25, v3
	v_lshl_add_u64 v[52:53], v[50:51], 0, v[2:3]
	v_lshl_add_u64 v[66:67], v[50:51], 0, v[24:25]
	;; [unrolled: 1-line block ×7, first 2 shown]
	global_load_ushort v47, v[50:51], off offset:108
	global_load_dword v49, v[52:53], off offset:32
	global_load_dword v63, v[66:67], off
	global_load_ubyte v62, v[68:69], off offset:96
	global_load_ubyte v61, v[70:71], off offset:104
	;; [unrolled: 1-line block ×5, first 2 shown]
	v_lshl_add_u64 v[52:53], v[50:51], 0, v[14:15]
	v_lshl_add_u64 v[66:67], v[50:51], 0, v[16:17]
	;; [unrolled: 1-line block ×3, first 2 shown]
	global_load_ubyte v58, v[52:53], off offset:104
	global_load_ubyte v56, v[66:67], off offset:96
	;; [unrolled: 1-line block ×3, first 2 shown]
	s_andn2_b64 vcc, exec, s[22:23]
	s_waitcnt vmcnt(14)
	v_cvt_f32_f16_e32 v51, v65
	s_waitcnt vmcnt(13)
	v_cvt_f32_f16_e32 v52, v78
	;; [unrolled: 2-line block ×4, first 2 shown]
	v_cndmask_b32_e64 v65, 0, 1, s[22:23]
	v_cmp_ne_u32_e64 s[0:1], 1, v65
	s_cbranch_vccnz .LBB109_20
; %bb.19:                               ;   in Loop: Header=BB109_18 Depth=1
	v_mov_b64_e32 v[66:67], s[36:37]
	v_mad_i64_i32 v[64:65], s[28:29], v64, s25, v[66:67]
	v_lshl_add_u64 v[66:67], v[64:65], 0, v[2:3]
	v_lshl_add_u64 v[68:69], v[64:65], 0, v[24:25]
	global_load_ushort v70, v[64:65], off offset:108
	s_nop 0
	global_load_dword v68, v[68:69], off
	s_waitcnt vmcnt(0)
	v_ashrrev_i32_e32 v68, v32, v68
	global_load_dword v69, v[66:67], off offset:32
	v_lshl_add_u64 v[66:67], v[64:65], 0, v[4:5]
	global_load_ubyte v66, v[66:67], off offset:96
	v_not_b32_e32 v68, v68
	v_lshlrev_b32_e32 v72, 2, v68
	v_and_b32_e32 v72, 0x4040404, v72
	s_waitcnt vmcnt(0)
	v_bfe_u32 v71, v66, v33, 4
	v_lshl_add_u64 v[66:67], v[64:65], 0, v[6:7]
	global_load_ubyte v66, v[66:67], off offset:104
	v_and_b32_e32 v67, 0x3030303, v69
	v_sub_u16_e32 v73, v67, v72
	v_sub_u16_sdwa v74, v67, v72 dst_sel:BYTE_1 dst_unused:UNUSED_PAD src0_sel:BYTE_1 src1_sel:BYTE_1
	v_sub_u16_sdwa v67, v67, v72 dst_sel:DWORD dst_unused:UNUSED_PAD src0_sel:WORD_1 src1_sel:WORD_1
	v_or_b32_sdwa v73, v73, v74 dst_sel:DWORD dst_unused:UNUSED_PAD src0_sel:BYTE_0 src1_sel:DWORD
	s_waitcnt vmcnt(0)
	v_lshrrev_b32_e32 v66, v34, v66
	v_lshlrev_b32_e32 v66, 4, v66
	v_and_or_b32 v66, v66, 48, v71
	v_bfe_u32 v71, v69, 24, 2
	v_sub_u16_sdwa v71, v71, v72 dst_sel:BYTE_1 dst_unused:UNUSED_PAD src0_sel:DWORD src1_sel:BYTE_3
	v_subrev_u32_e32 v66, 32, v66
	v_or_b32_sdwa v67, v67, v71 dst_sel:WORD_1 dst_unused:UNUSED_PAD src0_sel:BYTE_0 src1_sel:DWORD
	v_mov_b32_e32 v71, v3
	v_or_b32_sdwa v67, v73, v67 dst_sel:DWORD dst_unused:UNUSED_PAD src0_sel:WORD_0 src1_sel:DWORD
	v_dot4c_i32_i8_e32 v71, v67, v54
	v_lshlrev_b32_e32 v73, 1, v68
	v_and_b32_e32 v73, 0x4040404, v73
	s_nop 0
	v_mul_lo_u32 v66, v71, v66
	v_cvt_f32_i32_e32 v66, v66
	v_fma_f32 v71, v51, v66, 0
	v_lshl_add_u64 v[66:67], v[64:65], 0, v[8:9]
	global_load_ubyte v66, v[66:67], off offset:96
	s_waitcnt vmcnt(0)
	v_bfe_u32 v72, v66, v35, 4
	v_lshl_add_u64 v[66:67], v[64:65], 0, v[10:11]
	global_load_ubyte v66, v[66:67], off offset:104
	v_lshrrev_b32_e32 v67, 2, v69
	s_waitcnt vmcnt(0)
	v_lshrrev_b32_e32 v66, v36, v66
	v_lshlrev_b32_e32 v66, 4, v66
	v_and_or_b32 v66, v66, 48, v72
	v_and_b32_e32 v72, 0x3030303, v67
	v_bfe_u32 v67, v67, 24, 2
	v_sub_u16_e32 v74, v72, v73
	v_sub_u16_sdwa v75, v72, v73 dst_sel:BYTE_1 dst_unused:UNUSED_PAD src0_sel:BYTE_1 src1_sel:BYTE_1
	v_sub_u16_sdwa v67, v67, v73 dst_sel:BYTE_1 dst_unused:UNUSED_PAD src0_sel:DWORD src1_sel:BYTE_3
	v_sub_u16_sdwa v72, v72, v73 dst_sel:DWORD dst_unused:UNUSED_PAD src0_sel:WORD_1 src1_sel:WORD_1
	v_or_b32_sdwa v74, v74, v75 dst_sel:DWORD dst_unused:UNUSED_PAD src0_sel:BYTE_0 src1_sel:DWORD
	v_or_b32_sdwa v67, v72, v67 dst_sel:WORD_1 dst_unused:UNUSED_PAD src0_sel:BYTE_0 src1_sel:DWORD
	v_mov_b32_e32 v72, v3
	v_or_b32_sdwa v67, v74, v67 dst_sel:DWORD dst_unused:UNUSED_PAD src0_sel:WORD_0 src1_sel:DWORD
	v_subrev_u32_e32 v66, 32, v66
	v_dot4c_i32_i8_e32 v72, v67, v48
	v_and_b32_e32 v73, 0x4040404, v68
	s_nop 1
	v_mul_lo_u32 v66, v72, v66
	v_cvt_f32_i32_e32 v66, v66
	v_fmac_f32_e32 v71, v52, v66
	v_lshl_add_u64 v[66:67], v[64:65], 0, v[12:13]
	global_load_ubyte v66, v[66:67], off offset:96
	s_waitcnt vmcnt(0)
	v_bfe_u32 v72, v66, v37, 4
	v_lshl_add_u64 v[66:67], v[64:65], 0, v[14:15]
	global_load_ubyte v66, v[66:67], off offset:104
	v_lshrrev_b32_e32 v67, 4, v69
	s_waitcnt vmcnt(0)
	v_lshrrev_b32_e32 v66, v38, v66
	v_lshlrev_b32_e32 v66, 4, v66
	v_and_or_b32 v66, v66, 48, v72
	v_and_b32_e32 v72, 0x3030303, v67
	v_bfe_u32 v67, v67, 24, 2
	v_sub_u16_e32 v74, v72, v73
	v_sub_u16_sdwa v75, v72, v73 dst_sel:BYTE_1 dst_unused:UNUSED_PAD src0_sel:BYTE_1 src1_sel:BYTE_1
	v_sub_u16_sdwa v67, v67, v73 dst_sel:BYTE_1 dst_unused:UNUSED_PAD src0_sel:DWORD src1_sel:BYTE_3
	v_sub_u16_sdwa v72, v72, v73 dst_sel:DWORD dst_unused:UNUSED_PAD src0_sel:WORD_1 src1_sel:WORD_1
	v_or_b32_sdwa v74, v74, v75 dst_sel:DWORD dst_unused:UNUSED_PAD src0_sel:BYTE_0 src1_sel:DWORD
	v_or_b32_sdwa v67, v72, v67 dst_sel:WORD_1 dst_unused:UNUSED_PAD src0_sel:BYTE_0 src1_sel:DWORD
	v_mov_b32_e32 v72, v3
	v_or_b32_sdwa v67, v74, v67 dst_sel:DWORD dst_unused:UNUSED_PAD src0_sel:WORD_0 src1_sel:DWORD
	v_subrev_u32_e32 v66, 32, v66
	v_dot4c_i32_i8_e32 v72, v67, v46
	s_nop 2
	v_mul_lo_u32 v66, v66, v72
	v_cvt_f32_i32_e32 v66, v66
	v_fmac_f32_e32 v71, v53, v66
	v_lshl_add_u64 v[66:67], v[64:65], 0, v[16:17]
	v_lshl_add_u64 v[64:65], v[64:65], 0, v[18:19]
	global_load_ubyte v66, v[66:67], off offset:96
	s_nop 0
	global_load_ubyte v64, v[64:65], off offset:104
	v_lshrrev_b32_e32 v65, 6, v69
	v_lshrrev_b32_e32 v67, 1, v68
	v_and_b32_e32 v65, 0x3030303, v65
	v_and_b32_e32 v67, 0x4040404, v67
	v_sub_u16_e32 v68, v65, v67
	s_waitcnt vmcnt(1)
	v_bfe_u32 v66, v66, v42, 4
	s_waitcnt vmcnt(0)
	v_lshrrev_b32_e32 v64, v44, v64
	v_lshlrev_b32_e32 v64, 4, v64
	v_and_or_b32 v64, v64, 48, v66
	v_lshrrev_b32_e32 v66, 30, v69
	v_sub_u16_sdwa v69, v65, v67 dst_sel:BYTE_1 dst_unused:UNUSED_PAD src0_sel:BYTE_1 src1_sel:BYTE_1
	v_sub_u16_sdwa v66, v66, v67 dst_sel:BYTE_1 dst_unused:UNUSED_PAD src0_sel:DWORD src1_sel:BYTE_3
	v_sub_u16_sdwa v65, v65, v67 dst_sel:DWORD dst_unused:UNUSED_PAD src0_sel:WORD_1 src1_sel:WORD_1
	v_or_b32_sdwa v68, v68, v69 dst_sel:DWORD dst_unused:UNUSED_PAD src0_sel:BYTE_0 src1_sel:DWORD
	v_or_b32_sdwa v65, v65, v66 dst_sel:WORD_1 dst_unused:UNUSED_PAD src0_sel:BYTE_0 src1_sel:DWORD
	v_mov_b32_e32 v66, v3
	v_or_b32_sdwa v65, v68, v65 dst_sel:DWORD dst_unused:UNUSED_PAD src0_sel:WORD_0 src1_sel:DWORD
	v_subrev_u32_e32 v64, 32, v64
	v_dot4c_i32_i8_e32 v66, v65, v45
	s_nop 2
	v_mul_lo_u32 v64, v64, v66
	v_cvt_f32_i32_e32 v64, v64
	v_fmac_f32_e32 v71, v50, v64
	v_fma_mix_f32 v41, v71, v70, v41 op_sel_hi:[0,1,0]
.LBB109_20:                             ;   in Loop: Header=BB109_18 Depth=1
	v_add_u32_e32 v75, s24, v31
	v_mov_b64_e32 v[64:65], s[16:17]
	v_mad_i64_i32 v[76:77], s[28:29], v75, s25, v[64:65]
	v_lshl_add_u64 v[66:67], v[76:77], 0, v[2:3]
	global_load_dword v65, v[66:67], off offset:32
	v_lshl_add_u64 v[66:67], v[76:77], 0, v[24:25]
	global_load_ushort v64, v[76:77], off offset:108
	global_load_dword v72, v[66:67], off
	v_lshl_add_u64 v[66:67], v[76:77], 0, v[4:5]
	global_load_ubyte v73, v[66:67], off offset:96
	v_lshl_add_u64 v[66:67], v[76:77], 0, v[6:7]
	global_load_ubyte v74, v[66:67], off offset:104
	;; [unrolled: 2-line block ×6, first 2 shown]
	v_lshl_add_u64 v[66:67], v[76:77], 0, v[16:17]
	v_lshl_add_u64 v[76:77], v[76:77], 0, v[18:19]
	global_load_ubyte v66, v[66:67], off offset:96
	s_and_b64 vcc, exec, s[0:1]
	global_load_ubyte v67, v[76:77], off offset:104
	s_cbranch_vccnz .LBB109_17
; %bb.21:                               ;   in Loop: Header=BB109_18 Depth=1
	v_mov_b64_e32 v[76:77], s[36:37]
	v_mad_i64_i32 v[76:77], s[0:1], v75, s25, v[76:77]
	v_mov_b32_e32 v25, v3
	v_lshl_add_u64 v[78:79], v[76:77], 0, v[2:3]
	v_lshl_add_u64 v[80:81], v[76:77], 0, v[24:25]
	global_load_ushort v75, v[76:77], off offset:108
	global_load_dword v25, v[78:79], off offset:32
	global_load_dword v2, v[80:81], off
	v_lshl_add_u64 v[78:79], v[76:77], 0, v[4:5]
	global_load_ubyte v78, v[78:79], off offset:96
	s_waitcnt vmcnt(1)
	v_ashrrev_i32_e32 v2, v32, v2
	v_not_b32_e32 v2, v2
	s_waitcnt vmcnt(0)
	v_bfe_u32 v80, v78, v33, 4
	v_lshl_add_u64 v[78:79], v[76:77], 0, v[6:7]
	global_load_ubyte v78, v[78:79], off offset:104
	v_lshlrev_b32_e32 v81, 2, v2
	v_and_b32_e32 v79, 0x3030303, v25
	v_and_b32_e32 v81, 0x4040404, v81
	v_sub_u16_e32 v82, v79, v81
	v_sub_u16_sdwa v83, v79, v81 dst_sel:BYTE_1 dst_unused:UNUSED_PAD src0_sel:BYTE_1 src1_sel:BYTE_1
	v_sub_u16_sdwa v79, v79, v81 dst_sel:DWORD dst_unused:UNUSED_PAD src0_sel:WORD_1 src1_sel:WORD_1
	v_or_b32_sdwa v82, v82, v83 dst_sel:DWORD dst_unused:UNUSED_PAD src0_sel:BYTE_0 src1_sel:DWORD
	s_waitcnt vmcnt(0)
	v_lshrrev_b32_e32 v78, v34, v78
	v_lshlrev_b32_e32 v78, 4, v78
	v_and_or_b32 v78, v78, 48, v80
	v_bfe_u32 v80, v25, 24, 2
	v_sub_u16_sdwa v80, v80, v81 dst_sel:BYTE_1 dst_unused:UNUSED_PAD src0_sel:DWORD src1_sel:BYTE_3
	v_subrev_u32_e32 v78, 32, v78
	v_or_b32_sdwa v79, v79, v80 dst_sel:WORD_1 dst_unused:UNUSED_PAD src0_sel:BYTE_0 src1_sel:DWORD
	v_mov_b32_e32 v80, v3
	v_or_b32_sdwa v79, v82, v79 dst_sel:DWORD dst_unused:UNUSED_PAD src0_sel:WORD_0 src1_sel:DWORD
	v_dot4c_i32_i8_e32 v80, v79, v54
	v_lshlrev_b32_e32 v82, 1, v2
	v_and_b32_e32 v82, 0x4040404, v82
	s_nop 0
	v_mul_lo_u32 v78, v80, v78
	v_cvt_f32_i32_e32 v78, v78
	v_fma_f32 v80, v51, v78, 0
	v_lshl_add_u64 v[78:79], v[76:77], 0, v[8:9]
	global_load_ubyte v78, v[78:79], off offset:96
	s_waitcnt vmcnt(0)
	v_bfe_u32 v81, v78, v35, 4
	v_lshl_add_u64 v[78:79], v[76:77], 0, v[10:11]
	global_load_ubyte v78, v[78:79], off offset:104
	v_lshrrev_b32_e32 v79, 2, v25
	s_waitcnt vmcnt(0)
	v_lshrrev_b32_e32 v78, v36, v78
	v_lshlrev_b32_e32 v78, 4, v78
	v_and_or_b32 v78, v78, 48, v81
	v_and_b32_e32 v81, 0x3030303, v79
	v_bfe_u32 v79, v79, 24, 2
	v_sub_u16_e32 v83, v81, v82
	v_sub_u16_sdwa v84, v81, v82 dst_sel:BYTE_1 dst_unused:UNUSED_PAD src0_sel:BYTE_1 src1_sel:BYTE_1
	v_sub_u16_sdwa v79, v79, v82 dst_sel:BYTE_1 dst_unused:UNUSED_PAD src0_sel:DWORD src1_sel:BYTE_3
	v_sub_u16_sdwa v81, v81, v82 dst_sel:DWORD dst_unused:UNUSED_PAD src0_sel:WORD_1 src1_sel:WORD_1
	v_or_b32_sdwa v83, v83, v84 dst_sel:DWORD dst_unused:UNUSED_PAD src0_sel:BYTE_0 src1_sel:DWORD
	v_or_b32_sdwa v79, v81, v79 dst_sel:WORD_1 dst_unused:UNUSED_PAD src0_sel:BYTE_0 src1_sel:DWORD
	v_mov_b32_e32 v81, v3
	v_or_b32_sdwa v79, v83, v79 dst_sel:DWORD dst_unused:UNUSED_PAD src0_sel:WORD_0 src1_sel:DWORD
	v_subrev_u32_e32 v78, 32, v78
	v_dot4c_i32_i8_e32 v81, v79, v48
	v_and_b32_e32 v82, 0x4040404, v2
	v_lshrrev_b32_e32 v2, 1, v2
	v_and_b32_e32 v2, 0x4040404, v2
	v_mul_lo_u32 v78, v81, v78
	v_cvt_f32_i32_e32 v78, v78
	v_fmac_f32_e32 v80, v52, v78
	v_lshl_add_u64 v[78:79], v[76:77], 0, v[12:13]
	global_load_ubyte v78, v[78:79], off offset:96
	s_waitcnt vmcnt(0)
	v_bfe_u32 v81, v78, v37, 4
	v_lshl_add_u64 v[78:79], v[76:77], 0, v[14:15]
	global_load_ubyte v78, v[78:79], off offset:104
	v_lshrrev_b32_e32 v79, 4, v25
	s_waitcnt vmcnt(0)
	v_lshrrev_b32_e32 v78, v38, v78
	v_lshlrev_b32_e32 v78, 4, v78
	v_and_or_b32 v78, v78, 48, v81
	v_and_b32_e32 v81, 0x3030303, v79
	v_bfe_u32 v79, v79, 24, 2
	v_sub_u16_e32 v83, v81, v82
	v_sub_u16_sdwa v84, v81, v82 dst_sel:BYTE_1 dst_unused:UNUSED_PAD src0_sel:BYTE_1 src1_sel:BYTE_1
	v_sub_u16_sdwa v79, v79, v82 dst_sel:BYTE_1 dst_unused:UNUSED_PAD src0_sel:DWORD src1_sel:BYTE_3
	v_sub_u16_sdwa v81, v81, v82 dst_sel:DWORD dst_unused:UNUSED_PAD src0_sel:WORD_1 src1_sel:WORD_1
	v_or_b32_sdwa v83, v83, v84 dst_sel:DWORD dst_unused:UNUSED_PAD src0_sel:BYTE_0 src1_sel:DWORD
	v_or_b32_sdwa v79, v81, v79 dst_sel:WORD_1 dst_unused:UNUSED_PAD src0_sel:BYTE_0 src1_sel:DWORD
	v_mov_b32_e32 v81, v3
	v_or_b32_sdwa v79, v83, v79 dst_sel:DWORD dst_unused:UNUSED_PAD src0_sel:WORD_0 src1_sel:DWORD
	v_subrev_u32_e32 v78, 32, v78
	v_dot4c_i32_i8_e32 v81, v79, v46
	s_nop 2
	v_mul_lo_u32 v78, v78, v81
	v_cvt_f32_i32_e32 v78, v78
	v_fmac_f32_e32 v80, v53, v78
	v_lshl_add_u64 v[78:79], v[76:77], 0, v[16:17]
	v_lshl_add_u64 v[76:77], v[76:77], 0, v[18:19]
	global_load_ubyte v78, v[78:79], off offset:96
	s_nop 0
	global_load_ubyte v76, v[76:77], off offset:104
	v_lshrrev_b32_e32 v77, 6, v25
	v_and_b32_e32 v77, 0x3030303, v77
	v_lshrrev_b32_e32 v25, 30, v25
	v_sub_u16_sdwa v79, v77, v2 dst_sel:BYTE_1 dst_unused:UNUSED_PAD src0_sel:BYTE_1 src1_sel:BYTE_1
	v_sub_u16_sdwa v25, v25, v2 dst_sel:BYTE_1 dst_unused:UNUSED_PAD src0_sel:DWORD src1_sel:BYTE_3
	s_waitcnt vmcnt(1)
	v_bfe_u32 v78, v78, v42, 4
	s_waitcnt vmcnt(0)
	v_lshrrev_b32_e32 v76, v44, v76
	v_lshlrev_b32_e32 v76, 4, v76
	v_and_or_b32 v76, v76, 48, v78
	v_sub_u16_e32 v78, v77, v2
	v_sub_u16_sdwa v2, v77, v2 dst_sel:DWORD dst_unused:UNUSED_PAD src0_sel:WORD_1 src1_sel:WORD_1
	v_or_b32_sdwa v78, v78, v79 dst_sel:DWORD dst_unused:UNUSED_PAD src0_sel:BYTE_0 src1_sel:DWORD
	v_or_b32_sdwa v2, v2, v25 dst_sel:WORD_1 dst_unused:UNUSED_PAD src0_sel:BYTE_0 src1_sel:DWORD
	v_mov_b32_e32 v25, v3
	v_or_b32_sdwa v2, v78, v2 dst_sel:DWORD dst_unused:UNUSED_PAD src0_sel:WORD_0 src1_sel:DWORD
	v_subrev_u32_e32 v76, 32, v76
	v_dot4c_i32_i8_e32 v25, v2, v45
	s_nop 2
	v_mul_lo_u32 v2, v76, v25
	v_cvt_f32_i32_e32 v2, v2
	v_fmac_f32_e32 v80, v50, v2
	v_fma_mix_f32 v40, v80, v75, v40 op_sel_hi:[0,1,0]
	s_branch .LBB109_17
.LBB109_22:
	s_or_b64 exec, exec, s[12:13]
	ds_write2_b32 v29, v43, v39 offset1:1
	ds_write2_b32 v28, v41, v40 offset1:1
.LBB109_23:
	s_or_b64 exec, exec, s[10:11]
	s_load_dword s15, s[2:3], 0x30
	v_cmp_eq_u32_e64 s[0:1], 0, v30
	v_cmp_ne_u32_e32 vcc, 0, v30
	v_lshlrev_b32_e32 v0, 2, v1
	s_and_saveexec_b64 s[10:11], vcc
	s_cbranch_execz .LBB109_28
; %bb.24:
	v_add_u32_e32 v2, -1, v30
	v_lshl_or_b32 v2, v2, 9, v0
	s_mov_b64 s[12:13], -1
	s_and_b64 vcc, exec, s[34:35]
	ds_write_b32 v2, v43
	s_cbranch_vccz .LBB109_26
; %bb.25:
	ds_write_b32 v2, v39 offset:256
	s_mov_b64 s[12:13], 0
.LBB109_26:
	s_andn2_b64 vcc, exec, s[12:13]
	s_cbranch_vccnz .LBB109_28
; %bb.27:
	ds_write_b32 v2, v39 offset:256
	ds_write2st64_b32 v2, v41, v40 offset0:2 offset1:3
.LBB109_28:
	s_or_b64 exec, exec, s[10:11]
	s_waitcnt lgkmcnt(0)
	s_barrier
	s_and_saveexec_b64 s[10:11], s[0:1]
	s_cbranch_execz .LBB109_61
; %bb.29:
	ds_read_b32 v3, v0
	ds_read_b32 v4, v29
	v_cndmask_b32_e64 v2, 0, 1, s[22:23]
	v_cmp_ne_u32_e64 s[0:1], 1, v2
	s_andn2_b64 vcc, exec, s[22:23]
	s_cbranch_vccnz .LBB109_31
; %bb.30:
	ds_read_b32 v2, v0 offset:512
	ds_read_b32 v5, v28
	s_waitcnt lgkmcnt(0)
	v_add_f32_e32 v2, v2, v5
	ds_write_b32 v28, v2
.LBB109_31:
	v_mbcnt_lo_u32_b32 v2, -1, 0
	v_mbcnt_hi_u32_b32 v7, -1, v2
	v_and_b32_e32 v2, 64, v7
	v_add_u32_e32 v8, 64, v2
	v_xor_b32_e32 v2, 32, v7
	v_cmp_lt_i32_e32 vcc, v2, v8
	s_waitcnt lgkmcnt(0)
	v_add_f32_e32 v4, v3, v4
	v_xor_b32_e32 v3, 16, v7
	v_cndmask_b32_e32 v2, v7, v2, vcc
	v_lshlrev_b32_e32 v2, 2, v2
	ds_bpermute_b32 v5, v2, v4
	v_cmp_lt_i32_e32 vcc, v3, v8
	v_xor_b32_e32 v11, 1, v7
	s_waitcnt lgkmcnt(0)
	v_add_f32_e32 v5, v4, v5
	v_cndmask_b32_e32 v3, v7, v3, vcc
	v_lshlrev_b32_e32 v3, 2, v3
	ds_bpermute_b32 v6, v3, v5
	v_xor_b32_e32 v4, 8, v7
	v_cmp_lt_i32_e32 vcc, v4, v8
	s_waitcnt lgkmcnt(0)
	v_add_f32_e32 v6, v5, v6
	v_cndmask_b32_e32 v4, v7, v4, vcc
	v_lshlrev_b32_e32 v4, 2, v4
	ds_bpermute_b32 v9, v4, v6
	v_xor_b32_e32 v5, 4, v7
	v_cmp_lt_i32_e32 vcc, v5, v8
	;; [unrolled: 7-line block ×3, first 2 shown]
	s_waitcnt lgkmcnt(0)
	v_add_f32_e32 v9, v9, v10
	v_cndmask_b32_e32 v6, v7, v6, vcc
	v_lshlrev_b32_e32 v6, 2, v6
	ds_bpermute_b32 v10, v6, v9
	v_cmp_lt_i32_e32 vcc, v11, v8
	s_waitcnt lgkmcnt(0)
	v_add_f32_e32 v8, v9, v10
	v_cndmask_b32_e32 v7, v7, v11, vcc
	v_lshlrev_b32_e32 v7, 2, v7
	ds_bpermute_b32 v9, v7, v8
	s_and_b64 vcc, exec, s[0:1]
	s_waitcnt lgkmcnt(0)
	v_add_f32_e32 v8, v8, v9
	ds_write_b32 v29, v8
	s_cbranch_vccnz .LBB109_33
; %bb.32:
	ds_read_b32 v8, v28
	s_waitcnt lgkmcnt(0)
	ds_bpermute_b32 v9, v2, v8
	s_waitcnt lgkmcnt(0)
	v_add_f32_e32 v8, v8, v9
	ds_bpermute_b32 v9, v3, v8
	s_waitcnt lgkmcnt(0)
	v_add_f32_e32 v8, v8, v9
	;; [unrolled: 3-line block ×6, first 2 shown]
	ds_write_b32 v28, v8
.LBB109_33:
	ds_read_b32 v8, v0 offset:256
	ds_read_b32 v9, v29 offset:4
	s_and_b64 vcc, exec, s[0:1]
	s_cbranch_vccnz .LBB109_35
; %bb.34:
	ds_read_b32 v10, v0 offset:768
	ds_read_b32 v11, v28 offset:4
	s_waitcnt lgkmcnt(0)
	v_add_f32_e32 v10, v10, v11
	ds_write_b32 v28, v10 offset:4
.LBB109_35:
	s_waitcnt lgkmcnt(0)
	v_add_f32_e32 v8, v8, v9
	ds_bpermute_b32 v9, v2, v8
	s_and_b64 vcc, exec, s[0:1]
	s_waitcnt lgkmcnt(0)
	v_add_f32_e32 v8, v8, v9
	ds_bpermute_b32 v9, v3, v8
	s_waitcnt lgkmcnt(0)
	v_add_f32_e32 v8, v8, v9
	ds_bpermute_b32 v9, v4, v8
	;; [unrolled: 3-line block ×5, first 2 shown]
	s_waitcnt lgkmcnt(0)
	v_add_f32_e32 v8, v8, v9
	ds_write_b32 v29, v8 offset:4
	s_cbranch_vccnz .LBB109_37
; %bb.36:
	ds_read_b32 v8, v28 offset:4
	s_waitcnt lgkmcnt(0)
	ds_bpermute_b32 v2, v2, v8
	s_waitcnt lgkmcnt(0)
	v_add_f32_e32 v2, v8, v2
	ds_bpermute_b32 v3, v3, v2
	s_waitcnt lgkmcnt(0)
	v_add_f32_e32 v2, v2, v3
	;; [unrolled: 3-line block ×6, first 2 shown]
	ds_write_b32 v28, v2 offset:4
.LBB109_37:
	v_add_u32_e32 v2, s20, v1
	v_cmp_gt_u32_e32 vcc, 2, v1
	v_cmp_gt_u32_e64 s[10:11], s7, v2
	s_and_b64 s[10:11], vcc, s[10:11]
	s_and_b64 exec, exec, s[10:11]
	s_cbranch_execz .LBB109_61
; %bb.38:
	v_lshl_add_u32 v2, v1, 2, v29
	ds_read_b32 v2, v2
	s_and_b64 vcc, exec, s[0:1]
	s_waitcnt vmcnt(0) lgkmcnt(0)
	v_add_f32_e32 v3, v27, v2
	v_cndmask_b32_e64 v2, v3, v2, s[8:9]
	s_cbranch_vccnz .LBB109_60
; %bb.39:
	v_lshl_add_u32 v1, v1, 2, v28
	ds_read_b32 v1, v1
	s_cmp_lt_i32 s15, 2
	s_mov_b64 s[0:1], 0
	s_waitcnt lgkmcnt(0)
	v_add_f32_e32 v3, v26, v1
	v_cndmask_b32_e64 v1, v1, v3, s[4:5]
	s_cbranch_scc1 .LBB109_43
; %bb.40:
	s_cmp_gt_i32 s15, 2
	s_cbranch_scc0 .LBB109_44
; %bb.41:
	s_cmp_eq_u32 s15, 3
	s_cbranch_scc0 .LBB109_45
; %bb.42:
	v_max_f32_e32 v3, v1, v1
	v_min_f32_e32 v3, 0x40e00000, v3
	v_mul_f32_e32 v5, 0xbfd9db23, v3
	s_mov_b32 s4, 0x3fb8aa3b
	v_mul_f32_e32 v4, 0x3fb8aa3b, v5
	v_fma_f32 v6, v5, s4, -v4
	v_rndne_f32_e32 v7, v4
	v_fmamk_f32 v6, v5, 0x32a5705f, v6
	v_sub_f32_e32 v4, v4, v7
	v_add_f32_e32 v4, v4, v6
	v_exp_f32_e32 v6, v4
	v_cvt_i32_f32_e32 v7, v7
	s_mov_b32 s4, 0xc2ce8ed0
	v_max_f32_e32 v4, v2, v2
	v_cmp_ngt_f32_e32 vcc, s4, v5
	v_ldexp_f32 v6, v6, v7
	s_mov_b32 s4, 0x42b17218
	v_min_f32_e32 v4, 0x40e00000, v4
	v_cndmask_b32_e32 v6, 0, v6, vcc
	v_mov_b32_e32 v7, 0x7f800000
	v_cmp_nlt_f32_e32 vcc, s4, v5
	v_max_f32_e32 v4, 0xc0e00000, v4
	s_nop 0
	v_cndmask_b32_e32 v5, v7, v6, vcc
	v_pk_add_f32 v[4:5], v[4:5], 1.0 op_sel_hi:[1,0]
	s_nop 0
	v_div_scale_f32 v6, s[4:5], v5, v5, v3
	v_rcp_f32_e32 v7, v6
	s_mov_b64 s[4:5], 0
	v_fma_f32 v8, -v6, v7, 1.0
	v_fmac_f32_e32 v7, v8, v7
	v_div_scale_f32 v8, vcc, v3, v5, v3
	v_mul_f32_e32 v9, v8, v7
	v_fma_f32 v10, -v6, v9, v8
	v_fmac_f32_e32 v9, v10, v7
	v_fma_f32 v6, -v6, v9, v8
	v_div_fmas_f32 v6, v6, v7, v9
	v_div_fixup_f32 v3, v6, v5, v3
	v_mul_f32_e32 v3, v4, v3
	s_branch .LBB109_46
.LBB109_43:
                                        ; implicit-def: $vgpr3
	s_mov_b64 s[4:5], 0
	s_cbranch_execnz .LBB109_50
	s_branch .LBB109_51
.LBB109_44:
	s_mov_b64 s[8:9], -1
	s_mov_b64 s[4:5], 0
                                        ; implicit-def: $vgpr3
	s_branch .LBB109_47
.LBB109_45:
	s_mov_b64 s[4:5], -1
                                        ; implicit-def: $vgpr3
.LBB109_46:
	s_mov_b64 s[8:9], 0
.LBB109_47:
	s_and_b64 vcc, exec, s[8:9]
	s_cbranch_vccz .LBB109_49
; %bb.48:
	v_mul_f32_e32 v3, 0xbfb8aa3b, v1
	s_mov_b32 s7, 0xbfb8aa3b
	v_rndne_f32_e32 v4, v3
	v_sub_f32_e32 v5, v3, v4
	v_fma_f32 v3, v1, s7, -v3
	v_fmamk_f32 v3, v1, 0xb2a5705f, v3
	v_add_f32_e32 v3, v5, v3
	v_exp_f32_e32 v3, v3
	v_cvt_i32_f32_e32 v4, v4
	s_mov_b32 s7, 0x42ce8ed0
	v_cmp_nlt_f32_e32 vcc, s7, v1
	s_mov_b32 s7, 0xc2b17218
	v_ldexp_f32 v3, v3, v4
	v_cndmask_b32_e32 v3, 0, v3, vcc
	v_mov_b32_e32 v4, 0x7f800000
	v_cmp_ngt_f32_e32 vcc, s7, v1
	s_nop 1
	v_cndmask_b32_e32 v3, v4, v3, vcc
	v_add_f32_e32 v3, 1.0, v3
	v_div_scale_f32 v4, s[8:9], v3, v3, v1
	v_rcp_f32_e32 v5, v4
	s_nop 0
	v_fma_f32 v6, -v4, v5, 1.0
	v_fmac_f32_e32 v5, v6, v5
	v_div_scale_f32 v6, vcc, v1, v3, v1
	v_mul_f32_e32 v7, v6, v5
	v_fma_f32 v8, -v4, v7, v6
	v_fmac_f32_e32 v7, v8, v5
	v_fma_f32 v4, -v4, v7, v6
	v_div_fmas_f32 v4, v4, v5, v7
	v_div_fixup_f32 v3, v4, v3, v1
	v_mul_f32_e32 v3, v2, v3
.LBB109_49:
	s_branch .LBB109_51
.LBB109_50:
	s_cmp_lg_u32 s15, 1
	s_mov_b64 s[0:1], -1
	s_cselect_b64 s[4:5], -1, 0
                                        ; implicit-def: $vgpr3
.LBB109_51:
	s_andn2_b64 vcc, exec, s[4:5]
	s_cbranch_vccz .LBB109_53
; %bb.52:
	s_andn2_b64 vcc, exec, s[0:1]
	s_cbranch_vccz .LBB109_54
	s_branch .LBB109_59
.LBB109_53:
	v_mul_f32_e32 v3, v2, v1
	s_cbranch_execnz .LBB109_59
.LBB109_54:
	v_mul_f32_e32 v4, 0x3d372713, v1
	v_mul_f32_e32 v3, 0x3f4c422a, v1
	v_fma_f32 v4, v1, v4, 1.0
	v_mul_f32_e32 v3, v3, v4
	s_mov_b32 s0, 0x3f200000
	v_cmp_nlt_f32_e64 s[0:1], |v3|, s0
                                        ; implicit-def: $vgpr4
	s_and_saveexec_b64 s[4:5], s[0:1]
	s_xor_b64 s[0:1], exec, s[4:5]
	s_cbranch_execz .LBB109_56
; %bb.55:
	v_add_f32_e64 v4, |v3|, |v3|
	v_mul_f32_e32 v5, 0x3fb8aa3b, v4
	s_mov_b32 s4, 0x3fb8aa3b
	v_rndne_f32_e32 v6, v5
	v_sub_f32_e32 v7, v5, v6
	v_fma_f32 v5, v4, s4, -v5
	v_fmamk_f32 v5, v4, 0x32a5705f, v5
	v_add_f32_e32 v5, v7, v5
	v_exp_f32_e32 v5, v5
	v_cvt_i32_f32_e32 v6, v6
	s_mov_b32 s4, 0xc2ce8ed0
	v_cmp_ngt_f32_e32 vcc, s4, v4
	s_mov_b32 s4, 0x42b17218
	v_ldexp_f32 v5, v5, v6
	v_cndmask_b32_e32 v5, 0, v5, vcc
	v_mov_b32_e32 v6, 0x7f800000
	v_cmp_nlt_f32_e32 vcc, s4, v4
	s_nop 1
	v_cndmask_b32_e32 v4, v6, v5, vcc
	v_add_f32_e32 v4, 1.0, v4
	v_rcp_f32_e32 v4, v4
	s_nop 0
	v_fma_f32 v4, v4, -2.0, 1.0
.LBB109_56:
	s_andn2_saveexec_b64 s[0:1], s[0:1]
; %bb.57:
	v_mul_f32_e32 v4, v3, v3
	v_mov_b32_e32 v5, 0x3ca908c9
	v_fmac_f32_e32 v5, 0xbbbac73d, v4
	v_fmaak_f32 v5, v4, v5, 0xbd5c1c4e
	v_fmaak_f32 v5, v4, v5, 0x3e088382
	v_fmaak_f32 v5, v4, v5, 0xbeaaaa99
	v_mul_f32_e64 v5, |v3|, v5
	v_fma_f32 v4, v4, v5, |v3|
; %bb.58:
	s_or_b64 exec, exec, s[0:1]
	s_brev_b32 s0, -2
	v_bfi_b32 v3, s0, v4, v3
	v_mul_f32_e32 v1, 0.5, v1
	v_add_f32_e32 v3, 1.0, v3
	v_mul_f32_e32 v1, v1, v3
	v_mul_f32_e32 v3, v2, v1
.LBB109_59:
	v_mov_b32_e32 v2, v3
.LBB109_60:
	s_load_dwordx2 s[0:1], s[2:3], 0x38
	s_mul_i32 s4, s14, s26
	s_mul_i32 s6, s6, s30
	s_add_i32 s2, s4, s20
	s_add_i32 s2, s2, s6
	s_mov_b32 s3, 0
	s_lshl_b64 s[2:3], s[2:3], 2
	s_waitcnt lgkmcnt(0)
	s_add_u32 s0, s0, s2
	s_addc_u32 s1, s1, s3
	global_store_dword v0, v2, s[0:1]
.LBB109_61:
	s_endpgm
	.section	.rodata,"a",@progbits
	.p2align	6, 0x0
	.amdhsa_kernel _ZL13mul_mat_vec_qIL9ggml_type11ELi1ELb1ELb1EEvPKvS2_PKi31ggml_cuda_mm_fusion_args_devicePfj15HIP_vector_typeIjLj3EEjjjS8_jjjS8_jjjj
		.amdhsa_group_segment_fixed_size 3072
		.amdhsa_private_segment_fixed_size 0
		.amdhsa_kernarg_size 144
		.amdhsa_user_sgpr_count 4
		.amdhsa_user_sgpr_dispatch_ptr 1
		.amdhsa_user_sgpr_queue_ptr 0
		.amdhsa_user_sgpr_kernarg_segment_ptr 1
		.amdhsa_user_sgpr_dispatch_id 0
		.amdhsa_user_sgpr_kernarg_preload_length 0
		.amdhsa_user_sgpr_kernarg_preload_offset 0
		.amdhsa_user_sgpr_private_segment_size 0
		.amdhsa_uses_dynamic_stack 0
		.amdhsa_enable_private_segment 0
		.amdhsa_system_sgpr_workgroup_id_x 1
		.amdhsa_system_sgpr_workgroup_id_y 1
		.amdhsa_system_sgpr_workgroup_id_z 1
		.amdhsa_system_sgpr_workgroup_info 0
		.amdhsa_system_vgpr_workitem_id 2
		.amdhsa_next_free_vgpr 85
		.amdhsa_next_free_sgpr 46
		.amdhsa_accum_offset 88
		.amdhsa_reserve_vcc 1
		.amdhsa_float_round_mode_32 0
		.amdhsa_float_round_mode_16_64 0
		.amdhsa_float_denorm_mode_32 3
		.amdhsa_float_denorm_mode_16_64 3
		.amdhsa_dx10_clamp 1
		.amdhsa_ieee_mode 1
		.amdhsa_fp16_overflow 0
		.amdhsa_tg_split 0
		.amdhsa_exception_fp_ieee_invalid_op 0
		.amdhsa_exception_fp_denorm_src 0
		.amdhsa_exception_fp_ieee_div_zero 0
		.amdhsa_exception_fp_ieee_overflow 0
		.amdhsa_exception_fp_ieee_underflow 0
		.amdhsa_exception_fp_ieee_inexact 0
		.amdhsa_exception_int_div_zero 0
	.end_amdhsa_kernel
	.section	.text._ZL13mul_mat_vec_qIL9ggml_type11ELi1ELb1ELb1EEvPKvS2_PKi31ggml_cuda_mm_fusion_args_devicePfj15HIP_vector_typeIjLj3EEjjjS8_jjjS8_jjjj,"axG",@progbits,_ZL13mul_mat_vec_qIL9ggml_type11ELi1ELb1ELb1EEvPKvS2_PKi31ggml_cuda_mm_fusion_args_devicePfj15HIP_vector_typeIjLj3EEjjjS8_jjjS8_jjjj,comdat
.Lfunc_end109:
	.size	_ZL13mul_mat_vec_qIL9ggml_type11ELi1ELb1ELb1EEvPKvS2_PKi31ggml_cuda_mm_fusion_args_devicePfj15HIP_vector_typeIjLj3EEjjjS8_jjjS8_jjjj, .Lfunc_end109-_ZL13mul_mat_vec_qIL9ggml_type11ELi1ELb1ELb1EEvPKvS2_PKi31ggml_cuda_mm_fusion_args_devicePfj15HIP_vector_typeIjLj3EEjjjS8_jjjS8_jjjj
                                        ; -- End function
	.section	.AMDGPU.csdata,"",@progbits
; Kernel info:
; codeLenInByte = 6532
; NumSgprs: 52
; NumVgprs: 85
; NumAgprs: 0
; TotalNumVgprs: 85
; ScratchSize: 0
; MemoryBound: 0
; FloatMode: 240
; IeeeMode: 1
; LDSByteSize: 3072 bytes/workgroup (compile time only)
; SGPRBlocks: 6
; VGPRBlocks: 10
; NumSGPRsForWavesPerEU: 52
; NumVGPRsForWavesPerEU: 85
; AccumOffset: 88
; Occupancy: 5
; WaveLimiterHint : 0
; COMPUTE_PGM_RSRC2:SCRATCH_EN: 0
; COMPUTE_PGM_RSRC2:USER_SGPR: 4
; COMPUTE_PGM_RSRC2:TRAP_HANDLER: 0
; COMPUTE_PGM_RSRC2:TGID_X_EN: 1
; COMPUTE_PGM_RSRC2:TGID_Y_EN: 1
; COMPUTE_PGM_RSRC2:TGID_Z_EN: 1
; COMPUTE_PGM_RSRC2:TIDIG_COMP_CNT: 2
; COMPUTE_PGM_RSRC3_GFX90A:ACCUM_OFFSET: 21
; COMPUTE_PGM_RSRC3_GFX90A:TG_SPLIT: 0
	.section	.text._ZL13mul_mat_vec_qIL9ggml_type11ELi1ELb0ELb1EEvPKvS2_PKi31ggml_cuda_mm_fusion_args_devicePfj15HIP_vector_typeIjLj3EEjjjS8_jjjS8_jjjj,"axG",@progbits,_ZL13mul_mat_vec_qIL9ggml_type11ELi1ELb0ELb1EEvPKvS2_PKi31ggml_cuda_mm_fusion_args_devicePfj15HIP_vector_typeIjLj3EEjjjS8_jjjS8_jjjj,comdat
	.globl	_ZL13mul_mat_vec_qIL9ggml_type11ELi1ELb0ELb1EEvPKvS2_PKi31ggml_cuda_mm_fusion_args_devicePfj15HIP_vector_typeIjLj3EEjjjS8_jjjS8_jjjj ; -- Begin function _ZL13mul_mat_vec_qIL9ggml_type11ELi1ELb0ELb1EEvPKvS2_PKi31ggml_cuda_mm_fusion_args_devicePfj15HIP_vector_typeIjLj3EEjjjS8_jjjS8_jjjj
	.p2align	8
	.type	_ZL13mul_mat_vec_qIL9ggml_type11ELi1ELb0ELb1EEvPKvS2_PKi31ggml_cuda_mm_fusion_args_devicePfj15HIP_vector_typeIjLj3EEjjjS8_jjjS8_jjjj,@function
_ZL13mul_mat_vec_qIL9ggml_type11ELi1ELb0ELb1EEvPKvS2_PKi31ggml_cuda_mm_fusion_args_devicePfj15HIP_vector_typeIjLj3EEjjjS8_jjjS8_jjjj: ; @_ZL13mul_mat_vec_qIL9ggml_type11ELi1ELb0ELb1EEvPKvS2_PKi31ggml_cuda_mm_fusion_args_devicePfj15HIP_vector_typeIjLj3EEjjjS8_jjjS8_jjjj
; %bb.0:
	s_load_dwordx2 s[8:9], s[2:3], 0x10
	s_load_dwordx4 s[16:19], s[2:3], 0x40
	s_mov_b32 s20, s5
	s_mov_b64 s[14:15], 0
	s_waitcnt lgkmcnt(0)
	s_cmp_lg_u64 s[8:9], 0
	s_cselect_b64 s[12:13], -1, 0
	s_cmp_eq_u64 s[8:9], 0
	s_cbranch_scc1 .LBB110_5
; %bb.1:
	s_mov_b32 s21, 0
	s_lshl_b64 s[10:11], s[20:21], 2
	s_add_u32 s8, s8, s10
	s_addc_u32 s9, s9, s11
	s_load_dword s21, s[8:9], 0x0
	s_nop 0
	s_load_dwordx4 s[8:11], s[2:3], 0x68
	s_load_dword s5, s[2:3], 0x50
	s_andn2_b64 vcc, exec, s[14:15]
	s_cbranch_vccnz .LBB110_3
.LBB110_2:
	s_load_dwordx2 s[14:15], s[2:3], 0x5c
	s_waitcnt lgkmcnt(0)
	s_mul_hi_u32 s7, s14, s20
	s_add_i32 s7, s20, s7
	s_lshr_b32 s21, s7, s15
.LBB110_3:
	s_load_dword s22, s[2:3], 0x78
	s_andn2_b64 vcc, exec, s[12:13]
	s_cbranch_vccnz .LBB110_6
; %bb.4:
	s_mul_hi_u32 s7, s17, s20
	s_add_i32 s7, s20, s7
	s_lshr_b32 s7, s7, s18
	s_mul_i32 s7, s7, s19
	s_sub_i32 s23, s20, s7
	s_branch .LBB110_7
.LBB110_5:
                                        ; implicit-def: $sgpr21
	s_load_dwordx4 s[8:11], s[2:3], 0x68
	s_load_dword s5, s[2:3], 0x50
	s_branch .LBB110_2
.LBB110_6:
	s_mov_b32 s23, s20
.LBB110_7:
	s_load_dwordx2 s[18:19], s[0:1], 0x4
	s_load_dwordx4 s[12:15], s[2:3], 0x80
	v_bfe_u32 v40, v0, 10, 10
	v_and_b32_e32 v39, 0x3ff, v0
	v_bfe_u32 v0, v0, 20, 10
	s_waitcnt lgkmcnt(0)
	s_lshr_b32 s0, s18, 16
	v_mul_u32_u24_e32 v1, s19, v40
	s_mul_i32 s0, s0, s19
	v_mad_u32_u24 v1, s0, v39, v1
	v_add_lshl_u32 v1, v1, v0, 3
	v_lshl_add_u32 v0, v40, 6, v39
	s_lshr_b32 s15, s16, 8
	v_lshrrev_b32_e32 v41, 4, v0
	v_add_u32_e32 v38, 0x200, v1
	s_lshl_b32 s7, s4, 1
	v_mov_b32_e32 v27, 0
	v_cmp_gt_u32_e32 vcc, s15, v41
	v_mov_b32_e32 v26, 0
	ds_write2_b32 v1, v27, v27 offset0:128 offset1:129
	s_and_saveexec_b64 s[0:1], vcc
	s_cbranch_execz .LBB110_11
; %bb.8:
	v_and_b32_e32 v2, 15, v39
	v_and_b32_e32 v27, 7, v39
	v_lshlrev_b32_e32 v26, 1, v2
	v_sub_u32_e32 v2, v2, v27
	v_bfe_u32 v3, v39, 2, 1
	s_mul_i32 s4, s6, s13
	s_mul_i32 s13, s23, s9
	s_mul_hi_u32 s9, s11, s6
	v_add_u32_e32 v11, v2, v3
	s_add_i32 s9, s6, s9
	v_lshrrev_b16_e32 v2, 12, v11
	v_lshrrev_b16_e32 v4, 6, v11
	s_load_dwordx4 s[16:19], s[2:3], 0x0
	s_lshr_b32 s9, s9, s22
	v_and_b32_e32 v2, 7, v2
	v_and_b32_e32 v4, 3, v4
	v_add_u16_e32 v8, 2, v11
	s_mul_i32 s8, s21, s8
	s_mul_i32 s9, s9, s12
	v_lshlrev_b32_e32 v32, 1, v27
	v_add_u16_e32 v2, v11, v2
	v_add_u16_e32 v4, v11, v4
	v_lshrrev_b16_e32 v9, 7, v8
	v_mov_b32_e32 v18, 5
	v_mov_b32_e32 v22, 6
	v_lshlrev_b32_e32 v28, 2, v27
	v_bfe_u32 v27, v39, 3, 1
	v_and_b32_e32 v3, 0xf8, v2
	v_and_b32_e32 v5, 0xfc, v4
	v_lshrrev_b16_sdwa v6, v18, v9 dst_sel:DWORD dst_unused:UNUSED_PAD src0_sel:DWORD src1_sel:BYTE_0
	v_lshrrev_b16_sdwa v9, v22, v9 dst_sel:DWORD dst_unused:UNUSED_PAD src0_sel:DWORD src1_sel:BYTE_0
	s_add_i32 s12, s9, s8
	v_lshrrev_b32_e32 v0, 4, v0
	v_mul_hi_u32_u24_e32 v31, 0x90, v27
	v_mul_u32_u24_e32 v30, 0x90, v27
	s_movk_i32 s8, 0x120
	v_sub_u16_e32 v3, v11, v3
	v_sub_u16_e32 v5, v11, v5
	v_add_u16_e32 v6, v8, v6
	v_add_u16_e32 v9, v8, v9
	;; [unrolled: 1-line block ×4, first 2 shown]
	s_mul_i32 s11, s7, s5
	v_mad_u64_u32 v[30:31], s[8:9], v0, s8, v[30:31]
	v_and_b32_e32 v7, 0xf8, v6
	v_and_b32_e32 v10, 0xfc, v9
	v_lshrrev_b16_e32 v16, 7, v14
	v_lshrrev_b16_e32 v23, 7, v11
	s_add_i32 s11, s12, s11
	s_mul_hi_u32 s8, s4, 36
	s_mul_i32 s4, s4, 36
	v_sub_u16_e32 v7, v8, v7
	v_sub_u16_e32 v8, v8, v10
	v_lshrrev_b16_sdwa v10, v18, v16 dst_sel:DWORD dst_unused:UNUSED_PAD src0_sel:DWORD src1_sel:BYTE_0
	v_lshrrev_b16_sdwa v16, v22, v16 dst_sel:DWORD dst_unused:UNUSED_PAD src0_sel:DWORD src1_sel:BYTE_0
	;; [unrolled: 1-line block ×4, first 2 shown]
	s_waitcnt lgkmcnt(0)
	s_add_u32 s4, s18, s4
	v_mov_b32_e32 v20, 3
	v_add_u16_e32 v10, v14, v10
	v_add_u16_e32 v16, v14, v16
	;; [unrolled: 1-line block ×4, first 2 shown]
	s_mul_hi_u32 s9, s13, 36
	s_mul_i32 s13, s13, 36
	s_addc_u32 s18, s19, s8
	v_ashrrev_i16_e32 v2, 3, v2
	v_mov_b32_e32 v15, 2
	v_ashrrev_i16_sdwa v6, v20, sext(v6) dst_sel:DWORD dst_unused:UNUSED_PAD src0_sel:DWORD src1_sel:BYTE_0
	v_and_b32_e32 v12, 0xf8, v10
	v_ashrrev_i16_sdwa v10, v20, sext(v10) dst_sel:DWORD dst_unused:UNUSED_PAD src0_sel:DWORD src1_sel:BYTE_0
	v_and_b32_e32 v17, 0xfc, v16
	v_and_b32_e32 v21, 0xf8, v18
	v_ashrrev_i16_sdwa v18, v20, sext(v18) dst_sel:DWORD dst_unused:UNUSED_PAD src0_sel:DWORD src1_sel:BYTE_0
	v_and_b32_e32 v23, 0xfc, v22
	s_add_u32 s8, s4, s13
	v_lshrrev_b32_e32 v1, 1, v39
	v_lshlrev_b32_sdwa v43, v15, sext(v2) dst_sel:DWORD dst_unused:UNUSED_PAD src0_sel:DWORD src1_sel:WORD_0
	v_ashrrev_i16_e32 v4, 2, v4
	v_mov_b32_e32 v19, 1
	v_lshlrev_b32_sdwa v45, v15, sext(v6) dst_sel:DWORD dst_unused:UNUSED_PAD src0_sel:DWORD src1_sel:WORD_0
	v_ashrrev_i16_sdwa v9, v15, sext(v9) dst_sel:DWORD dst_unused:UNUSED_PAD src0_sel:DWORD src1_sel:BYTE_0
	v_sub_u16_e32 v12, v14, v12
	v_lshlrev_b32_sdwa v10, v15, sext(v10) dst_sel:DWORD dst_unused:UNUSED_PAD src0_sel:DWORD src1_sel:WORD_0
	v_sub_u16_e32 v17, v14, v17
	v_ashrrev_i16_sdwa v14, v15, sext(v16) dst_sel:DWORD dst_unused:UNUSED_PAD src0_sel:DWORD src1_sel:BYTE_0
	v_sub_u16_e32 v21, v11, v21
	v_lshlrev_b32_sdwa v18, v15, sext(v18) dst_sel:DWORD dst_unused:UNUSED_PAD src0_sel:DWORD src1_sel:WORD_0
	v_sub_u16_e32 v11, v11, v23
	v_ashrrev_i16_sdwa v15, v15, sext(v22) dst_sel:DWORD dst_unused:UNUSED_PAD src0_sel:DWORD src1_sel:BYTE_0
	s_addc_u32 s9, s18, s9
	s_add_i32 s4, s7, 1
	v_and_b32_e32 v42, 4, v1
	v_mov_b32_e32 v1, 0
	v_bfe_i32 v2, v3, 0, 8
	v_lshlrev_b32_sdwa v44, v19, sext(v4) dst_sel:DWORD dst_unused:UNUSED_PAD src0_sel:DWORD src1_sel:WORD_0
	v_bfe_i32 v4, v5, 0, 8
	v_bfe_i32 v6, v7, 0, 8
	;; [unrolled: 1-line block ×4, first 2 shown]
	v_lshlrev_b32_sdwa v14, v19, sext(v14) dst_sel:DWORD dst_unused:UNUSED_PAD src0_sel:DWORD src1_sel:WORD_0
	v_bfe_i32 v16, v17, 0, 8
	v_bfe_i32 v20, v21, 0, 8
	v_lshlrev_b32_sdwa v22, v19, sext(v15) dst_sel:DWORD dst_unused:UNUSED_PAD src0_sel:DWORD src1_sel:WORD_0
	v_bfe_i32 v24, v11, 0, 8
	s_mul_i32 s5, s5, s4
	v_ashrrev_i32_e32 v3, 31, v2
	v_ashrrev_i32_e32 v5, 31, v4
	;; [unrolled: 1-line block ×3, first 2 shown]
	v_lshlrev_b32_sdwa v46, v19, sext(v9) dst_sel:DWORD dst_unused:UNUSED_PAD src0_sel:DWORD src1_sel:WORD_0
	v_ashrrev_i32_e32 v9, 31, v8
	v_ashrrev_i32_e32 v13, 31, v12
	;; [unrolled: 1-line block ×5, first 2 shown]
	v_mov_b32_e32 v11, v10
	v_mov_b32_e32 v15, v14
	;; [unrolled: 1-line block ×5, first 2 shown]
	v_lshl_add_u64 v[30:31], s[8:9], 0, v[30:31]
	s_add_i32 s12, s12, s5
	s_mov_b64 s[4:5], 0
	s_movk_i32 s13, 0x6e
	v_lshlrev_b32_e32 v0, 1, v26
	v_lshlrev_b32_e32 v32, 1, v32
	s_mov_b64 s[8:9], 0x900
	v_mov_b32_e32 v26, v1
	v_mov_b32_e32 v27, v1
.LBB110_9:                              ; =>This Inner Loop Header: Depth=1
	v_lshl_add_u64 v[34:35], v[30:31], 0, v[28:29]
	v_add_u32_e32 v47, s11, v41
	v_mov_b64_e32 v[36:37], s[16:17]
	v_mov_b32_e32 v33, v1
	v_add_u32_e32 v48, s12, v41
	global_load_dword v52, v[34:35], off offset:4
	global_load_dword v53, v[34:35], off offset:40
	;; [unrolled: 1-line block ×4, first 2 shown]
	v_mad_i64_i32 v[34:35], s[18:19], v47, s13, v[36:37]
	v_mad_i64_i32 v[36:37], s[18:19], v48, s13, v[36:37]
	v_lshl_add_u64 v[48:49], v[34:35], 0, v[32:33]
	v_lshl_add_u64 v[50:51], v[34:35], 0, v[2:3]
	global_load_dword v47, v[48:49], off
	global_load_ubyte v56, v[50:51], off offset:96
	v_lshl_add_u64 v[48:49], v[34:35], 0, v[4:5]
	global_load_ubyte v50, v[48:49], off offset:104
	v_lshl_add_u64 v[48:49], v[34:35], 0, v[6:7]
	;; [unrolled: 2-line block ×5, first 2 shown]
	global_load_dword v60, v[48:49], off offset:32
	v_lshl_add_u64 v[48:49], v[36:37], 0, v[32:33]
	global_load_dword v33, v[48:49], off
	v_lshl_add_u64 v[48:49], v[36:37], 0, v[2:3]
	global_load_ubyte v51, v[48:49], off offset:96
	v_lshl_add_u64 v[48:49], v[36:37], 0, v[4:5]
	global_load_ubyte v61, v[48:49], off offset:104
	v_lshl_add_u64 v[48:49], v[36:37], 0, v[0:1]
	global_load_dword v62, v[48:49], off offset:32
	v_add_u32_e32 v41, 8, v41
	v_cmp_le_u32_e32 vcc, s15, v41
	s_or_b64 s[4:5], vcc, s[4:5]
	s_waitcnt vmcnt(10)
	v_ashrrev_i32_e32 v47, v42, v47
	v_not_b32_e32 v47, v47
	v_lshlrev_b32_e32 v48, 2, v47
	v_and_b32_e32 v48, 0x4040404, v48
	s_waitcnt vmcnt(8)
	v_lshrrev_b32_e32 v50, v44, v50
	v_lshlrev_b32_e32 v50, 4, v50
	s_waitcnt vmcnt(7)
	v_bfe_u32 v57, v57, v45, 4
	s_waitcnt vmcnt(4)
	v_bfe_u32 v49, v60, 24, 2
	v_and_b32_e32 v63, 0x3030303, v60
	s_waitcnt vmcnt(3)
	v_ashrrev_i32_e32 v33, v42, v33
	v_not_b32_e32 v33, v33
	v_sub_u16_sdwa v49, v49, v48 dst_sel:BYTE_1 dst_unused:UNUSED_PAD src0_sel:DWORD src1_sel:BYTE_3
	v_sub_u16_e32 v64, v63, v48
	v_sub_u16_sdwa v65, v63, v48 dst_sel:BYTE_1 dst_unused:UNUSED_PAD src0_sel:BYTE_1 src1_sel:BYTE_1
	v_sub_u16_sdwa v48, v63, v48 dst_sel:DWORD dst_unused:UNUSED_PAD src0_sel:WORD_1 src1_sel:WORD_1
	v_lshlrev_b32_e32 v63, 2, v33
	v_and_b32_e32 v63, 0x4040404, v63
	s_waitcnt vmcnt(0)
	v_bfe_u32 v66, v62, 24, 2
	v_and_b32_e32 v67, 0x3030303, v62
	v_sub_u16_sdwa v66, v66, v63 dst_sel:BYTE_1 dst_unused:UNUSED_PAD src0_sel:DWORD src1_sel:BYTE_3
	v_sub_u16_e32 v68, v67, v63
	v_sub_u16_sdwa v69, v67, v63 dst_sel:BYTE_1 dst_unused:UNUSED_PAD src0_sel:BYTE_1 src1_sel:BYTE_1
	v_sub_u16_sdwa v63, v67, v63 dst_sel:DWORD dst_unused:UNUSED_PAD src0_sel:WORD_1 src1_sel:WORD_1
	v_or_b32_sdwa v64, v64, v65 dst_sel:DWORD dst_unused:UNUSED_PAD src0_sel:BYTE_0 src1_sel:DWORD
	v_or_b32_sdwa v48, v48, v49 dst_sel:WORD_1 dst_unused:UNUSED_PAD src0_sel:BYTE_0 src1_sel:DWORD
	v_or_b32_sdwa v49, v68, v69 dst_sel:DWORD dst_unused:UNUSED_PAD src0_sel:BYTE_0 src1_sel:DWORD
	v_or_b32_sdwa v63, v63, v66 dst_sel:WORD_1 dst_unused:UNUSED_PAD src0_sel:BYTE_0 src1_sel:DWORD
	v_or_b32_sdwa v48, v64, v48 dst_sel:DWORD dst_unused:UNUSED_PAD src0_sel:WORD_0 src1_sel:DWORD
	v_or_b32_sdwa v49, v49, v63 dst_sel:DWORD dst_unused:UNUSED_PAD src0_sel:WORD_0 src1_sel:DWORD
	v_mov_b32_e32 v63, v1
	v_dot4c_i32_i8_e32 v63, v48, v52
	v_mov_b32_e32 v48, v1
	v_dot4c_i32_i8_e32 v48, v49, v52
	v_lshrrev_b32_e32 v49, 2, v60
	v_lshlrev_b32_e32 v64, 1, v47
	v_and_b32_e32 v52, 0x3030303, v49
	v_bfe_u32 v49, v49, 24, 2
	v_and_b32_e32 v64, 0x4040404, v64
	v_sub_u16_sdwa v49, v49, v64 dst_sel:BYTE_1 dst_unused:UNUSED_PAD src0_sel:DWORD src1_sel:BYTE_3
	v_sub_u16_e32 v65, v52, v64
	v_sub_u16_sdwa v66, v52, v64 dst_sel:BYTE_1 dst_unused:UNUSED_PAD src0_sel:BYTE_1 src1_sel:BYTE_1
	v_sub_u16_sdwa v52, v52, v64 dst_sel:DWORD dst_unused:UNUSED_PAD src0_sel:WORD_1 src1_sel:WORD_1
	v_lshrrev_b32_e32 v64, 2, v62
	v_lshlrev_b32_e32 v68, 1, v33
	v_and_b32_e32 v67, 0x3030303, v64
	v_bfe_u32 v64, v64, 24, 2
	v_and_b32_e32 v68, 0x4040404, v68
	v_sub_u16_sdwa v64, v64, v68 dst_sel:BYTE_1 dst_unused:UNUSED_PAD src0_sel:DWORD src1_sel:BYTE_3
	v_sub_u16_e32 v69, v67, v68
	v_sub_u16_sdwa v70, v67, v68 dst_sel:BYTE_1 dst_unused:UNUSED_PAD src0_sel:BYTE_1 src1_sel:BYTE_1
	v_sub_u16_sdwa v67, v67, v68 dst_sel:DWORD dst_unused:UNUSED_PAD src0_sel:WORD_1 src1_sel:WORD_1
	v_or_b32_sdwa v65, v65, v66 dst_sel:DWORD dst_unused:UNUSED_PAD src0_sel:BYTE_0 src1_sel:DWORD
	v_or_b32_sdwa v49, v52, v49 dst_sel:WORD_1 dst_unused:UNUSED_PAD src0_sel:BYTE_0 src1_sel:DWORD
	v_or_b32_sdwa v52, v69, v70 dst_sel:DWORD dst_unused:UNUSED_PAD src0_sel:BYTE_0 src1_sel:DWORD
	v_or_b32_sdwa v64, v67, v64 dst_sel:WORD_1 dst_unused:UNUSED_PAD src0_sel:BYTE_0 src1_sel:DWORD
	v_or_b32_sdwa v49, v65, v49 dst_sel:DWORD dst_unused:UNUSED_PAD src0_sel:WORD_0 src1_sel:DWORD
	v_or_b32_sdwa v52, v52, v64 dst_sel:DWORD dst_unused:UNUSED_PAD src0_sel:WORD_0 src1_sel:DWORD
	v_mov_b32_e32 v64, v1
	v_dot4c_i32_i8_e32 v64, v49, v53
	v_bfe_u32 v49, v51, v43, 4
	v_lshrrev_b32_e32 v51, v44, v61
	v_lshlrev_b32_e32 v51, 4, v51
	v_and_or_b32 v49, v51, 48, v49
	v_bfe_u32 v51, v56, v43, 4
	v_and_or_b32 v50, v50, 48, v51
	v_subrev_u32_e32 v50, 32, v50
	v_subrev_u32_e32 v49, 32, v49
	v_mov_b32_e32 v65, v1
	v_mul_lo_u32 v50, v50, v63
	v_mul_lo_u32 v48, v49, v48
	v_dot4c_i32_i8_e32 v65, v52, v53
	v_cvt_f32_i32_e32 v49, v48
	v_cvt_f32_i32_e32 v48, v50
	global_load_dword v50, v[30:31], off
	global_load_dword v52, v[30:31], off offset:36
	global_load_dword v53, v[30:31], off offset:72
	;; [unrolled: 1-line block ×3, first 2 shown]
	v_lshl_add_u64 v[30:31], v[30:31], 0, s[8:9]
	s_waitcnt vmcnt(3)
	v_cvt_f32_f16_e32 v50, v50
	s_waitcnt vmcnt(2)
	v_cvt_f32_f16_e32 v52, v52
	v_pk_fma_f32 v[48:49], v[50:51], v[48:49], 0 op_sel_hi:[0,1,0]
	v_lshl_add_u64 v[50:51], v[36:37], 0, v[8:9]
	global_load_ubyte v61, v[50:51], off offset:104
	v_lshl_add_u64 v[50:51], v[36:37], 0, v[6:7]
	global_load_ubyte v63, v[50:51], off offset:96
	;; [unrolled: 2-line block ×6, first 2 shown]
	s_waitcnt vmcnt(5)
	v_lshrrev_b32_e32 v50, v46, v61
	v_lshlrev_b32_e32 v50, 4, v50
	s_waitcnt vmcnt(4)
	v_bfe_u32 v51, v63, v45, 4
	v_and_or_b32 v50, v50, 48, v51
	v_lshrrev_b32_e32 v51, v46, v58
	v_lshlrev_b32_e32 v51, 4, v51
	v_and_or_b32 v51, v51, 48, v57
	v_subrev_u32_e32 v51, 32, v51
	v_subrev_u32_e32 v50, 32, v50
	v_mul_lo_u32 v57, v51, v64
	v_mul_lo_u32 v50, v50, v65
	v_cvt_f32_i32_e32 v51, v50
	v_cvt_f32_i32_e32 v50, v57
	v_and_b32_e32 v63, 0x4040404, v33
	v_lshrrev_b32_e32 v33, 1, v33
	v_and_b32_e32 v33, 0x4040404, v33
	v_pk_fma_f32 v[48:49], v[52:53], v[50:51], v[48:49] op_sel_hi:[0,1,1]
	v_lshrrev_b32_e32 v50, 4, v60
	v_and_b32_e32 v51, 0x3030303, v50
	v_bfe_u32 v50, v50, 24, 2
	v_and_b32_e32 v52, 0x4040404, v47
	v_sub_u16_sdwa v50, v50, v52 dst_sel:BYTE_1 dst_unused:UNUSED_PAD src0_sel:DWORD src1_sel:BYTE_3
	v_sub_u16_e32 v57, v51, v52
	v_sub_u16_sdwa v58, v51, v52 dst_sel:BYTE_1 dst_unused:UNUSED_PAD src0_sel:BYTE_1 src1_sel:BYTE_1
	v_sub_u16_sdwa v51, v51, v52 dst_sel:DWORD dst_unused:UNUSED_PAD src0_sel:WORD_1 src1_sel:WORD_1
	v_lshrrev_b32_e32 v52, 4, v62
	v_and_b32_e32 v61, 0x3030303, v52
	v_bfe_u32 v52, v52, 24, 2
	v_sub_u16_sdwa v52, v52, v63 dst_sel:BYTE_1 dst_unused:UNUSED_PAD src0_sel:DWORD src1_sel:BYTE_3
	v_sub_u16_e32 v64, v61, v63
	v_sub_u16_sdwa v65, v61, v63 dst_sel:BYTE_1 dst_unused:UNUSED_PAD src0_sel:BYTE_1 src1_sel:BYTE_1
	v_sub_u16_sdwa v61, v61, v63 dst_sel:DWORD dst_unused:UNUSED_PAD src0_sel:WORD_1 src1_sel:WORD_1
	v_or_b32_sdwa v57, v57, v58 dst_sel:DWORD dst_unused:UNUSED_PAD src0_sel:BYTE_0 src1_sel:DWORD
	v_or_b32_sdwa v50, v51, v50 dst_sel:WORD_1 dst_unused:UNUSED_PAD src0_sel:BYTE_0 src1_sel:DWORD
	v_or_b32_sdwa v51, v64, v65 dst_sel:DWORD dst_unused:UNUSED_PAD src0_sel:BYTE_0 src1_sel:DWORD
	v_or_b32_sdwa v52, v61, v52 dst_sel:WORD_1 dst_unused:UNUSED_PAD src0_sel:BYTE_0 src1_sel:DWORD
	v_or_b32_sdwa v50, v57, v50 dst_sel:DWORD dst_unused:UNUSED_PAD src0_sel:WORD_0 src1_sel:DWORD
	v_or_b32_sdwa v51, v51, v52 dst_sel:DWORD dst_unused:UNUSED_PAD src0_sel:WORD_0 src1_sel:DWORD
	v_mov_b32_e32 v52, v1
	v_dot4c_i32_i8_e32 v52, v50, v54
	v_mov_b32_e32 v50, v1
	v_dot4c_i32_i8_e32 v50, v51, v54
	v_lshrrev_b32_e32 v51, 6, v60
	v_lshrrev_b32_e32 v47, 1, v47
	v_lshrrev_b32_e32 v54, 30, v60
	v_and_b32_e32 v51, 0x3030303, v51
	v_and_b32_e32 v47, 0x4040404, v47
	v_sub_u16_sdwa v54, v54, v47 dst_sel:BYTE_1 dst_unused:UNUSED_PAD src0_sel:DWORD src1_sel:BYTE_3
	v_sub_u16_e32 v57, v51, v47
	v_sub_u16_sdwa v58, v51, v47 dst_sel:BYTE_1 dst_unused:UNUSED_PAD src0_sel:BYTE_1 src1_sel:BYTE_1
	v_sub_u16_sdwa v47, v51, v47 dst_sel:DWORD dst_unused:UNUSED_PAD src0_sel:WORD_1 src1_sel:WORD_1
	v_lshrrev_b32_e32 v51, 6, v62
	v_lshrrev_b32_e32 v60, 30, v62
	v_and_b32_e32 v51, 0x3030303, v51
	v_sub_u16_sdwa v60, v60, v33 dst_sel:BYTE_1 dst_unused:UNUSED_PAD src0_sel:DWORD src1_sel:BYTE_3
	v_sub_u16_e32 v61, v51, v33
	v_sub_u16_sdwa v62, v51, v33 dst_sel:BYTE_1 dst_unused:UNUSED_PAD src0_sel:BYTE_1 src1_sel:BYTE_1
	v_sub_u16_sdwa v33, v51, v33 dst_sel:DWORD dst_unused:UNUSED_PAD src0_sel:WORD_1 src1_sel:WORD_1
	v_or_b32_sdwa v51, v57, v58 dst_sel:DWORD dst_unused:UNUSED_PAD src0_sel:BYTE_0 src1_sel:DWORD
	v_or_b32_sdwa v47, v47, v54 dst_sel:WORD_1 dst_unused:UNUSED_PAD src0_sel:BYTE_0 src1_sel:DWORD
	v_or_b32_sdwa v54, v61, v62 dst_sel:DWORD dst_unused:UNUSED_PAD src0_sel:BYTE_0 src1_sel:DWORD
	v_or_b32_sdwa v33, v33, v60 dst_sel:WORD_1 dst_unused:UNUSED_PAD src0_sel:BYTE_0 src1_sel:DWORD
	v_or_b32_sdwa v47, v51, v47 dst_sel:DWORD dst_unused:UNUSED_PAD src0_sel:WORD_0 src1_sel:DWORD
	v_mov_b32_e32 v51, v1
	v_or_b32_sdwa v33, v54, v33 dst_sel:DWORD dst_unused:UNUSED_PAD src0_sel:WORD_0 src1_sel:DWORD
	v_dot4c_i32_i8_e32 v51, v47, v55
	v_mov_b32_e32 v47, v1
	v_dot4c_i32_i8_e32 v47, v33, v55
	global_load_ushort v33, v[36:37], off offset:108
	v_lshl_add_u64 v[36:37], v[34:35], 0, v[16:17]
	global_load_ubyte v54, v[36:37], off offset:104
	v_lshl_add_u64 v[36:37], v[34:35], 0, v[20:21]
	global_load_ubyte v55, v[36:37], off offset:96
	global_load_ushort v57, v[34:35], off offset:108
	v_lshl_add_u64 v[34:35], v[34:35], 0, v[24:25]
	global_load_ubyte v36, v[34:35], off offset:104
	s_waitcnt vmcnt(7)
	v_lshrrev_b32_e32 v37, v15, v67
	v_lshlrev_b32_e32 v37, 4, v37
	s_waitcnt vmcnt(4)
	v_cvt_f32_f16_e32 v35, v33
	v_bfe_u32 v33, v66, v11, 4
	v_and_or_b32 v33, v37, 48, v33
	s_waitcnt vmcnt(3)
	v_lshrrev_b32_e32 v54, v14, v54
	s_waitcnt vmcnt(1)
	v_cvt_f32_f16_e32 v34, v57
	v_bfe_u32 v37, v59, v10, 4
	s_waitcnt vmcnt(0)
	v_lshrrev_b32_e32 v36, v22, v36
	v_lshlrev_b32_e32 v54, 4, v54
	v_lshrrev_b32_e32 v57, v23, v69
	v_bfe_u32 v55, v55, v18, 4
	v_lshlrev_b32_e32 v36, 4, v36
	v_subrev_u32_e32 v33, 32, v33
	v_and_or_b32 v37, v54, 48, v37
	v_bfe_u32 v54, v68, v19, 4
	v_lshlrev_b32_e32 v57, 4, v57
	v_and_or_b32 v55, v36, 48, v55
	v_mul_lo_u32 v33, v33, v50
	v_and_or_b32 v54, v57, 48, v54
	v_subrev_u32_e32 v36, 32, v37
	v_cvt_f32_i32_e32 v37, v33
	v_subrev_u32_e32 v33, 32, v55
	v_mul_lo_u32 v36, v36, v52
	v_mul_lo_u32 v33, v33, v51
	v_subrev_u32_e32 v51, 32, v54
	v_cvt_f32_i32_e32 v36, v36
	v_cvt_f32_f16_e32 v50, v53
	v_mul_lo_u32 v47, v51, v47
	v_cvt_f32_i32_e32 v53, v47
	v_cvt_f32_i32_e32 v52, v33
	v_cvt_f32_f16_e32 v54, v56
	v_pk_fma_f32 v[36:37], v[50:51], v[36:37], v[48:49] op_sel_hi:[0,1,1]
	v_pk_fma_f32 v[36:37], v[54:55], v[52:53], v[36:37] op_sel_hi:[0,1,1]
	v_pk_fma_f32 v[26:27], v[36:37], v[34:35], v[26:27]
	s_andn2_b64 exec, exec, s[4:5]
	s_cbranch_execnz .LBB110_9
; %bb.10:
	s_or_b64 exec, exec, s[4:5]
	ds_write2_b32 v38, v26, v27 offset1:1
.LBB110_11:
	s_or_b64 exec, exec, s[0:1]
	v_cmp_eq_u32_e32 vcc, 0, v40
	v_cmp_ne_u32_e64 s[0:1], 0, v40
	v_lshlrev_b32_e32 v0, 2, v39
	s_and_saveexec_b64 s[4:5], s[0:1]
	s_cbranch_execz .LBB110_13
; %bb.12:
	v_lshl_or_b32 v1, v40, 9, v0
	v_add_u32_e32 v1, 0xfffffe00, v1
	ds_write2st64_b32 v1, v26, v27 offset1:1
.LBB110_13:
	s_or_b64 exec, exec, s[4:5]
	s_waitcnt lgkmcnt(0)
	s_barrier
	s_and_saveexec_b64 s[0:1], vcc
	s_cbranch_execz .LBB110_16
; %bb.14:
	v_mbcnt_lo_u32_b32 v1, -1, 0
	v_mbcnt_hi_u32_b32 v1, -1, v1
	v_and_b32_e32 v2, 64, v1
	v_add_u32_e32 v6, 64, v2
	ds_read2st64_b32 v[2:3], v0 offset1:1
	ds_read2_b32 v[4:5], v38 offset1:1
	v_xor_b32_e32 v7, 32, v1
	v_cmp_lt_i32_e32 vcc, v7, v6
	s_load_dword s0, s[2:3], 0x58
	s_mov_b32 s5, 0
	v_cndmask_b32_e32 v7, v1, v7, vcc
	v_lshlrev_b32_e32 v7, 2, v7
	s_waitcnt lgkmcnt(0)
	v_pk_add_f32 v[2:3], v[2:3], v[4:5]
	ds_bpermute_b32 v4, v7, v2
	ds_bpermute_b32 v5, v7, v3
	v_xor_b32_e32 v7, 16, v1
	v_cmp_lt_i32_e32 vcc, v7, v6
	s_waitcnt lgkmcnt(0)
	v_pk_add_f32 v[2:3], v[2:3], v[4:5]
	v_cndmask_b32_e32 v7, v1, v7, vcc
	v_lshlrev_b32_e32 v7, 2, v7
	ds_bpermute_b32 v4, v7, v2
	ds_bpermute_b32 v5, v7, v3
	v_xor_b32_e32 v7, 8, v1
	v_cmp_lt_i32_e32 vcc, v7, v6
	s_waitcnt lgkmcnt(0)
	v_pk_add_f32 v[2:3], v[2:3], v[4:5]
	v_cndmask_b32_e32 v7, v1, v7, vcc
	v_lshlrev_b32_e32 v7, 2, v7
	;; [unrolled: 8-line block ×5, first 2 shown]
	ds_bpermute_b32 v4, v1, v2
	ds_bpermute_b32 v5, v1, v3
	v_or_b32_e32 v1, s7, v39
	v_cmp_gt_u32_e32 vcc, 2, v39
	v_cmp_gt_u32_e64 s[0:1], s0, v1
	s_and_b64 s[0:1], vcc, s[0:1]
	s_waitcnt lgkmcnt(0)
	v_pk_add_f32 v[2:3], v[2:3], v[4:5]
	ds_write2_b32 v38, v2, v3 offset1:1
	s_and_b64 exec, exec, s[0:1]
	s_cbranch_execz .LBB110_16
; %bb.15:
	s_load_dwordx2 s[0:1], s[2:3], 0x38
	s_mul_i32 s2, s20, s10
	v_add_u32_e32 v1, v38, v0
	s_add_i32 s2, s2, s7
	s_mul_i32 s6, s6, s14
	ds_read_b32 v1, v1
	s_add_i32 s4, s2, s6
	s_lshl_b64 s[2:3], s[4:5], 2
	s_waitcnt lgkmcnt(0)
	s_add_u32 s0, s0, s2
	s_addc_u32 s1, s1, s3
	global_store_dword v0, v1, s[0:1]
.LBB110_16:
	s_endpgm
	.section	.rodata,"a",@progbits
	.p2align	6, 0x0
	.amdhsa_kernel _ZL13mul_mat_vec_qIL9ggml_type11ELi1ELb0ELb1EEvPKvS2_PKi31ggml_cuda_mm_fusion_args_devicePfj15HIP_vector_typeIjLj3EEjjjS8_jjjS8_jjjj
		.amdhsa_group_segment_fixed_size 1536
		.amdhsa_private_segment_fixed_size 0
		.amdhsa_kernarg_size 144
		.amdhsa_user_sgpr_count 4
		.amdhsa_user_sgpr_dispatch_ptr 1
		.amdhsa_user_sgpr_queue_ptr 0
		.amdhsa_user_sgpr_kernarg_segment_ptr 1
		.amdhsa_user_sgpr_dispatch_id 0
		.amdhsa_user_sgpr_kernarg_preload_length 0
		.amdhsa_user_sgpr_kernarg_preload_offset 0
		.amdhsa_user_sgpr_private_segment_size 0
		.amdhsa_uses_dynamic_stack 0
		.amdhsa_enable_private_segment 0
		.amdhsa_system_sgpr_workgroup_id_x 1
		.amdhsa_system_sgpr_workgroup_id_y 1
		.amdhsa_system_sgpr_workgroup_id_z 1
		.amdhsa_system_sgpr_workgroup_info 0
		.amdhsa_system_vgpr_workitem_id 2
		.amdhsa_next_free_vgpr 71
		.amdhsa_next_free_sgpr 24
		.amdhsa_accum_offset 72
		.amdhsa_reserve_vcc 1
		.amdhsa_float_round_mode_32 0
		.amdhsa_float_round_mode_16_64 0
		.amdhsa_float_denorm_mode_32 3
		.amdhsa_float_denorm_mode_16_64 3
		.amdhsa_dx10_clamp 1
		.amdhsa_ieee_mode 1
		.amdhsa_fp16_overflow 0
		.amdhsa_tg_split 0
		.amdhsa_exception_fp_ieee_invalid_op 0
		.amdhsa_exception_fp_denorm_src 0
		.amdhsa_exception_fp_ieee_div_zero 0
		.amdhsa_exception_fp_ieee_overflow 0
		.amdhsa_exception_fp_ieee_underflow 0
		.amdhsa_exception_fp_ieee_inexact 0
		.amdhsa_exception_int_div_zero 0
	.end_amdhsa_kernel
	.section	.text._ZL13mul_mat_vec_qIL9ggml_type11ELi1ELb0ELb1EEvPKvS2_PKi31ggml_cuda_mm_fusion_args_devicePfj15HIP_vector_typeIjLj3EEjjjS8_jjjS8_jjjj,"axG",@progbits,_ZL13mul_mat_vec_qIL9ggml_type11ELi1ELb0ELb1EEvPKvS2_PKi31ggml_cuda_mm_fusion_args_devicePfj15HIP_vector_typeIjLj3EEjjjS8_jjjS8_jjjj,comdat
.Lfunc_end110:
	.size	_ZL13mul_mat_vec_qIL9ggml_type11ELi1ELb0ELb1EEvPKvS2_PKi31ggml_cuda_mm_fusion_args_devicePfj15HIP_vector_typeIjLj3EEjjjS8_jjjS8_jjjj, .Lfunc_end110-_ZL13mul_mat_vec_qIL9ggml_type11ELi1ELb0ELb1EEvPKvS2_PKi31ggml_cuda_mm_fusion_args_devicePfj15HIP_vector_typeIjLj3EEjjjS8_jjjS8_jjjj
                                        ; -- End function
	.section	.AMDGPU.csdata,"",@progbits
; Kernel info:
; codeLenInByte = 3160
; NumSgprs: 30
; NumVgprs: 71
; NumAgprs: 0
; TotalNumVgprs: 71
; ScratchSize: 0
; MemoryBound: 0
; FloatMode: 240
; IeeeMode: 1
; LDSByteSize: 1536 bytes/workgroup (compile time only)
; SGPRBlocks: 3
; VGPRBlocks: 8
; NumSGPRsForWavesPerEU: 30
; NumVGPRsForWavesPerEU: 71
; AccumOffset: 72
; Occupancy: 7
; WaveLimiterHint : 0
; COMPUTE_PGM_RSRC2:SCRATCH_EN: 0
; COMPUTE_PGM_RSRC2:USER_SGPR: 4
; COMPUTE_PGM_RSRC2:TRAP_HANDLER: 0
; COMPUTE_PGM_RSRC2:TGID_X_EN: 1
; COMPUTE_PGM_RSRC2:TGID_Y_EN: 1
; COMPUTE_PGM_RSRC2:TGID_Z_EN: 1
; COMPUTE_PGM_RSRC2:TIDIG_COMP_CNT: 2
; COMPUTE_PGM_RSRC3_GFX90A:ACCUM_OFFSET: 17
; COMPUTE_PGM_RSRC3_GFX90A:TG_SPLIT: 0
	.section	.text._ZL13mul_mat_vec_qIL9ggml_type11ELi1ELb1ELb0EEvPKvS2_PKi31ggml_cuda_mm_fusion_args_devicePfj15HIP_vector_typeIjLj3EEjjjS8_jjjS8_jjjj,"axG",@progbits,_ZL13mul_mat_vec_qIL9ggml_type11ELi1ELb1ELb0EEvPKvS2_PKi31ggml_cuda_mm_fusion_args_devicePfj15HIP_vector_typeIjLj3EEjjjS8_jjjS8_jjjj,comdat
	.globl	_ZL13mul_mat_vec_qIL9ggml_type11ELi1ELb1ELb0EEvPKvS2_PKi31ggml_cuda_mm_fusion_args_devicePfj15HIP_vector_typeIjLj3EEjjjS8_jjjS8_jjjj ; -- Begin function _ZL13mul_mat_vec_qIL9ggml_type11ELi1ELb1ELb0EEvPKvS2_PKi31ggml_cuda_mm_fusion_args_devicePfj15HIP_vector_typeIjLj3EEjjjS8_jjjS8_jjjj
	.p2align	8
	.type	_ZL13mul_mat_vec_qIL9ggml_type11ELi1ELb1ELb0EEvPKvS2_PKi31ggml_cuda_mm_fusion_args_devicePfj15HIP_vector_typeIjLj3EEjjjS8_jjjS8_jjjj,@function
_ZL13mul_mat_vec_qIL9ggml_type11ELi1ELb1ELb0EEvPKvS2_PKi31ggml_cuda_mm_fusion_args_devicePfj15HIP_vector_typeIjLj3EEjjjS8_jjjS8_jjjj: ; @_ZL13mul_mat_vec_qIL9ggml_type11ELi1ELb1ELb0EEvPKvS2_PKi31ggml_cuda_mm_fusion_args_devicePfj15HIP_vector_typeIjLj3EEjjjS8_jjjS8_jjjj
; %bb.0:
	s_load_dwordx8 s[8:15], s[0:1], 0x0
	s_load_dwordx4 s[24:27], s[0:1], 0x20
	s_load_dwordx4 s[28:31], s[0:1], 0x40
	;; [unrolled: 1-line block ×3, first 2 shown]
	s_mov_b32 s34, s3
	s_waitcnt lgkmcnt(0)
	s_cmp_lg_u64 s[12:13], 0
	s_cselect_b64 s[6:7], -1, 0
	s_cmp_eq_u64 s[12:13], 0
	s_mov_b64 s[20:21], 0
	s_cbranch_scc1 .LBB111_5
; %bb.1:
	s_mov_b32 s35, 0
	s_lshl_b64 s[22:23], s[34:35], 2
	s_add_u32 s12, s12, s22
	s_addc_u32 s13, s13, s23
	s_load_dword s5, s[12:13], 0x0
	s_load_dword s33, s[0:1], 0x50
	s_load_dword s35, s[0:1], 0x78
	s_andn2_b64 vcc, exec, s[20:21]
	s_cbranch_vccnz .LBB111_3
.LBB111_2:
	s_load_dwordx2 s[12:13], s[0:1], 0x5c
	s_waitcnt lgkmcnt(0)
	s_mul_hi_u32 s3, s12, s34
	s_add_i32 s3, s34, s3
	s_lshr_b32 s5, s3, s13
.LBB111_3:
	s_andn2_b64 vcc, exec, s[6:7]
	s_cbranch_vccnz .LBB111_6
; %bb.4:
	s_mul_hi_u32 s3, s29, s34
	s_add_i32 s3, s34, s3
	s_lshr_b32 s3, s3, s30
	s_mul_i32 s3, s3, s31
	s_sub_i32 s29, s34, s3
	s_waitcnt lgkmcnt(0)
	s_mov_b32 s3, s5
	s_branch .LBB111_7
.LBB111_5:
                                        ; implicit-def: $sgpr5
	s_load_dword s33, s[0:1], 0x50
	s_load_dword s35, s[0:1], 0x78
	s_branch .LBB111_2
.LBB111_6:
	s_mov_b32 s3, s34
	s_mov_b32 s29, s34
.LBB111_7:
	s_load_dwordx4 s[20:23], s[0:1], 0x80
	v_bfe_u32 v29, v0, 10, 10
	v_and_b32_e32 v26, 0x3ff, v0
	s_cmp_lg_u64 s[14:15], 0
	v_or_b32_e32 v0, v29, v26
	s_cselect_b64 s[12:13], -1, 0
	v_cmp_eq_u32_e32 vcc, 0, v0
	s_mov_b32 s37, 0
	s_and_b64 s[38:39], vcc, s[12:13]
	v_mov_b32_e32 v27, 0
	s_mul_i32 s30, s3, s18
	v_lshlrev_b32_e32 v3, 2, v26
	v_mov_b32_e32 v28, 0
	s_and_saveexec_b64 s[6:7], s[38:39]
	s_cbranch_execz .LBB111_9
; %bb.8:
	s_waitcnt lgkmcnt(0)
	s_mul_i32 s36, s4, s22
	s_lshl_b64 s[38:39], s[36:37], 2
	s_add_u32 s3, s14, s38
	s_mov_b32 s31, s37
	s_addc_u32 s23, s15, s39
	s_lshl_b64 s[14:15], s[30:31], 2
	s_add_u32 s31, s3, s14
	s_addc_u32 s23, s23, s15
	s_ashr_i32 s3, s2, 31
	s_lshl_b64 s[14:15], s[2:3], 2
	s_add_u32 s14, s31, s14
	s_addc_u32 s15, s23, s15
	global_load_dword v28, v3, s[14:15]
.LBB111_9:
	s_or_b64 exec, exec, s[6:7]
	s_cmp_lg_u64 s[24:25], 0
	s_cselect_b64 s[14:15], -1, 0
	s_cmp_lg_u64 s[26:27], 0
	s_cselect_b64 s[6:7], -1, 0
	s_and_b64 s[36:37], s[6:7], s[14:15]
	s_and_b64 s[38:39], vcc, s[36:37]
	s_and_saveexec_b64 s[36:37], s[38:39]
	s_cbranch_execz .LBB111_11
; %bb.10:
	s_waitcnt lgkmcnt(0)
	s_mul_i32 s38, s4, s22
	s_mov_b32 s39, 0
	s_lshl_b64 s[40:41], s[38:39], 2
	s_add_u32 s3, s26, s40
	s_mov_b32 s31, s39
	s_addc_u32 s23, s27, s41
	s_lshl_b64 s[26:27], s[30:31], 2
	s_add_u32 s30, s3, s26
	s_addc_u32 s23, s23, s27
	s_ashr_i32 s3, s2, 31
	s_lshl_b64 s[26:27], s[2:3], 2
	s_add_u32 s26, s30, s26
	s_addc_u32 s27, s23, s27
	global_load_dword v27, v3, s[26:27]
.LBB111_11:
	s_or_b64 exec, exec, s[36:37]
	v_lshl_add_u32 v22, v29, 6, v26
	s_lshr_b32 s3, s28, 8
	v_lshrrev_b32_e32 v30, 4, v22
	v_cmp_gt_u32_e32 vcc, s3, v30
	v_mov_b32_e32 v38, 0
	v_mov_b32_e32 v32, 0
	s_and_saveexec_b64 s[26:27], vcc
	s_cbranch_execz .LBB111_17
; %bb.12:
	v_and_b32_e32 v4, 15, v26
	v_cmp_lt_u32_e32 vcc, 7, v4
	v_lshlrev_b32_e32 v2, 1, v4
	v_mov_b32_e32 v17, 7
	v_cndmask_b32_e64 v0, 0, 1, vcc
	v_lshlrev_b32_e32 v31, 2, v0
	v_add_u32_e32 v0, -8, v4
	v_cmp_gt_u32_e32 vcc, 8, v4
	v_mov_b32_e32 v18, 5
	v_mov_b32_e32 v21, 6
	v_cndmask_b32_e32 v0, v0, v4, vcc
	v_sub_u32_e32 v4, v4, v0
	v_cmp_lt_u32_e32 vcc, 3, v0
	v_mov_b32_e32 v20, 2
	v_mov_b32_e32 v23, 1
	v_addc_co_u32_e32 v16, vcc, 0, v4, vcc
	v_add_u16_e32 v10, 2, v16
	v_lshrrev_b16_sdwa v11, v17, sext(v10) dst_sel:DWORD dst_unused:UNUSED_PAD src0_sel:DWORD src1_sel:BYTE_0
	v_lshrrev_b16_sdwa v8, v18, v11 dst_sel:DWORD dst_unused:UNUSED_PAD src0_sel:DWORD src1_sel:BYTE_0
	v_lshrrev_b16_sdwa v11, v21, v11 dst_sel:DWORD dst_unused:UNUSED_PAD src0_sel:DWORD src1_sel:BYTE_0
	v_add_u16_e32 v11, v10, v11
	v_add_u16_e32 v14, 4, v16
	v_ashrrev_i16_sdwa v12, v20, sext(v11) dst_sel:DWORD dst_unused:UNUSED_PAD src0_sel:DWORD src1_sel:BYTE_0
	v_lshrrev_b16_sdwa v15, v17, sext(v14) dst_sel:DWORD dst_unused:UNUSED_PAD src0_sel:DWORD src1_sel:BYTE_0
	v_lshlrev_b32_sdwa v36, v23, sext(v12) dst_sel:DWORD dst_unused:UNUSED_PAD src0_sel:DWORD src1_sel:WORD_0
	v_lshrrev_b16_sdwa v12, v18, v15 dst_sel:DWORD dst_unused:UNUSED_PAD src0_sel:DWORD src1_sel:BYTE_0
	v_lshrrev_b16_sdwa v15, v21, v15 dst_sel:DWORD dst_unused:UNUSED_PAD src0_sel:DWORD src1_sel:BYTE_0
	v_lshrrev_b16_sdwa v6, v17, sext(v16) dst_sel:DWORD dst_unused:UNUSED_PAD src0_sel:DWORD src1_sel:BYTE_0
	v_add_u16_e32 v15, v14, v15
	v_lshrrev_b16_sdwa v4, v18, v6 dst_sel:DWORD dst_unused:UNUSED_PAD src0_sel:DWORD src1_sel:BYTE_0
	v_lshrrev_b16_sdwa v6, v21, v6 dst_sel:DWORD dst_unused:UNUSED_PAD src0_sel:DWORD src1_sel:BYTE_0
	v_lshrrev_b16_sdwa v25, v20, sext(v15) dst_sel:DWORD dst_unused:UNUSED_PAD src0_sel:DWORD src1_sel:BYTE_0
	v_add_u16_e32 v4, v16, v4
	v_mov_b32_e32 v19, 3
	v_add_u16_e32 v6, v16, v6
	v_lshlrev_b32_sdwa v39, v23, v25 dst_sel:DWORD dst_unused:UNUSED_PAD src0_sel:DWORD src1_sel:BYTE_0
	v_add_u16_e32 v25, 6, v16
	s_waitcnt lgkmcnt(0)
	s_mul_i32 s23, s29, s17
	s_mul_hi_u32 s17, s19, s4
	v_lshrrev_b16_sdwa v5, v19, sext(v4) dst_sel:DWORD dst_unused:UNUSED_PAD src0_sel:DWORD src1_sel:BYTE_0
	v_and_b32_e32 v4, 0xf8, v4
	v_ashrrev_i16_sdwa v7, v20, sext(v6) dst_sel:DWORD dst_unused:UNUSED_PAD src0_sel:DWORD src1_sel:BYTE_0
	v_and_b32_e32 v6, 0xfc, v6
	v_lshrrev_b16_sdwa v32, v17, sext(v25) dst_sel:DWORD dst_unused:UNUSED_PAD src0_sel:DWORD src1_sel:BYTE_0
	s_add_i32 s17, s4, s17
	v_sub_u16_e32 v4, v16, v4
	v_sub_u16_e32 v6, v16, v6
	v_lshrrev_b16_sdwa v16, v18, v32 dst_sel:DWORD dst_unused:UNUSED_PAD src0_sel:DWORD src1_sel:BYTE_0
	v_lshrrev_b16_sdwa v18, v21, v32 dst_sel:DWORD dst_unused:UNUSED_PAD src0_sel:DWORD src1_sel:BYTE_0
	s_lshr_b32 s17, s17, s35
	v_add_u16_e32 v8, v10, v8
	v_add_u16_e32 v12, v14, v12
	;; [unrolled: 1-line block ×4, first 2 shown]
	s_mul_i32 s5, s5, s16
	s_mul_i32 s16, s17, s20
	v_mov_b32_e32 v1, 0
	v_lshrrev_b16_sdwa v9, v19, sext(v8) dst_sel:DWORD dst_unused:UNUSED_PAD src0_sel:DWORD src1_sel:BYTE_0
	v_lshrrev_b16_sdwa v13, v19, sext(v12) dst_sel:DWORD dst_unused:UNUSED_PAD src0_sel:DWORD src1_sel:BYTE_0
	;; [unrolled: 1-line block ×4, first 2 shown]
	v_lshlrev_b32_e32 v24, 1, v0
	v_lshlrev_b32_sdwa v33, v20, v5 dst_sel:DWORD dst_unused:UNUSED_PAD src0_sel:DWORD src1_sel:BYTE_0
	v_lshlrev_b32_sdwa v34, v23, sext(v7) dst_sel:DWORD dst_unused:UNUSED_PAD src0_sel:DWORD src1_sel:WORD_0
	v_lshlrev_b32_sdwa v35, v20, v9 dst_sel:DWORD dst_unused:UNUSED_PAD src0_sel:DWORD src1_sel:BYTE_0
	v_lshlrev_b32_sdwa v37, v20, v13 dst_sel:DWORD dst_unused:UNUSED_PAD src0_sel:DWORD src1_sel:BYTE_0
	;; [unrolled: 1-line block ×4, first 2 shown]
	s_add_i32 s5, s16, s5
	v_lshlrev_b64 v[20:21], 2, v[0:1]
	v_lshrrev_b32_e32 v0, 4, v22
	v_mul_hi_u32_u24_e32 v23, 36, v31
	v_mul_u32_u24_e32 v22, 36, v31
	s_movk_i32 s16, 0x120
	s_mul_i32 s21, s4, s21
	s_mul_i32 s19, s2, s33
	v_mad_u64_u32 v[22:23], s[16:17], v0, s16, v[22:23]
	s_add_i32 s5, s5, s19
	s_mul_hi_u32 s17, s21, 36
	s_mul_i32 s21, s21, 36
	s_add_u32 s10, s10, s21
	v_and_b32_e32 v8, 0xf8, v8
	v_and_b32_e32 v11, 0xfc, v11
	;; [unrolled: 1-line block ×6, first 2 shown]
	s_mul_hi_u32 s16, s23, 36
	s_mul_i32 s23, s23, 36
	s_addc_u32 s11, s11, s17
	v_sub_u16_e32 v8, v10, v8
	v_sub_u16_e32 v10, v10, v11
	;; [unrolled: 1-line block ×6, first 2 shown]
	s_add_u32 s10, s10, s23
	v_bfe_i32 v4, v4, 0, 8
	v_bfe_i32 v6, v6, 0, 8
	;; [unrolled: 1-line block ×8, first 2 shown]
	s_addc_u32 s11, s11, s16
	v_ashrrev_i32_e32 v5, 31, v4
	v_ashrrev_i32_e32 v7, 31, v6
	;; [unrolled: 1-line block ×8, first 2 shown]
	v_lshl_add_u64 v[22:23], s[10:11], 0, v[22:23]
	s_mov_b64 s[10:11], 0
	s_movk_i32 s19, 0x6e
	v_lshlrev_b32_e32 v24, 1, v24
	s_mov_b64 s[16:17], 0x900
	v_mov_b32_e32 v38, 0
	v_mov_b32_e32 v32, 0
	s_branch .LBB111_14
.LBB111_13:                             ;   in Loop: Header=BB111_14 Depth=1
	v_ashrrev_i32_e32 v0, v31, v56
	v_not_b32_e32 v0, v0
	s_waitcnt vmcnt(7)
	v_and_b32_e32 v25, 0xff, v60
	s_waitcnt vmcnt(6)
	v_lshrrev_b32_sdwa v56, v34, v59 dst_sel:DWORD dst_unused:UNUSED_PAD src0_sel:DWORD src1_sel:BYTE_0
	v_bfe_u32 v25, v25, v33, 4
	v_lshlrev_b32_e32 v56, 4, v56
	v_lshlrev_b32_e32 v60, 2, v0
	v_and_or_b32 v25, v56, 48, v25
	v_and_b32_e32 v56, 0x3030303, v43
	v_bfe_u32 v59, v43, 24, 2
	v_and_b32_e32 v60, 0x4040404, v60
	v_sub_u16_e32 v61, v56, v60
	v_sub_u16_sdwa v62, v56, v60 dst_sel:BYTE_1 dst_unused:UNUSED_PAD src0_sel:BYTE_1 src1_sel:BYTE_1
	v_sub_u16_sdwa v56, v56, v60 dst_sel:DWORD dst_unused:UNUSED_PAD src0_sel:WORD_1 src1_sel:WORD_1
	v_sub_u16_sdwa v59, v59, v60 dst_sel:BYTE_1 dst_unused:UNUSED_PAD src0_sel:DWORD src1_sel:BYTE_3
	v_or_b32_sdwa v61, v61, v62 dst_sel:DWORD dst_unused:UNUSED_PAD src0_sel:BYTE_0 src1_sel:DWORD
	v_or_b32_sdwa v56, v56, v59 dst_sel:WORD_1 dst_unused:UNUSED_PAD src0_sel:BYTE_0 src1_sel:DWORD
	v_mov_b32_e32 v59, v1
	v_or_b32_sdwa v56, v61, v56 dst_sel:DWORD dst_unused:UNUSED_PAD src0_sel:WORD_0 src1_sel:DWORD
	v_dot4c_i32_i8_e32 v59, v56, v53
	s_waitcnt vmcnt(5)
	v_and_b32_e32 v53, 0xff, v58
	s_waitcnt vmcnt(4)
	v_lshrrev_b32_sdwa v56, v36, v57 dst_sel:DWORD dst_unused:UNUSED_PAD src0_sel:DWORD src1_sel:BYTE_0
	v_bfe_u32 v53, v53, v35, 4
	v_lshlrev_b32_e32 v56, 4, v56
	v_and_or_b32 v53, v56, 48, v53
	v_lshrrev_b32_e32 v56, 2, v43
	v_lshlrev_b32_e32 v58, 1, v0
	v_subrev_u32_e32 v25, 32, v25
	v_and_b32_e32 v57, 0x3030303, v56
	v_bfe_u32 v56, v56, 24, 2
	v_and_b32_e32 v58, 0x4040404, v58
	v_mul_lo_u32 v25, v25, v59
	v_sub_u16_e32 v59, v57, v58
	v_sub_u16_sdwa v60, v57, v58 dst_sel:BYTE_1 dst_unused:UNUSED_PAD src0_sel:BYTE_1 src1_sel:BYTE_1
	v_sub_u16_sdwa v56, v56, v58 dst_sel:BYTE_1 dst_unused:UNUSED_PAD src0_sel:DWORD src1_sel:BYTE_3
	v_sub_u16_sdwa v57, v57, v58 dst_sel:DWORD dst_unused:UNUSED_PAD src0_sel:WORD_1 src1_sel:WORD_1
	v_or_b32_sdwa v59, v59, v60 dst_sel:DWORD dst_unused:UNUSED_PAD src0_sel:BYTE_0 src1_sel:DWORD
	v_or_b32_sdwa v56, v57, v56 dst_sel:WORD_1 dst_unused:UNUSED_PAD src0_sel:BYTE_0 src1_sel:DWORD
	v_mov_b32_e32 v57, v1
	v_or_b32_sdwa v56, v59, v56 dst_sel:DWORD dst_unused:UNUSED_PAD src0_sel:WORD_0 src1_sel:DWORD
	v_subrev_u32_e32 v53, 32, v53
	v_dot4c_i32_i8_e32 v57, v56, v50
	s_waitcnt vmcnt(2)
	v_lshrrev_b32_sdwa v54, v39, v54 dst_sel:DWORD dst_unused:UNUSED_PAD src0_sel:DWORD src1_sel:BYTE_0
	v_lshlrev_b32_e32 v54, 4, v54
	v_and_b32_e32 v56, 0x4040404, v0
	v_mul_lo_u32 v50, v53, v57
	v_and_b32_e32 v53, 0xff, v55
	v_bfe_u32 v53, v53, v37, 4
	v_and_or_b32 v53, v54, 48, v53
	v_lshrrev_b32_e32 v54, 4, v43
	v_and_b32_e32 v55, 0x3030303, v54
	v_bfe_u32 v54, v54, 24, 2
	v_sub_u16_e32 v57, v55, v56
	v_sub_u16_sdwa v58, v55, v56 dst_sel:BYTE_1 dst_unused:UNUSED_PAD src0_sel:BYTE_1 src1_sel:BYTE_1
	v_sub_u16_sdwa v54, v54, v56 dst_sel:BYTE_1 dst_unused:UNUSED_PAD src0_sel:DWORD src1_sel:BYTE_3
	v_sub_u16_sdwa v55, v55, v56 dst_sel:DWORD dst_unused:UNUSED_PAD src0_sel:WORD_1 src1_sel:WORD_1
	s_waitcnt vmcnt(1)
	v_and_b32_e32 v52, 0xff, v52
	s_waitcnt vmcnt(0)
	v_lshrrev_b32_sdwa v51, v41, v51 dst_sel:DWORD dst_unused:UNUSED_PAD src0_sel:DWORD src1_sel:BYTE_0
	v_or_b32_sdwa v57, v57, v58 dst_sel:DWORD dst_unused:UNUSED_PAD src0_sel:BYTE_0 src1_sel:DWORD
	v_or_b32_sdwa v54, v55, v54 dst_sel:WORD_1 dst_unused:UNUSED_PAD src0_sel:BYTE_0 src1_sel:DWORD
	v_bfe_u32 v52, v52, v40, 4
	v_lshlrev_b32_e32 v51, 4, v51
	v_or_b32_sdwa v54, v57, v54 dst_sel:DWORD dst_unused:UNUSED_PAD src0_sel:WORD_0 src1_sel:DWORD
	v_mov_b32_e32 v55, v1
	v_and_or_b32 v51, v51, 48, v52
	v_lshrrev_b32_e32 v52, 6, v43
	v_lshrrev_b32_e32 v0, 1, v0
	v_subrev_u32_e32 v53, 32, v53
	v_dot4c_i32_i8_e32 v55, v54, v45
	v_and_b32_e32 v52, 0x3030303, v52
	v_lshrrev_b32_e32 v43, 30, v43
	v_and_b32_e32 v0, 0x4040404, v0
	v_mul_lo_u32 v45, v53, v55
	v_sub_u16_e32 v53, v52, v0
	v_sub_u16_sdwa v54, v52, v0 dst_sel:BYTE_1 dst_unused:UNUSED_PAD src0_sel:BYTE_1 src1_sel:BYTE_1
	v_sub_u16_sdwa v43, v43, v0 dst_sel:BYTE_1 dst_unused:UNUSED_PAD src0_sel:DWORD src1_sel:BYTE_3
	v_sub_u16_sdwa v0, v52, v0 dst_sel:DWORD dst_unused:UNUSED_PAD src0_sel:WORD_1 src1_sel:WORD_1
	v_or_b32_sdwa v53, v53, v54 dst_sel:DWORD dst_unused:UNUSED_PAD src0_sel:BYTE_0 src1_sel:DWORD
	v_or_b32_sdwa v0, v0, v43 dst_sel:WORD_1 dst_unused:UNUSED_PAD src0_sel:BYTE_0 src1_sel:DWORD
	v_cvt_f32_i32_e32 v25, v25
	v_or_b32_sdwa v0, v53, v0 dst_sel:DWORD dst_unused:UNUSED_PAD src0_sel:WORD_0 src1_sel:DWORD
	v_mov_b32_e32 v43, v1
	v_cvt_f32_i32_e32 v50, v50
	v_subrev_u32_e32 v51, 32, v51
	v_dot4c_i32_i8_e32 v43, v0, v44
	v_cvt_f32_i32_e32 v45, v45
	v_fma_f32 v25, v47, v25, 0
	v_fmac_f32_e32 v25, v48, v50
	v_mul_lo_u32 v0, v51, v43
	v_cvt_f32_i32_e32 v0, v0
	v_fmac_f32_e32 v25, v49, v45
	v_add_u32_e32 v30, 8, v30
	v_cmp_le_u32_e32 vcc, s3, v30
	v_fmac_f32_e32 v25, v46, v0
	v_fma_mix_f32 v38, v25, v42, v38 op_sel_hi:[0,1,0]
	s_or_b64 s[10:11], vcc, s[10:11]
	v_lshl_add_u64 v[22:23], v[22:23], 0, s[16:17]
	s_andn2_b64 exec, exec, s[10:11]
	s_cbranch_execz .LBB111_16
.LBB111_14:                             ; =>This Inner Loop Header: Depth=1
	v_add_u32_e32 v61, s5, v30
	v_mov_b64_e32 v[42:43], s[8:9]
	v_mad_i64_i32 v[46:47], s[20:21], v61, s19, v[42:43]
	v_mov_b32_e32 v25, v1
	v_lshlrev_b32_e32 v0, 1, v2
	v_lshl_add_u64 v[48:49], v[46:47], 0, v[24:25]
	v_lshl_add_u64 v[44:45], v[46:47], 0, v[0:1]
	global_load_ushort v42, v[46:47], off offset:108
	global_load_dword v43, v[44:45], off offset:32
	global_load_dword v56, v[48:49], off
	v_lshl_add_u64 v[48:49], v[22:23], 0, v[20:21]
	global_load_dword v53, v[48:49], off offset:4
	global_load_dword v50, v[48:49], off offset:40
	;; [unrolled: 1-line block ×4, first 2 shown]
	global_load_dword v72, v[22:23], off
	global_load_dword v73, v[22:23], off offset:36
	global_load_dword v74, v[22:23], off offset:72
	global_load_dword v75, v[22:23], off offset:108
	v_lshl_add_u64 v[48:49], v[46:47], 0, v[4:5]
	v_lshl_add_u64 v[54:55], v[46:47], 0, v[6:7]
	;; [unrolled: 1-line block ×8, first 2 shown]
	global_load_ubyte v60, v[48:49], off offset:96
	global_load_ubyte v59, v[54:55], off offset:104
                                        ; kill: killed $vgpr54_vgpr55
                                        ; kill: killed $vgpr48_vgpr49
	global_load_ubyte v58, v[62:63], off offset:96
	global_load_ubyte v57, v[64:65], off offset:104
	s_nop 0
	global_load_ubyte v55, v[66:67], off offset:96
	global_load_ubyte v54, v[68:69], off offset:104
                                        ; kill: killed $vgpr68_vgpr69
                                        ; kill: killed $vgpr64_vgpr65
                                        ; kill: killed $vgpr66_vgpr67
                                        ; kill: killed $vgpr62_vgpr63
	global_load_ubyte v52, v[70:71], off offset:96
	global_load_ubyte v51, v[46:47], off offset:104
	s_andn2_b64 vcc, exec, s[14:15]
	s_waitcnt vmcnt(11)
	v_cvt_f32_f16_e32 v47, v72
	s_waitcnt vmcnt(10)
	v_cvt_f32_f16_e32 v48, v73
	;; [unrolled: 2-line block ×4, first 2 shown]
	s_cbranch_vccnz .LBB111_13
; %bb.15:                               ;   in Loop: Header=BB111_14 Depth=1
	v_mov_b64_e32 v[62:63], s[24:25]
	v_mad_i64_i32 v[62:63], s[20:21], v61, s19, v[62:63]
	v_lshl_add_u64 v[64:65], v[62:63], 0, v[0:1]
	v_lshl_add_u64 v[66:67], v[62:63], 0, v[24:25]
	global_load_ushort v61, v[62:63], off offset:108
	global_load_dword v25, v[64:65], off offset:32
	global_load_dword v0, v[66:67], off
	v_lshl_add_u64 v[64:65], v[62:63], 0, v[4:5]
	global_load_ubyte v64, v[64:65], off offset:96
	s_waitcnt vmcnt(1)
	v_ashrrev_i32_e32 v0, v31, v0
	v_not_b32_e32 v0, v0
	s_waitcnt vmcnt(0)
	v_bfe_u32 v66, v64, v33, 4
	v_lshl_add_u64 v[64:65], v[62:63], 0, v[6:7]
	global_load_ubyte v64, v[64:65], off offset:104
	v_lshlrev_b32_e32 v67, 2, v0
	v_and_b32_e32 v65, 0x3030303, v25
	v_and_b32_e32 v67, 0x4040404, v67
	v_sub_u16_e32 v68, v65, v67
	v_sub_u16_sdwa v69, v65, v67 dst_sel:BYTE_1 dst_unused:UNUSED_PAD src0_sel:BYTE_1 src1_sel:BYTE_1
	v_sub_u16_sdwa v65, v65, v67 dst_sel:DWORD dst_unused:UNUSED_PAD src0_sel:WORD_1 src1_sel:WORD_1
	v_or_b32_sdwa v68, v68, v69 dst_sel:DWORD dst_unused:UNUSED_PAD src0_sel:BYTE_0 src1_sel:DWORD
	s_waitcnt vmcnt(0)
	v_lshrrev_b32_e32 v64, v34, v64
	v_lshlrev_b32_e32 v64, 4, v64
	v_and_or_b32 v64, v64, 48, v66
	v_bfe_u32 v66, v25, 24, 2
	v_sub_u16_sdwa v66, v66, v67 dst_sel:BYTE_1 dst_unused:UNUSED_PAD src0_sel:DWORD src1_sel:BYTE_3
	v_subrev_u32_e32 v64, 32, v64
	v_or_b32_sdwa v65, v65, v66 dst_sel:WORD_1 dst_unused:UNUSED_PAD src0_sel:BYTE_0 src1_sel:DWORD
	v_mov_b32_e32 v66, v1
	v_or_b32_sdwa v65, v68, v65 dst_sel:DWORD dst_unused:UNUSED_PAD src0_sel:WORD_0 src1_sel:DWORD
	v_dot4c_i32_i8_e32 v66, v65, v53
	v_lshlrev_b32_e32 v68, 1, v0
	v_and_b32_e32 v68, 0x4040404, v68
	s_nop 0
	v_mul_lo_u32 v64, v66, v64
	v_cvt_f32_i32_e32 v64, v64
	v_fma_f32 v66, v47, v64, 0
	v_lshl_add_u64 v[64:65], v[62:63], 0, v[8:9]
	global_load_ubyte v64, v[64:65], off offset:96
	s_waitcnt vmcnt(0)
	v_bfe_u32 v67, v64, v35, 4
	v_lshl_add_u64 v[64:65], v[62:63], 0, v[10:11]
	global_load_ubyte v64, v[64:65], off offset:104
	v_lshrrev_b32_e32 v65, 2, v25
	s_waitcnt vmcnt(0)
	v_lshrrev_b32_e32 v64, v36, v64
	v_lshlrev_b32_e32 v64, 4, v64
	v_and_or_b32 v64, v64, 48, v67
	v_and_b32_e32 v67, 0x3030303, v65
	v_bfe_u32 v65, v65, 24, 2
	v_sub_u16_e32 v69, v67, v68
	v_sub_u16_sdwa v70, v67, v68 dst_sel:BYTE_1 dst_unused:UNUSED_PAD src0_sel:BYTE_1 src1_sel:BYTE_1
	v_sub_u16_sdwa v65, v65, v68 dst_sel:BYTE_1 dst_unused:UNUSED_PAD src0_sel:DWORD src1_sel:BYTE_3
	v_sub_u16_sdwa v67, v67, v68 dst_sel:DWORD dst_unused:UNUSED_PAD src0_sel:WORD_1 src1_sel:WORD_1
	v_or_b32_sdwa v69, v69, v70 dst_sel:DWORD dst_unused:UNUSED_PAD src0_sel:BYTE_0 src1_sel:DWORD
	v_or_b32_sdwa v65, v67, v65 dst_sel:WORD_1 dst_unused:UNUSED_PAD src0_sel:BYTE_0 src1_sel:DWORD
	v_mov_b32_e32 v67, v1
	v_or_b32_sdwa v65, v69, v65 dst_sel:DWORD dst_unused:UNUSED_PAD src0_sel:WORD_0 src1_sel:DWORD
	v_subrev_u32_e32 v64, 32, v64
	v_dot4c_i32_i8_e32 v67, v65, v50
	v_and_b32_e32 v68, 0x4040404, v0
	v_lshrrev_b32_e32 v0, 1, v0
	v_and_b32_e32 v0, 0x4040404, v0
	v_mul_lo_u32 v64, v67, v64
	v_cvt_f32_i32_e32 v64, v64
	v_fmac_f32_e32 v66, v48, v64
	v_lshl_add_u64 v[64:65], v[62:63], 0, v[12:13]
	global_load_ubyte v64, v[64:65], off offset:96
	s_waitcnt vmcnt(0)
	v_bfe_u32 v67, v64, v37, 4
	v_lshl_add_u64 v[64:65], v[62:63], 0, v[14:15]
	global_load_ubyte v64, v[64:65], off offset:104
	v_lshrrev_b32_e32 v65, 4, v25
	s_waitcnt vmcnt(0)
	v_lshrrev_b32_e32 v64, v39, v64
	v_lshlrev_b32_e32 v64, 4, v64
	v_and_or_b32 v64, v64, 48, v67
	v_and_b32_e32 v67, 0x3030303, v65
	v_bfe_u32 v65, v65, 24, 2
	v_sub_u16_e32 v69, v67, v68
	v_sub_u16_sdwa v70, v67, v68 dst_sel:BYTE_1 dst_unused:UNUSED_PAD src0_sel:BYTE_1 src1_sel:BYTE_1
	v_sub_u16_sdwa v65, v65, v68 dst_sel:BYTE_1 dst_unused:UNUSED_PAD src0_sel:DWORD src1_sel:BYTE_3
	v_sub_u16_sdwa v67, v67, v68 dst_sel:DWORD dst_unused:UNUSED_PAD src0_sel:WORD_1 src1_sel:WORD_1
	v_or_b32_sdwa v69, v69, v70 dst_sel:DWORD dst_unused:UNUSED_PAD src0_sel:BYTE_0 src1_sel:DWORD
	v_or_b32_sdwa v65, v67, v65 dst_sel:WORD_1 dst_unused:UNUSED_PAD src0_sel:BYTE_0 src1_sel:DWORD
	v_mov_b32_e32 v67, v1
	v_or_b32_sdwa v65, v69, v65 dst_sel:DWORD dst_unused:UNUSED_PAD src0_sel:WORD_0 src1_sel:DWORD
	v_subrev_u32_e32 v64, 32, v64
	v_dot4c_i32_i8_e32 v67, v65, v45
	s_nop 2
	v_mul_lo_u32 v64, v64, v67
	v_cvt_f32_i32_e32 v64, v64
	v_fmac_f32_e32 v66, v49, v64
	v_lshl_add_u64 v[64:65], v[62:63], 0, v[16:17]
	v_lshl_add_u64 v[62:63], v[62:63], 0, v[18:19]
	global_load_ubyte v64, v[64:65], off offset:96
	s_nop 0
	global_load_ubyte v62, v[62:63], off offset:104
	v_lshrrev_b32_e32 v63, 6, v25
	v_and_b32_e32 v63, 0x3030303, v63
	v_lshrrev_b32_e32 v25, 30, v25
	v_sub_u16_sdwa v65, v63, v0 dst_sel:BYTE_1 dst_unused:UNUSED_PAD src0_sel:BYTE_1 src1_sel:BYTE_1
	v_sub_u16_sdwa v25, v25, v0 dst_sel:BYTE_1 dst_unused:UNUSED_PAD src0_sel:DWORD src1_sel:BYTE_3
	s_waitcnt vmcnt(1)
	v_bfe_u32 v64, v64, v40, 4
	s_waitcnt vmcnt(0)
	v_lshrrev_b32_e32 v62, v41, v62
	v_lshlrev_b32_e32 v62, 4, v62
	v_and_or_b32 v62, v62, 48, v64
	v_sub_u16_e32 v64, v63, v0
	v_sub_u16_sdwa v0, v63, v0 dst_sel:DWORD dst_unused:UNUSED_PAD src0_sel:WORD_1 src1_sel:WORD_1
	v_or_b32_sdwa v64, v64, v65 dst_sel:DWORD dst_unused:UNUSED_PAD src0_sel:BYTE_0 src1_sel:DWORD
	v_or_b32_sdwa v0, v0, v25 dst_sel:WORD_1 dst_unused:UNUSED_PAD src0_sel:BYTE_0 src1_sel:DWORD
	v_mov_b32_e32 v25, v1
	v_or_b32_sdwa v0, v64, v0 dst_sel:DWORD dst_unused:UNUSED_PAD src0_sel:WORD_0 src1_sel:DWORD
	v_subrev_u32_e32 v62, 32, v62
	v_dot4c_i32_i8_e32 v25, v0, v44
	s_nop 2
	v_mul_lo_u32 v0, v62, v25
	v_cvt_f32_i32_e32 v0, v0
	v_fmac_f32_e32 v66, v46, v0
	v_fma_mix_f32 v32, v66, v61, v32 op_sel_hi:[0,1,0]
	s_branch .LBB111_13
.LBB111_16:
	s_or_b64 exec, exec, s[10:11]
.LBB111_17:
	s_or_b64 exec, exec, s[26:27]
	s_load_dword s3, s[0:1], 0x30
	v_cndmask_b32_e64 v0, 0, 1, s[14:15]
	v_cmp_eq_u32_e64 s[10:11], 0, v29
	v_cmp_ne_u32_e32 vcc, 0, v29
	v_cmp_ne_u32_e64 s[8:9], 1, v0
	s_and_saveexec_b64 s[14:15], vcc
	s_cbranch_execz .LBB111_20
; %bb.18:
	v_add_u32_e32 v0, -1, v29
	v_lshl_add_u32 v0, v0, 8, v3
	s_and_b64 vcc, exec, s[8:9]
	ds_write_b32 v0, v38
	s_cbranch_vccnz .LBB111_20
; %bb.19:
	ds_write_b32 v0, v32 offset:256
.LBB111_20:
	s_or_b64 exec, exec, s[14:15]
	s_waitcnt lgkmcnt(0)
	s_barrier
	s_and_saveexec_b64 s[14:15], s[10:11]
	s_cbranch_execz .LBB111_49
; %bb.21:
	ds_read_b32 v0, v3
	s_and_b64 vcc, exec, s[8:9]
	s_cbranch_vccnz .LBB111_23
; %bb.22:
	ds_read_b32 v1, v3 offset:256
	s_waitcnt lgkmcnt(0)
	v_add_f32_e32 v32, v32, v1
.LBB111_23:
	s_waitcnt lgkmcnt(0)
	v_add_f32_e32 v1, v38, v0
	v_mbcnt_lo_u32_b32 v0, -1, 0
	v_mbcnt_hi_u32_b32 v5, -1, v0
	v_and_b32_e32 v0, 64, v5
	v_add_u32_e32 v8, 64, v0
	v_xor_b32_e32 v0, 32, v5
	v_cmp_lt_i32_e32 vcc, v0, v8
	v_xor_b32_e32 v4, 16, v5
	v_xor_b32_e32 v6, 8, v5
	v_cndmask_b32_e32 v0, v5, v0, vcc
	v_lshlrev_b32_e32 v0, 2, v0
	ds_bpermute_b32 v2, v0, v1
	v_cmp_lt_i32_e32 vcc, v4, v8
	v_xor_b32_e32 v7, 4, v5
	v_xor_b32_e32 v9, 2, v5
	;; [unrolled: 1-line block ×3, first 2 shown]
	s_waitcnt lgkmcnt(0)
	v_add_f32_e32 v2, v1, v2
	v_cndmask_b32_e32 v1, v5, v4, vcc
	v_lshlrev_b32_e32 v1, 2, v1
	ds_bpermute_b32 v4, v1, v2
	v_cmp_lt_i32_e32 vcc, v6, v8
	s_waitcnt lgkmcnt(0)
	v_add_f32_e32 v2, v2, v4
	v_cndmask_b32_e32 v4, v5, v6, vcc
	v_lshlrev_b32_e32 v4, 2, v4
	ds_bpermute_b32 v6, v4, v2
	v_cmp_lt_i32_e32 vcc, v7, v8
	;; [unrolled: 6-line block ×4, first 2 shown]
	s_waitcnt lgkmcnt(0)
	v_add_f32_e32 v2, v2, v9
	v_cndmask_b32_e32 v5, v5, v10, vcc
	v_lshlrev_b32_e32 v8, 2, v5
	ds_bpermute_b32 v5, v8, v2
	s_and_b64 vcc, exec, s[8:9]
	s_cbranch_vccnz .LBB111_25
; %bb.24:
	ds_bpermute_b32 v0, v0, v32
	s_waitcnt lgkmcnt(0)
	v_add_f32_e32 v0, v32, v0
	ds_bpermute_b32 v1, v1, v0
	s_waitcnt lgkmcnt(0)
	v_add_f32_e32 v0, v0, v1
	;; [unrolled: 3-line block ×6, first 2 shown]
.LBB111_25:
	v_cmp_eq_u32_e32 vcc, 0, v26
	s_and_b64 exec, exec, vcc
	s_cbranch_execz .LBB111_49
; %bb.26:
	s_waitcnt lgkmcnt(0)
	v_add_f32_e32 v0, v2, v5
	s_waitcnt vmcnt(0)
	v_add_f32_e32 v1, v28, v0
	s_and_b64 vcc, exec, s[8:9]
	v_cndmask_b32_e64 v0, v0, v1, s[12:13]
	s_cbranch_vccnz .LBB111_48
; %bb.27:
	v_add_f32_e32 v1, v27, v32
	v_cndmask_b32_e64 v1, v32, v1, s[6:7]
	s_cmp_lt_i32 s3, 2
	s_mov_b64 s[6:7], 0
	s_cbranch_scc1 .LBB111_31
; %bb.28:
	s_cmp_gt_i32 s3, 2
	s_cbranch_scc0 .LBB111_32
; %bb.29:
	s_cmp_eq_u32 s3, 3
	s_cbranch_scc0 .LBB111_33
; %bb.30:
	v_max_f32_e32 v2, v1, v1
	v_min_f32_e32 v2, 0x40e00000, v2
	v_mul_f32_e32 v5, 0xbfd9db23, v2
	s_mov_b32 s5, 0x3fb8aa3b
	v_mul_f32_e32 v4, 0x3fb8aa3b, v5
	v_fma_f32 v6, v5, s5, -v4
	v_rndne_f32_e32 v7, v4
	v_fmamk_f32 v6, v5, 0x32a5705f, v6
	v_sub_f32_e32 v4, v4, v7
	v_add_f32_e32 v4, v4, v6
	v_exp_f32_e32 v6, v4
	v_cvt_i32_f32_e32 v7, v7
	s_mov_b32 s5, 0xc2ce8ed0
	v_max_f32_e32 v4, v0, v0
	v_cmp_ngt_f32_e32 vcc, s5, v5
	v_ldexp_f32 v6, v6, v7
	s_mov_b32 s5, 0x42b17218
	v_min_f32_e32 v4, 0x40e00000, v4
	v_cndmask_b32_e32 v6, 0, v6, vcc
	v_mov_b32_e32 v7, 0x7f800000
	v_cmp_nlt_f32_e32 vcc, s5, v5
	v_max_f32_e32 v4, 0xc0e00000, v4
	s_nop 0
	v_cndmask_b32_e32 v5, v7, v6, vcc
	v_pk_add_f32 v[4:5], v[4:5], 1.0 op_sel_hi:[1,0]
	s_nop 0
	v_div_scale_f32 v6, s[8:9], v5, v5, v2
	v_rcp_f32_e32 v7, v6
	s_mov_b64 s[8:9], 0
	v_fma_f32 v8, -v6, v7, 1.0
	v_fmac_f32_e32 v7, v8, v7
	v_div_scale_f32 v8, vcc, v2, v5, v2
	v_mul_f32_e32 v9, v8, v7
	v_fma_f32 v10, -v6, v9, v8
	v_fmac_f32_e32 v9, v10, v7
	v_fma_f32 v6, -v6, v9, v8
	v_div_fmas_f32 v6, v6, v7, v9
	v_div_fixup_f32 v2, v6, v5, v2
	v_mul_f32_e32 v2, v4, v2
	s_branch .LBB111_34
.LBB111_31:
                                        ; implicit-def: $vgpr2
	s_mov_b64 s[8:9], 0
	s_cbranch_execnz .LBB111_38
	s_branch .LBB111_39
.LBB111_32:
	s_mov_b64 s[10:11], -1
	s_mov_b64 s[8:9], 0
                                        ; implicit-def: $vgpr2
	s_branch .LBB111_35
.LBB111_33:
	s_mov_b64 s[8:9], -1
                                        ; implicit-def: $vgpr2
.LBB111_34:
	s_mov_b64 s[10:11], 0
.LBB111_35:
	s_and_b64 vcc, exec, s[10:11]
	s_cbranch_vccz .LBB111_37
; %bb.36:
	v_mul_f32_e32 v2, 0xbfb8aa3b, v1
	s_mov_b32 s5, 0xbfb8aa3b
	v_rndne_f32_e32 v4, v2
	v_sub_f32_e32 v5, v2, v4
	v_fma_f32 v2, v1, s5, -v2
	v_fmamk_f32 v2, v1, 0xb2a5705f, v2
	v_add_f32_e32 v2, v5, v2
	v_exp_f32_e32 v2, v2
	v_cvt_i32_f32_e32 v4, v4
	s_mov_b32 s5, 0x42ce8ed0
	v_cmp_nlt_f32_e32 vcc, s5, v1
	s_mov_b32 s5, 0xc2b17218
	v_ldexp_f32 v2, v2, v4
	v_cndmask_b32_e32 v2, 0, v2, vcc
	v_mov_b32_e32 v4, 0x7f800000
	v_cmp_ngt_f32_e32 vcc, s5, v1
	s_nop 1
	v_cndmask_b32_e32 v2, v4, v2, vcc
	v_add_f32_e32 v2, 1.0, v2
	v_div_scale_f32 v4, s[10:11], v2, v2, v1
	v_rcp_f32_e32 v5, v4
	s_nop 0
	v_fma_f32 v6, -v4, v5, 1.0
	v_fmac_f32_e32 v5, v6, v5
	v_div_scale_f32 v6, vcc, v1, v2, v1
	v_mul_f32_e32 v7, v6, v5
	v_fma_f32 v8, -v4, v7, v6
	v_fmac_f32_e32 v7, v8, v5
	v_fma_f32 v4, -v4, v7, v6
	v_div_fmas_f32 v4, v4, v5, v7
	v_div_fixup_f32 v2, v4, v2, v1
	v_mul_f32_e32 v2, v0, v2
.LBB111_37:
	s_branch .LBB111_39
.LBB111_38:
	s_cmp_lg_u32 s3, 1
	s_mov_b64 s[6:7], -1
	s_cselect_b64 s[8:9], -1, 0
                                        ; implicit-def: $vgpr2
.LBB111_39:
	s_andn2_b64 vcc, exec, s[8:9]
	s_cbranch_vccz .LBB111_41
; %bb.40:
	s_andn2_b64 vcc, exec, s[6:7]
	s_cbranch_vccz .LBB111_42
	s_branch .LBB111_47
.LBB111_41:
	v_mul_f32_e32 v2, v0, v1
	s_cbranch_execnz .LBB111_47
.LBB111_42:
	v_mul_f32_e32 v4, 0x3d372713, v1
	v_mul_f32_e32 v2, 0x3f4c422a, v1
	v_fma_f32 v4, v1, v4, 1.0
	v_mul_f32_e32 v2, v2, v4
	s_mov_b32 s3, 0x3f200000
	v_cmp_nlt_f32_e64 s[6:7], |v2|, s3
                                        ; implicit-def: $vgpr4
	s_and_saveexec_b64 s[8:9], s[6:7]
	s_xor_b64 s[6:7], exec, s[8:9]
	s_cbranch_execz .LBB111_44
; %bb.43:
	v_add_f32_e64 v4, |v2|, |v2|
	v_mul_f32_e32 v5, 0x3fb8aa3b, v4
	s_mov_b32 s3, 0x3fb8aa3b
	v_rndne_f32_e32 v6, v5
	v_sub_f32_e32 v7, v5, v6
	v_fma_f32 v5, v4, s3, -v5
	v_fmamk_f32 v5, v4, 0x32a5705f, v5
	v_add_f32_e32 v5, v7, v5
	v_exp_f32_e32 v5, v5
	v_cvt_i32_f32_e32 v6, v6
	s_mov_b32 s3, 0xc2ce8ed0
	v_cmp_ngt_f32_e32 vcc, s3, v4
	s_mov_b32 s3, 0x42b17218
	v_ldexp_f32 v5, v5, v6
	v_cndmask_b32_e32 v5, 0, v5, vcc
	v_mov_b32_e32 v6, 0x7f800000
	v_cmp_nlt_f32_e32 vcc, s3, v4
	s_nop 1
	v_cndmask_b32_e32 v4, v6, v5, vcc
	v_add_f32_e32 v4, 1.0, v4
	v_rcp_f32_e32 v4, v4
	s_nop 0
	v_fma_f32 v4, v4, -2.0, 1.0
.LBB111_44:
	s_andn2_saveexec_b64 s[6:7], s[6:7]
; %bb.45:
	v_mul_f32_e32 v4, v2, v2
	v_mov_b32_e32 v5, 0x3ca908c9
	v_fmac_f32_e32 v5, 0xbbbac73d, v4
	v_fmaak_f32 v5, v4, v5, 0xbd5c1c4e
	v_fmaak_f32 v5, v4, v5, 0x3e088382
	;; [unrolled: 1-line block ×3, first 2 shown]
	v_mul_f32_e64 v5, |v2|, v5
	v_fma_f32 v4, v4, v5, |v2|
; %bb.46:
	s_or_b64 exec, exec, s[6:7]
	s_brev_b32 s3, -2
	v_bfi_b32 v2, s3, v4, v2
	v_mul_f32_e32 v1, 0.5, v1
	v_add_f32_e32 v2, 1.0, v2
	v_mul_f32_e32 v1, v1, v2
	v_mul_f32_e32 v2, v0, v1
.LBB111_47:
	v_mov_b32_e32 v0, v2
.LBB111_48:
	s_load_dwordx2 s[0:1], s[0:1], 0x38
	s_mul_i32 s3, s34, s18
	s_mul_i32 s4, s4, s22
	s_add_i32 s2, s3, s2
	s_add_i32 s2, s2, s4
	s_mov_b32 s3, 0
	s_lshl_b64 s[2:3], s[2:3], 2
	s_waitcnt lgkmcnt(0)
	s_add_u32 s0, s0, s2
	s_addc_u32 s1, s1, s3
	global_store_dword v3, v0, s[0:1]
.LBB111_49:
	s_endpgm
	.section	.rodata,"a",@progbits
	.p2align	6, 0x0
	.amdhsa_kernel _ZL13mul_mat_vec_qIL9ggml_type11ELi1ELb1ELb0EEvPKvS2_PKi31ggml_cuda_mm_fusion_args_devicePfj15HIP_vector_typeIjLj3EEjjjS8_jjjS8_jjjj
		.amdhsa_group_segment_fixed_size 512
		.amdhsa_private_segment_fixed_size 0
		.amdhsa_kernarg_size 144
		.amdhsa_user_sgpr_count 2
		.amdhsa_user_sgpr_dispatch_ptr 0
		.amdhsa_user_sgpr_queue_ptr 0
		.amdhsa_user_sgpr_kernarg_segment_ptr 1
		.amdhsa_user_sgpr_dispatch_id 0
		.amdhsa_user_sgpr_kernarg_preload_length 0
		.amdhsa_user_sgpr_kernarg_preload_offset 0
		.amdhsa_user_sgpr_private_segment_size 0
		.amdhsa_uses_dynamic_stack 0
		.amdhsa_enable_private_segment 0
		.amdhsa_system_sgpr_workgroup_id_x 1
		.amdhsa_system_sgpr_workgroup_id_y 1
		.amdhsa_system_sgpr_workgroup_id_z 1
		.amdhsa_system_sgpr_workgroup_info 0
		.amdhsa_system_vgpr_workitem_id 1
		.amdhsa_next_free_vgpr 76
		.amdhsa_next_free_sgpr 42
		.amdhsa_accum_offset 76
		.amdhsa_reserve_vcc 1
		.amdhsa_float_round_mode_32 0
		.amdhsa_float_round_mode_16_64 0
		.amdhsa_float_denorm_mode_32 3
		.amdhsa_float_denorm_mode_16_64 3
		.amdhsa_dx10_clamp 1
		.amdhsa_ieee_mode 1
		.amdhsa_fp16_overflow 0
		.amdhsa_tg_split 0
		.amdhsa_exception_fp_ieee_invalid_op 0
		.amdhsa_exception_fp_denorm_src 0
		.amdhsa_exception_fp_ieee_div_zero 0
		.amdhsa_exception_fp_ieee_overflow 0
		.amdhsa_exception_fp_ieee_underflow 0
		.amdhsa_exception_fp_ieee_inexact 0
		.amdhsa_exception_int_div_zero 0
	.end_amdhsa_kernel
	.section	.text._ZL13mul_mat_vec_qIL9ggml_type11ELi1ELb1ELb0EEvPKvS2_PKi31ggml_cuda_mm_fusion_args_devicePfj15HIP_vector_typeIjLj3EEjjjS8_jjjS8_jjjj,"axG",@progbits,_ZL13mul_mat_vec_qIL9ggml_type11ELi1ELb1ELb0EEvPKvS2_PKi31ggml_cuda_mm_fusion_args_devicePfj15HIP_vector_typeIjLj3EEjjjS8_jjjS8_jjjj,comdat
.Lfunc_end111:
	.size	_ZL13mul_mat_vec_qIL9ggml_type11ELi1ELb1ELb0EEvPKvS2_PKi31ggml_cuda_mm_fusion_args_devicePfj15HIP_vector_typeIjLj3EEjjjS8_jjjS8_jjjj, .Lfunc_end111-_ZL13mul_mat_vec_qIL9ggml_type11ELi1ELb1ELb0EEvPKvS2_PKi31ggml_cuda_mm_fusion_args_devicePfj15HIP_vector_typeIjLj3EEjjjS8_jjjS8_jjjj
                                        ; -- End function
	.section	.AMDGPU.csdata,"",@progbits
; Kernel info:
; codeLenInByte = 4312
; NumSgprs: 48
; NumVgprs: 76
; NumAgprs: 0
; TotalNumVgprs: 76
; ScratchSize: 0
; MemoryBound: 0
; FloatMode: 240
; IeeeMode: 1
; LDSByteSize: 512 bytes/workgroup (compile time only)
; SGPRBlocks: 5
; VGPRBlocks: 9
; NumSGPRsForWavesPerEU: 48
; NumVGPRsForWavesPerEU: 76
; AccumOffset: 76
; Occupancy: 6
; WaveLimiterHint : 0
; COMPUTE_PGM_RSRC2:SCRATCH_EN: 0
; COMPUTE_PGM_RSRC2:USER_SGPR: 2
; COMPUTE_PGM_RSRC2:TRAP_HANDLER: 0
; COMPUTE_PGM_RSRC2:TGID_X_EN: 1
; COMPUTE_PGM_RSRC2:TGID_Y_EN: 1
; COMPUTE_PGM_RSRC2:TGID_Z_EN: 1
; COMPUTE_PGM_RSRC2:TIDIG_COMP_CNT: 1
; COMPUTE_PGM_RSRC3_GFX90A:ACCUM_OFFSET: 18
; COMPUTE_PGM_RSRC3_GFX90A:TG_SPLIT: 0
	.section	.text._ZL13mul_mat_vec_qIL9ggml_type11ELi1ELb0ELb0EEvPKvS2_PKi31ggml_cuda_mm_fusion_args_devicePfj15HIP_vector_typeIjLj3EEjjjS8_jjjS8_jjjj,"axG",@progbits,_ZL13mul_mat_vec_qIL9ggml_type11ELi1ELb0ELb0EEvPKvS2_PKi31ggml_cuda_mm_fusion_args_devicePfj15HIP_vector_typeIjLj3EEjjjS8_jjjS8_jjjj,comdat
	.globl	_ZL13mul_mat_vec_qIL9ggml_type11ELi1ELb0ELb0EEvPKvS2_PKi31ggml_cuda_mm_fusion_args_devicePfj15HIP_vector_typeIjLj3EEjjjS8_jjjS8_jjjj ; -- Begin function _ZL13mul_mat_vec_qIL9ggml_type11ELi1ELb0ELb0EEvPKvS2_PKi31ggml_cuda_mm_fusion_args_devicePfj15HIP_vector_typeIjLj3EEjjjS8_jjjS8_jjjj
	.p2align	8
	.type	_ZL13mul_mat_vec_qIL9ggml_type11ELi1ELb0ELb0EEvPKvS2_PKi31ggml_cuda_mm_fusion_args_devicePfj15HIP_vector_typeIjLj3EEjjjS8_jjjS8_jjjj,@function
_ZL13mul_mat_vec_qIL9ggml_type11ELi1ELb0ELb0EEvPKvS2_PKi31ggml_cuda_mm_fusion_args_devicePfj15HIP_vector_typeIjLj3EEjjjS8_jjjS8_jjjj: ; @_ZL13mul_mat_vec_qIL9ggml_type11ELi1ELb0ELb0EEvPKvS2_PKi31ggml_cuda_mm_fusion_args_devicePfj15HIP_vector_typeIjLj3EEjjjS8_jjjS8_jjjj
; %bb.0:
	s_load_dwordx2 s[8:9], s[0:1], 0x10
	s_load_dwordx4 s[16:19], s[0:1], 0x40
	s_mov_b32 s20, s3
	s_mov_b64 s[12:13], 0
	s_waitcnt lgkmcnt(0)
	s_cmp_lg_u64 s[8:9], 0
	s_cselect_b64 s[6:7], -1, 0
	s_cmp_eq_u64 s[8:9], 0
	s_cbranch_scc1 .LBB112_5
; %bb.1:
	s_mov_b32 s21, 0
	s_lshl_b64 s[10:11], s[20:21], 2
	s_add_u32 s8, s8, s10
	s_addc_u32 s9, s9, s11
	s_load_dword s5, s[8:9], 0x0
	s_nop 0
	s_load_dwordx4 s[8:11], s[0:1], 0x68
	s_load_dword s21, s[0:1], 0x50
	s_andn2_b64 vcc, exec, s[12:13]
	s_cbranch_vccnz .LBB112_3
.LBB112_2:
	s_load_dwordx2 s[12:13], s[0:1], 0x5c
	s_waitcnt lgkmcnt(0)
	s_mul_hi_u32 s3, s12, s20
	s_add_i32 s3, s20, s3
	s_lshr_b32 s5, s3, s13
.LBB112_3:
	s_load_dword s22, s[0:1], 0x78
	s_andn2_b64 vcc, exec, s[6:7]
	s_cbranch_vccnz .LBB112_6
; %bb.4:
	s_mul_hi_u32 s3, s17, s20
	s_add_i32 s3, s20, s3
	s_lshr_b32 s3, s3, s18
	s_mul_i32 s3, s3, s19
	s_sub_i32 s23, s20, s3
	s_branch .LBB112_7
.LBB112_5:
                                        ; implicit-def: $sgpr5
	s_load_dwordx4 s[8:11], s[0:1], 0x68
	s_load_dword s21, s[0:1], 0x50
	s_branch .LBB112_2
.LBB112_6:
	s_mov_b32 s23, s20
.LBB112_7:
	s_load_dwordx4 s[12:15], s[0:1], 0x80
	v_bfe_u32 v25, v0, 10, 10
	v_and_b32_e32 v24, 0x3ff, v0
	v_lshl_add_u32 v20, v25, 6, v24
	s_lshr_b32 s3, s16, 8
	v_lshrrev_b32_e32 v26, 4, v20
	v_cmp_gt_u32_e32 vcc, s3, v26
	v_mov_b32_e32 v34, 0
	s_and_saveexec_b64 s[6:7], vcc
	s_cbranch_execz .LBB112_11
; %bb.8:
	v_and_b32_e32 v2, 15, v24
	v_cmp_lt_u32_e32 vcc, 7, v2
	v_lshlrev_b32_e32 v22, 1, v2
	v_mov_b32_e32 v15, 7
	v_cndmask_b32_e64 v0, 0, 1, vcc
	v_lshlrev_b32_e32 v27, 2, v0
	v_add_u32_e32 v0, -8, v2
	v_cmp_gt_u32_e32 vcc, 8, v2
	v_mov_b32_e32 v16, 5
	v_mov_b32_e32 v19, 6
	v_cndmask_b32_e32 v0, v0, v2, vcc
	v_sub_u32_e32 v2, v2, v0
	v_cmp_lt_u32_e32 vcc, 3, v0
	v_mov_b32_e32 v18, 2
	v_mov_b32_e32 v21, 1
	v_addc_co_u32_e32 v14, vcc, 0, v2, vcc
	v_add_u16_e32 v8, 2, v14
	v_lshrrev_b16_sdwa v9, v15, sext(v8) dst_sel:DWORD dst_unused:UNUSED_PAD src0_sel:DWORD src1_sel:BYTE_0
	v_lshrrev_b16_sdwa v6, v16, v9 dst_sel:DWORD dst_unused:UNUSED_PAD src0_sel:DWORD src1_sel:BYTE_0
	v_lshrrev_b16_sdwa v9, v19, v9 dst_sel:DWORD dst_unused:UNUSED_PAD src0_sel:DWORD src1_sel:BYTE_0
	v_add_u16_e32 v9, v8, v9
	v_add_u16_e32 v12, 4, v14
	v_ashrrev_i16_sdwa v10, v18, sext(v9) dst_sel:DWORD dst_unused:UNUSED_PAD src0_sel:DWORD src1_sel:BYTE_0
	v_lshrrev_b16_sdwa v13, v15, sext(v12) dst_sel:DWORD dst_unused:UNUSED_PAD src0_sel:DWORD src1_sel:BYTE_0
	v_lshlrev_b32_sdwa v31, v21, sext(v10) dst_sel:DWORD dst_unused:UNUSED_PAD src0_sel:DWORD src1_sel:WORD_0
	v_lshrrev_b16_sdwa v10, v16, v13 dst_sel:DWORD dst_unused:UNUSED_PAD src0_sel:DWORD src1_sel:BYTE_0
	v_lshrrev_b16_sdwa v13, v19, v13 dst_sel:DWORD dst_unused:UNUSED_PAD src0_sel:DWORD src1_sel:BYTE_0
	v_lshrrev_b16_sdwa v4, v15, sext(v14) dst_sel:DWORD dst_unused:UNUSED_PAD src0_sel:DWORD src1_sel:BYTE_0
	v_add_u16_e32 v13, v12, v13
	v_lshrrev_b16_sdwa v2, v16, v4 dst_sel:DWORD dst_unused:UNUSED_PAD src0_sel:DWORD src1_sel:BYTE_0
	v_lshrrev_b16_sdwa v4, v19, v4 dst_sel:DWORD dst_unused:UNUSED_PAD src0_sel:DWORD src1_sel:BYTE_0
	v_lshrrev_b16_sdwa v23, v18, sext(v13) dst_sel:DWORD dst_unused:UNUSED_PAD src0_sel:DWORD src1_sel:BYTE_0
	v_add_u16_e32 v2, v14, v2
	v_mov_b32_e32 v17, 3
	v_add_u16_e32 v4, v14, v4
	v_lshlrev_b32_sdwa v33, v21, v23 dst_sel:DWORD dst_unused:UNUSED_PAD src0_sel:DWORD src1_sel:BYTE_0
	v_add_u16_e32 v23, 6, v14
	s_waitcnt lgkmcnt(0)
	s_mul_i32 s5, s5, s8
	s_mul_hi_u32 s8, s11, s4
	v_lshrrev_b16_sdwa v3, v17, sext(v2) dst_sel:DWORD dst_unused:UNUSED_PAD src0_sel:DWORD src1_sel:BYTE_0
	v_and_b32_e32 v2, 0xf8, v2
	v_ashrrev_i16_sdwa v5, v18, sext(v4) dst_sel:DWORD dst_unused:UNUSED_PAD src0_sel:DWORD src1_sel:BYTE_0
	v_and_b32_e32 v4, 0xfc, v4
	v_lshrrev_b16_sdwa v36, v15, sext(v23) dst_sel:DWORD dst_unused:UNUSED_PAD src0_sel:DWORD src1_sel:BYTE_0
	s_add_i32 s8, s4, s8
	v_sub_u16_e32 v2, v14, v2
	v_sub_u16_e32 v4, v14, v4
	v_lshrrev_b16_sdwa v14, v16, v36 dst_sel:DWORD dst_unused:UNUSED_PAD src0_sel:DWORD src1_sel:BYTE_0
	v_lshrrev_b16_sdwa v16, v19, v36 dst_sel:DWORD dst_unused:UNUSED_PAD src0_sel:DWORD src1_sel:BYTE_0
	s_load_dwordx4 s[16:19], s[0:1], 0x0
	s_lshr_b32 s8, s8, s22
	v_add_u16_e32 v6, v8, v6
	v_add_u16_e32 v10, v12, v10
	;; [unrolled: 1-line block ×4, first 2 shown]
	s_mul_i32 s8, s8, s12
	v_mov_b32_e32 v1, 0
	v_lshrrev_b16_sdwa v7, v17, sext(v6) dst_sel:DWORD dst_unused:UNUSED_PAD src0_sel:DWORD src1_sel:BYTE_0
	v_lshrrev_b16_sdwa v11, v17, sext(v10) dst_sel:DWORD dst_unused:UNUSED_PAD src0_sel:DWORD src1_sel:BYTE_0
	;; [unrolled: 1-line block ×4, first 2 shown]
	s_mul_i32 s15, s23, s9
	s_mul_i32 s9, s2, s21
	v_lshlrev_b32_e32 v34, 1, v0
	v_lshlrev_b32_sdwa v28, v18, v3 dst_sel:DWORD dst_unused:UNUSED_PAD src0_sel:DWORD src1_sel:BYTE_0
	v_lshlrev_b32_sdwa v29, v21, sext(v5) dst_sel:DWORD dst_unused:UNUSED_PAD src0_sel:DWORD src1_sel:WORD_0
	v_lshlrev_b32_sdwa v30, v18, v7 dst_sel:DWORD dst_unused:UNUSED_PAD src0_sel:DWORD src1_sel:BYTE_0
	v_lshlrev_b32_sdwa v32, v18, v11 dst_sel:DWORD dst_unused:UNUSED_PAD src0_sel:DWORD src1_sel:BYTE_0
	;; [unrolled: 1-line block ×4, first 2 shown]
	s_add_i32 s5, s8, s5
	v_lshlrev_b64 v[18:19], 2, v[0:1]
	v_lshrrev_b32_e32 v0, 4, v20
	v_mul_hi_u32_u24_e32 v21, 36, v27
	v_mul_u32_u24_e32 v20, 36, v27
	s_movk_i32 s8, 0x120
	s_mul_i32 s13, s4, s13
	s_add_i32 s5, s5, s9
	v_mad_u64_u32 v[20:21], s[8:9], v0, s8, v[20:21]
	s_mul_hi_u32 s8, s13, 36
	s_mul_i32 s13, s13, 36
	s_waitcnt lgkmcnt(0)
	s_add_u32 s11, s18, s13
	v_and_b32_e32 v6, 0xf8, v6
	v_and_b32_e32 v9, 0xfc, v9
	v_and_b32_e32 v10, 0xf8, v10
	v_and_b32_e32 v13, 0xfc, v13
	v_and_b32_e32 v14, 0xf8, v14
	v_and_b32_e32 v16, 0xfc, v16
	s_mul_hi_u32 s9, s15, 36
	s_mul_i32 s15, s15, 36
	s_addc_u32 s12, s19, s8
	v_sub_u16_e32 v6, v8, v6
	v_sub_u16_e32 v8, v8, v9
	;; [unrolled: 1-line block ×6, first 2 shown]
	s_add_u32 s8, s11, s15
	v_bfe_i32 v2, v2, 0, 8
	v_bfe_i32 v4, v4, 0, 8
	;; [unrolled: 1-line block ×8, first 2 shown]
	s_addc_u32 s9, s12, s9
	v_ashrrev_i32_e32 v3, 31, v2
	v_ashrrev_i32_e32 v5, 31, v4
	;; [unrolled: 1-line block ×8, first 2 shown]
	v_lshl_add_u64 v[20:21], s[8:9], 0, v[20:21]
	s_mov_b64 s[8:9], 0
	s_movk_i32 s11, 0x6e
	v_lshlrev_b32_e32 v0, 1, v22
	v_lshlrev_b32_e32 v22, 1, v34
	s_mov_b64 s[12:13], 0x900
	v_mov_b32_e32 v34, v1
.LBB112_9:                              ; =>This Inner Loop Header: Depth=1
	v_add_u32_e32 v37, s5, v26
	v_mov_b64_e32 v[38:39], s[16:17]
	v_mov_b32_e32 v23, v1
	v_mad_i64_i32 v[38:39], s[18:19], v37, s11, v[38:39]
	v_lshl_add_u64 v[40:41], v[20:21], 0, v[18:19]
	v_lshl_add_u64 v[42:43], v[38:39], 0, v[22:23]
	global_load_dword v56, v[20:21], off
	global_load_dword v37, v[40:41], off offset:4
	global_load_dword v57, v[40:41], off offset:40
	;; [unrolled: 1-line block ×4, first 2 shown]
	global_load_ushort v60, v[38:39], off offset:108
	global_load_dword v23, v[42:43], off
	v_lshl_add_u64 v[40:41], v[38:39], 0, v[0:1]
	v_lshl_add_u64 v[44:45], v[38:39], 0, v[2:3]
	;; [unrolled: 1-line block ×9, first 2 shown]
	global_load_ubyte v61, v[44:45], off offset:96
	global_load_ubyte v62, v[46:47], off offset:104
	global_load_dword v63, v[40:41], off offset:32
                                        ; kill: killed $vgpr46_vgpr47
                                        ; kill: killed $vgpr40_vgpr41
                                        ; kill: killed $vgpr44_vgpr45
	s_nop 0
	global_load_ubyte v40, v[48:49], off offset:96
	global_load_ubyte v41, v[50:51], off offset:104
	;; [unrolled: 1-line block ×6, first 2 shown]
	v_add_u32_e32 v26, 8, v26
	v_cmp_le_u32_e32 vcc, s3, v26
	s_or_b64 s[8:9], vcc, s[8:9]
	s_waitcnt vmcnt(8)
	v_bfe_u32 v38, v61, v28, 4
	v_ashrrev_i32_e32 v23, v27, v23
	s_waitcnt vmcnt(7)
	v_lshrrev_b32_e32 v39, v29, v62
	v_not_b32_e32 v23, v23
	v_lshlrev_b32_e32 v39, 4, v39
	s_waitcnt vmcnt(6)
	v_lshrrev_b32_e32 v48, 2, v63
	s_waitcnt vmcnt(5)
	v_bfe_u32 v40, v40, v30, 4
	s_waitcnt vmcnt(4)
	v_lshrrev_b32_e32 v41, v31, v41
	v_lshlrev_b32_e32 v41, 4, v41
	s_waitcnt vmcnt(2)
	v_lshrrev_b32_e32 v45, v33, v45
	v_bfe_u32 v44, v44, v32, 4
	v_lshrrev_b32_e32 v49, 4, v63
	s_waitcnt vmcnt(0)
	v_lshrrev_b32_e32 v47, v36, v47
	v_lshlrev_b32_e32 v45, 4, v45
	v_and_or_b32 v38, v39, 48, v38
	v_lshlrev_b32_e32 v39, 2, v23
	v_and_or_b32 v40, v41, 48, v40
	v_lshlrev_b32_e32 v41, 1, v23
	v_and_b32_e32 v42, 0x3030303, v63
	v_bfe_u32 v43, v63, 24, 2
	v_bfe_u32 v46, v46, v35, 4
	v_and_b32_e32 v50, 0x3030303, v48
	v_bfe_u32 v48, v48, 24, 2
	v_and_b32_e32 v51, 0x3030303, v49
	v_bfe_u32 v49, v49, 24, 2
	v_lshlrev_b32_e32 v47, 4, v47
	v_and_or_b32 v44, v45, 48, v44
	v_and_b32_e32 v45, 0x4040404, v23
	v_and_b32_e32 v39, 0x4040404, v39
	;; [unrolled: 1-line block ×3, first 2 shown]
	v_and_or_b32 v46, v47, 48, v46
	v_sub_u16_e32 v47, v51, v45
	v_sub_u16_sdwa v52, v51, v45 dst_sel:BYTE_1 dst_unused:UNUSED_PAD src0_sel:BYTE_1 src1_sel:BYTE_1
	v_sub_u16_sdwa v49, v49, v45 dst_sel:BYTE_1 dst_unused:UNUSED_PAD src0_sel:DWORD src1_sel:BYTE_3
	v_sub_u16_sdwa v45, v51, v45 dst_sel:DWORD dst_unused:UNUSED_PAD src0_sel:WORD_1 src1_sel:WORD_1
	v_sub_u16_e32 v51, v42, v39
	v_sub_u16_sdwa v53, v42, v39 dst_sel:BYTE_1 dst_unused:UNUSED_PAD src0_sel:BYTE_1 src1_sel:BYTE_1
	v_sub_u16_sdwa v43, v43, v39 dst_sel:BYTE_1 dst_unused:UNUSED_PAD src0_sel:DWORD src1_sel:BYTE_3
	v_sub_u16_sdwa v39, v42, v39 dst_sel:DWORD dst_unused:UNUSED_PAD src0_sel:WORD_1 src1_sel:WORD_1
	v_sub_u16_e32 v42, v50, v41
	v_sub_u16_sdwa v54, v50, v41 dst_sel:BYTE_1 dst_unused:UNUSED_PAD src0_sel:BYTE_1 src1_sel:BYTE_1
	v_sub_u16_sdwa v48, v48, v41 dst_sel:BYTE_1 dst_unused:UNUSED_PAD src0_sel:DWORD src1_sel:BYTE_3
	v_sub_u16_sdwa v41, v50, v41 dst_sel:DWORD dst_unused:UNUSED_PAD src0_sel:WORD_1 src1_sel:WORD_1
	v_lshrrev_b32_e32 v50, 6, v63
	v_lshrrev_b32_e32 v23, 1, v23
	;; [unrolled: 1-line block ×3, first 2 shown]
	v_and_b32_e32 v50, 0x3030303, v50
	v_and_b32_e32 v23, 0x4040404, v23
	v_or_b32_sdwa v47, v47, v52 dst_sel:DWORD dst_unused:UNUSED_PAD src0_sel:BYTE_0 src1_sel:DWORD
	v_or_b32_sdwa v45, v45, v49 dst_sel:WORD_1 dst_unused:UNUSED_PAD src0_sel:BYTE_0 src1_sel:DWORD
	v_sub_u16_e32 v49, v50, v23
	v_sub_u16_sdwa v52, v50, v23 dst_sel:BYTE_1 dst_unused:UNUSED_PAD src0_sel:BYTE_1 src1_sel:BYTE_1
	v_sub_u16_sdwa v55, v55, v23 dst_sel:BYTE_1 dst_unused:UNUSED_PAD src0_sel:DWORD src1_sel:BYTE_3
	v_sub_u16_sdwa v23, v50, v23 dst_sel:DWORD dst_unused:UNUSED_PAD src0_sel:WORD_1 src1_sel:WORD_1
	global_load_dword v50, v[20:21], off offset:36
	v_or_b32_sdwa v51, v51, v53 dst_sel:DWORD dst_unused:UNUSED_PAD src0_sel:BYTE_0 src1_sel:DWORD
	global_load_dword v53, v[20:21], off offset:72
	v_or_b32_sdwa v39, v39, v43 dst_sel:WORD_1 dst_unused:UNUSED_PAD src0_sel:BYTE_0 src1_sel:DWORD
	global_load_dword v43, v[20:21], off offset:108
	v_or_b32_sdwa v42, v42, v54 dst_sel:DWORD dst_unused:UNUSED_PAD src0_sel:BYTE_0 src1_sel:DWORD
	v_mov_b32_e32 v54, v1
	v_or_b32_sdwa v41, v41, v48 dst_sel:WORD_1 dst_unused:UNUSED_PAD src0_sel:BYTE_0 src1_sel:DWORD
	v_or_b32_sdwa v49, v49, v52 dst_sel:DWORD dst_unused:UNUSED_PAD src0_sel:BYTE_0 src1_sel:DWORD
	v_or_b32_sdwa v23, v23, v55 dst_sel:WORD_1 dst_unused:UNUSED_PAD src0_sel:BYTE_0 src1_sel:DWORD
	v_or_b32_sdwa v39, v51, v39 dst_sel:DWORD dst_unused:UNUSED_PAD src0_sel:WORD_0 src1_sel:DWORD
	v_mov_b32_e32 v48, v1
	v_mov_b32_e32 v52, v1
	v_subrev_u32_e32 v38, 32, v38
	v_or_b32_sdwa v41, v42, v41 dst_sel:DWORD dst_unused:UNUSED_PAD src0_sel:WORD_0 src1_sel:DWORD
	v_or_b32_sdwa v23, v49, v23 dst_sel:DWORD dst_unused:UNUSED_PAD src0_sel:WORD_0 src1_sel:DWORD
	v_dot4c_i32_i8_e32 v54, v39, v37
	v_or_b32_sdwa v45, v47, v45 dst_sel:DWORD dst_unused:UNUSED_PAD src0_sel:WORD_0 src1_sel:DWORD
	v_mov_b32_e32 v47, v1
	v_subrev_u32_e32 v40, 32, v40
	v_dot4c_i32_i8_e32 v48, v41, v57
	v_dot4c_i32_i8_e32 v52, v23, v59
	v_mul_lo_u32 v23, v38, v54
	v_subrev_u32_e32 v44, 32, v44
	v_dot4c_i32_i8_e32 v47, v45, v58
	v_mul_lo_u32 v38, v40, v48
	v_cvt_f32_i32_e32 v23, v23
	v_subrev_u32_e32 v46, 32, v46
	v_mul_lo_u32 v37, v44, v47
	v_cvt_f32_i32_e32 v38, v38
	v_cvt_f32_i32_e32 v37, v37
	v_mul_lo_u32 v39, v46, v52
	v_cvt_f32_i32_e32 v39, v39
	v_fma_mix_f32 v23, v56, v23, 0 op_sel_hi:[1,0,0]
	v_lshl_add_u64 v[20:21], v[20:21], 0, s[12:13]
	s_waitcnt vmcnt(2)
	v_fma_mix_f32 v23, v50, v38, v23 op_sel_hi:[1,0,0]
	s_waitcnt vmcnt(1)
	v_fma_mix_f32 v23, v53, v37, v23 op_sel_hi:[1,0,0]
	;; [unrolled: 2-line block ×3, first 2 shown]
	s_nop 0
	v_fma_mix_f32 v34, v23, v60, v34 op_sel_hi:[0,1,0]
	s_andn2_b64 exec, exec, s[8:9]
	s_cbranch_execnz .LBB112_9
; %bb.10:
	s_or_b64 exec, exec, s[8:9]
.LBB112_11:
	s_or_b64 exec, exec, s[6:7]
	v_cmp_eq_u32_e32 vcc, 0, v25
	v_cmp_ne_u32_e64 s[6:7], 0, v25
	v_lshlrev_b32_e32 v0, 2, v24
	s_waitcnt lgkmcnt(0)
	s_and_saveexec_b64 s[8:9], s[6:7]
	s_cbranch_execz .LBB112_13
; %bb.12:
	v_lshlrev_b32_e32 v1, 8, v25
	s_movk_i32 s3, 0xff00
	v_add3_u32 v1, v1, v0, s3
	ds_write_b32 v1, v34
.LBB112_13:
	s_or_b64 exec, exec, s[8:9]
	s_waitcnt lgkmcnt(0)
	s_barrier
	s_and_saveexec_b64 s[6:7], vcc
	s_cbranch_execz .LBB112_16
; %bb.14:
	v_mbcnt_lo_u32_b32 v1, -1, 0
	ds_read_b32 v0, v0
	v_mbcnt_hi_u32_b32 v1, -1, v1
	v_and_b32_e32 v2, 64, v1
	v_add_u32_e32 v2, 64, v2
	v_xor_b32_e32 v3, 32, v1
	v_cmp_lt_i32_e32 vcc, v3, v2
	s_waitcnt lgkmcnt(0)
	v_add_f32_e32 v0, v34, v0
	s_mov_b32 s3, 0
	v_cndmask_b32_e32 v3, v1, v3, vcc
	v_lshlrev_b32_e32 v3, 2, v3
	ds_bpermute_b32 v3, v3, v0
	s_waitcnt lgkmcnt(0)
	v_add_f32_e32 v0, v0, v3
	v_xor_b32_e32 v3, 16, v1
	v_cmp_lt_i32_e32 vcc, v3, v2
	s_nop 1
	v_cndmask_b32_e32 v3, v1, v3, vcc
	v_lshlrev_b32_e32 v3, 2, v3
	ds_bpermute_b32 v3, v3, v0
	s_waitcnt lgkmcnt(0)
	v_add_f32_e32 v0, v0, v3
	v_xor_b32_e32 v3, 8, v1
	v_cmp_lt_i32_e32 vcc, v3, v2
	s_nop 1
	v_cndmask_b32_e32 v3, v1, v3, vcc
	v_lshlrev_b32_e32 v3, 2, v3
	ds_bpermute_b32 v3, v3, v0
	s_waitcnt lgkmcnt(0)
	v_add_f32_e32 v0, v0, v3
	v_xor_b32_e32 v3, 4, v1
	v_cmp_lt_i32_e32 vcc, v3, v2
	s_nop 1
	v_cndmask_b32_e32 v3, v1, v3, vcc
	v_lshlrev_b32_e32 v3, 2, v3
	ds_bpermute_b32 v3, v3, v0
	s_waitcnt lgkmcnt(0)
	v_add_f32_e32 v0, v0, v3
	v_xor_b32_e32 v3, 2, v1
	v_cmp_lt_i32_e32 vcc, v3, v2
	s_nop 1
	v_cndmask_b32_e32 v3, v1, v3, vcc
	v_lshlrev_b32_e32 v3, 2, v3
	ds_bpermute_b32 v3, v3, v0
	s_waitcnt lgkmcnt(0)
	v_add_f32_e32 v0, v0, v3
	v_xor_b32_e32 v3, 1, v1
	v_cmp_lt_i32_e32 vcc, v3, v2
	s_nop 1
	v_cndmask_b32_e32 v1, v1, v3, vcc
	v_lshlrev_b32_e32 v1, 2, v1
	ds_bpermute_b32 v1, v1, v0
	v_cmp_eq_u32_e32 vcc, 0, v24
	s_and_b64 exec, exec, vcc
	s_cbranch_execz .LBB112_16
; %bb.15:
	s_load_dwordx2 s[0:1], s[0:1], 0x38
	s_mul_i32 s5, s20, s10
	s_mul_i32 s4, s4, s14
	s_add_i32 s2, s5, s2
	s_add_i32 s2, s2, s4
	s_lshl_b64 s[2:3], s[2:3], 2
	s_waitcnt lgkmcnt(0)
	s_add_u32 s0, s0, s2
	s_addc_u32 s1, s1, s3
	v_mov_b32_e32 v2, 0
	v_add_f32_e32 v0, v0, v1
	global_store_dword v2, v0, s[0:1]
.LBB112_16:
	s_endpgm
	.section	.rodata,"a",@progbits
	.p2align	6, 0x0
	.amdhsa_kernel _ZL13mul_mat_vec_qIL9ggml_type11ELi1ELb0ELb0EEvPKvS2_PKi31ggml_cuda_mm_fusion_args_devicePfj15HIP_vector_typeIjLj3EEjjjS8_jjjS8_jjjj
		.amdhsa_group_segment_fixed_size 256
		.amdhsa_private_segment_fixed_size 0
		.amdhsa_kernarg_size 144
		.amdhsa_user_sgpr_count 2
		.amdhsa_user_sgpr_dispatch_ptr 0
		.amdhsa_user_sgpr_queue_ptr 0
		.amdhsa_user_sgpr_kernarg_segment_ptr 1
		.amdhsa_user_sgpr_dispatch_id 0
		.amdhsa_user_sgpr_kernarg_preload_length 0
		.amdhsa_user_sgpr_kernarg_preload_offset 0
		.amdhsa_user_sgpr_private_segment_size 0
		.amdhsa_uses_dynamic_stack 0
		.amdhsa_enable_private_segment 0
		.amdhsa_system_sgpr_workgroup_id_x 1
		.amdhsa_system_sgpr_workgroup_id_y 1
		.amdhsa_system_sgpr_workgroup_id_z 1
		.amdhsa_system_sgpr_workgroup_info 0
		.amdhsa_system_vgpr_workitem_id 1
		.amdhsa_next_free_vgpr 64
		.amdhsa_next_free_sgpr 24
		.amdhsa_accum_offset 64
		.amdhsa_reserve_vcc 1
		.amdhsa_float_round_mode_32 0
		.amdhsa_float_round_mode_16_64 0
		.amdhsa_float_denorm_mode_32 3
		.amdhsa_float_denorm_mode_16_64 3
		.amdhsa_dx10_clamp 1
		.amdhsa_ieee_mode 1
		.amdhsa_fp16_overflow 0
		.amdhsa_tg_split 0
		.amdhsa_exception_fp_ieee_invalid_op 0
		.amdhsa_exception_fp_denorm_src 0
		.amdhsa_exception_fp_ieee_div_zero 0
		.amdhsa_exception_fp_ieee_overflow 0
		.amdhsa_exception_fp_ieee_underflow 0
		.amdhsa_exception_fp_ieee_inexact 0
		.amdhsa_exception_int_div_zero 0
	.end_amdhsa_kernel
	.section	.text._ZL13mul_mat_vec_qIL9ggml_type11ELi1ELb0ELb0EEvPKvS2_PKi31ggml_cuda_mm_fusion_args_devicePfj15HIP_vector_typeIjLj3EEjjjS8_jjjS8_jjjj,"axG",@progbits,_ZL13mul_mat_vec_qIL9ggml_type11ELi1ELb0ELb0EEvPKvS2_PKi31ggml_cuda_mm_fusion_args_devicePfj15HIP_vector_typeIjLj3EEjjjS8_jjjS8_jjjj,comdat
.Lfunc_end112:
	.size	_ZL13mul_mat_vec_qIL9ggml_type11ELi1ELb0ELb0EEvPKvS2_PKi31ggml_cuda_mm_fusion_args_devicePfj15HIP_vector_typeIjLj3EEjjjS8_jjjS8_jjjj, .Lfunc_end112-_ZL13mul_mat_vec_qIL9ggml_type11ELi1ELb0ELb0EEvPKvS2_PKi31ggml_cuda_mm_fusion_args_devicePfj15HIP_vector_typeIjLj3EEjjjS8_jjjS8_jjjj
                                        ; -- End function
	.section	.AMDGPU.csdata,"",@progbits
; Kernel info:
; codeLenInByte = 2236
; NumSgprs: 30
; NumVgprs: 64
; NumAgprs: 0
; TotalNumVgprs: 64
; ScratchSize: 0
; MemoryBound: 0
; FloatMode: 240
; IeeeMode: 1
; LDSByteSize: 256 bytes/workgroup (compile time only)
; SGPRBlocks: 3
; VGPRBlocks: 7
; NumSGPRsForWavesPerEU: 30
; NumVGPRsForWavesPerEU: 64
; AccumOffset: 64
; Occupancy: 8
; WaveLimiterHint : 0
; COMPUTE_PGM_RSRC2:SCRATCH_EN: 0
; COMPUTE_PGM_RSRC2:USER_SGPR: 2
; COMPUTE_PGM_RSRC2:TRAP_HANDLER: 0
; COMPUTE_PGM_RSRC2:TGID_X_EN: 1
; COMPUTE_PGM_RSRC2:TGID_Y_EN: 1
; COMPUTE_PGM_RSRC2:TGID_Z_EN: 1
; COMPUTE_PGM_RSRC2:TIDIG_COMP_CNT: 1
; COMPUTE_PGM_RSRC3_GFX90A:ACCUM_OFFSET: 15
; COMPUTE_PGM_RSRC3_GFX90A:TG_SPLIT: 0
	.section	.text._ZL13mul_mat_vec_qIL9ggml_type11ELi2ELb0ELb0EEvPKvS2_PKi31ggml_cuda_mm_fusion_args_devicePfj15HIP_vector_typeIjLj3EEjjjS8_jjjS8_jjjj,"axG",@progbits,_ZL13mul_mat_vec_qIL9ggml_type11ELi2ELb0ELb0EEvPKvS2_PKi31ggml_cuda_mm_fusion_args_devicePfj15HIP_vector_typeIjLj3EEjjjS8_jjjS8_jjjj,comdat
	.globl	_ZL13mul_mat_vec_qIL9ggml_type11ELi2ELb0ELb0EEvPKvS2_PKi31ggml_cuda_mm_fusion_args_devicePfj15HIP_vector_typeIjLj3EEjjjS8_jjjS8_jjjj ; -- Begin function _ZL13mul_mat_vec_qIL9ggml_type11ELi2ELb0ELb0EEvPKvS2_PKi31ggml_cuda_mm_fusion_args_devicePfj15HIP_vector_typeIjLj3EEjjjS8_jjjS8_jjjj
	.p2align	8
	.type	_ZL13mul_mat_vec_qIL9ggml_type11ELi2ELb0ELb0EEvPKvS2_PKi31ggml_cuda_mm_fusion_args_devicePfj15HIP_vector_typeIjLj3EEjjjS8_jjjS8_jjjj,@function
_ZL13mul_mat_vec_qIL9ggml_type11ELi2ELb0ELb0EEvPKvS2_PKi31ggml_cuda_mm_fusion_args_devicePfj15HIP_vector_typeIjLj3EEjjjS8_jjjS8_jjjj: ; @_ZL13mul_mat_vec_qIL9ggml_type11ELi2ELb0ELb0EEvPKvS2_PKi31ggml_cuda_mm_fusion_args_devicePfj15HIP_vector_typeIjLj3EEjjjS8_jjjS8_jjjj
; %bb.0:
	s_load_dwordx2 s[20:21], s[0:1], 0x4
	s_load_dword s7, s[2:3], 0x40
	s_load_dwordx4 s[8:11], s[2:3], 0x50
	s_load_dword s25, s[2:3], 0x60
	s_load_dwordx4 s[12:15], s[2:3], 0x68
	s_load_dword s24, s[2:3], 0x78
	s_load_dwordx4 s[16:19], s[2:3], 0x80
	s_waitcnt lgkmcnt(0)
	s_lshr_b32 s0, s20, 16
	v_bfe_u32 v54, v0, 10, 10
	v_and_b32_e32 v52, 0x3ff, v0
	s_mul_i32 s0, s0, s21
	v_mul_u32_u24_e32 v1, s21, v54
	v_mad_u32_u24 v1, s0, v52, v1
	v_bfe_u32 v0, v0, 20, 10
	v_lshl_add_u32 v5, v54, 6, v52
	v_add_lshl_u32 v4, v1, v0, 4
	s_lshr_b32 s7, s7, 8
	v_mov_b32_e32 v0, 0
	v_lshrrev_b32_e32 v55, 4, v5
	v_add_u32_e32 v53, 0x400, v4
	s_lshl_b32 s4, s4, 1
	v_mov_b32_e32 v1, v0
	v_mov_b32_e32 v2, v0
	;; [unrolled: 1-line block ×3, first 2 shown]
	v_cmp_gt_u32_e32 vcc, s7, v55
	ds_write_b128 v4, v[0:3] offset:1024
	s_and_saveexec_b64 s[0:1], vcc
	s_cbranch_execz .LBB113_4
; %bb.1:
	v_lshrrev_b32_e32 v0, 1, v52
	v_and_b32_e32 v1, 15, v52
	v_and_b32_e32 v56, 4, v0
	;; [unrolled: 1-line block ×3, first 2 shown]
	v_lshlrev_b32_e32 v2, 1, v1
	v_sub_u32_e32 v1, v1, v0
	v_bfe_u32 v3, v52, 2, 1
	v_add_u32_e32 v1, v1, v3
	v_lshrrev_b16_e32 v3, 12, v1
	v_and_b32_e32 v3, 7, v3
	v_add_u16_e32 v3, v1, v3
	v_and_b32_e32 v4, 0xf8, v3
	v_ashrrev_i16_e32 v3, 3, v3
	v_mov_b32_e32 v15, 2
	v_lshlrev_b32_sdwa v57, v15, sext(v3) dst_sel:DWORD dst_unused:UNUSED_PAD src0_sel:DWORD src1_sel:WORD_0
	v_lshrrev_b16_e32 v3, 6, v1
	v_and_b32_e32 v3, 3, v3
	v_sub_u16_e32 v4, v1, v4
	v_add_u16_e32 v3, v1, v3
	v_bfe_i32 v6, v4, 0, 8
	v_and_b32_e32 v4, 0xfc, v3
	v_ashrrev_i16_e32 v3, 2, v3
	v_mov_b32_e32 v19, 1
	v_sub_u16_e32 v4, v1, v4
	v_lshlrev_b32_sdwa v58, v19, sext(v3) dst_sel:DWORD dst_unused:UNUSED_PAD src0_sel:DWORD src1_sel:WORD_0
	v_add_u16_e32 v3, 2, v1
	v_bfe_i32 v8, v4, 0, 8
	v_lshrrev_b16_e32 v4, 7, v3
	v_mov_b32_e32 v22, 5
	v_mov_b32_e32 v26, 6
	v_lshrrev_b16_sdwa v10, v22, v4 dst_sel:DWORD dst_unused:UNUSED_PAD src0_sel:DWORD src1_sel:BYTE_0
	v_lshrrev_b16_sdwa v4, v26, v4 dst_sel:DWORD dst_unused:UNUSED_PAD src0_sel:DWORD src1_sel:BYTE_0
	v_add_u16_e32 v10, v3, v10
	v_add_u16_e32 v4, v3, v4
	v_and_b32_e32 v11, 0xf8, v10
	v_and_b32_e32 v12, 0xfc, v4
	s_load_dwordx4 s[20:23], s[2:3], 0x0
	v_sub_u16_e32 v11, v3, v11
	v_sub_u16_e32 v3, v3, v12
	v_ashrrev_i16_sdwa v4, v15, sext(v4) dst_sel:DWORD dst_unused:UNUSED_PAD src0_sel:DWORD src1_sel:BYTE_0
	v_bfe_i32 v12, v3, 0, 8
	v_add_u16_e32 v3, 4, v1
	v_lshlrev_b32_sdwa v60, v19, sext(v4) dst_sel:DWORD dst_unused:UNUSED_PAD src0_sel:DWORD src1_sel:WORD_0
	v_lshrrev_b16_e32 v4, 7, v3
	s_mul_i32 s17, s6, s17
	v_lshrrev_b16_sdwa v14, v22, v4 dst_sel:DWORD dst_unused:UNUSED_PAD src0_sel:DWORD src1_sel:BYTE_0
	v_lshrrev_b16_sdwa v4, v26, v4 dst_sel:DWORD dst_unused:UNUSED_PAD src0_sel:DWORD src1_sel:BYTE_0
	s_mul_hi_u32 s19, s17, 36
	s_mul_i32 s17, s17, 36
	v_add_u16_e32 v14, v3, v14
	v_add_u16_e32 v4, v3, v4
	s_mul_i32 s13, s5, s13
	s_waitcnt lgkmcnt(0)
	s_add_u32 s17, s22, s17
	v_and_b32_e32 v16, 0xf8, v14
	v_and_b32_e32 v18, 0xfc, v4
	s_addc_u32 s19, s23, s19
	s_mul_hi_u32 s23, s13, 36
	s_mul_i32 s13, s13, 36
	v_sub_u16_e32 v16, v3, v16
	v_sub_u16_e32 v3, v3, v18
	v_add_u16_e32 v1, 6, v1
	s_add_u32 s22, s17, s13
	s_mul_hi_u32 s11, s11, s5
	v_ashrrev_i16_sdwa v4, v15, sext(v4) dst_sel:DWORD dst_unused:UNUSED_PAD src0_sel:DWORD src1_sel:BYTE_0
	v_bfe_i32 v20, v3, 0, 8
	v_lshrrev_b16_e32 v3, 7, v1
	s_addc_u32 s23, s19, s23
	s_add_i32 s11, s5, s11
	v_lshlrev_b32_sdwa v18, v19, sext(v4) dst_sel:DWORD dst_unused:UNUSED_PAD src0_sel:DWORD src1_sel:WORD_0
	v_lshrrev_b16_sdwa v4, v22, v3 dst_sel:DWORD dst_unused:UNUSED_PAD src0_sel:DWORD src1_sel:BYTE_0
	s_lshr_b32 s11, s11, s25
	v_mov_b32_e32 v23, 3
	v_add_u16_e32 v4, v1, v4
	v_lshrrev_b16_sdwa v3, v26, v3 dst_sel:DWORD dst_unused:UNUSED_PAD src0_sel:DWORD src1_sel:BYTE_0
	s_mul_i32 s11, s11, s12
	s_mul_hi_u32 s12, s15, s6
	v_and_b32_e32 v22, 0xf8, v4
	v_ashrrev_i16_sdwa v4, v23, sext(v4) dst_sel:DWORD dst_unused:UNUSED_PAD src0_sel:DWORD src1_sel:BYTE_0
	v_add_u16_e32 v3, v1, v3
	s_add_i32 s12, s6, s12
	v_sub_u16_e32 v24, v1, v22
	v_lshlrev_b32_sdwa v22, v15, sext(v4) dst_sel:DWORD dst_unused:UNUSED_PAD src0_sel:DWORD src1_sel:WORD_0
	v_and_b32_e32 v4, 0xfc, v3
	s_lshr_b32 s12, s12, s24
	v_sub_u16_e32 v1, v1, v4
	s_mul_i32 s15, s12, s16
	v_bfe_i32 v28, v1, 0, 8
	v_mad_u64_u32 v[30:31], s[12:13], v56, 36, s[22:23]
	v_bfe_u32 v1, v52, 3, 1
	v_mul_hi_u32_u24_e32 v35, 0x90, v1
	v_mul_u32_u24_e32 v34, 0x90, v1
	s_movk_i32 s12, 0x120
	v_mad_u64_u32 v[34:35], s[12:13], v55, s12, v[34:35]
	v_ashrrev_i16_sdwa v10, v23, sext(v10) dst_sel:DWORD dst_unused:UNUSED_PAD src0_sel:DWORD src1_sel:BYTE_0
	v_ashrrev_i16_sdwa v14, v23, sext(v14) dst_sel:DWORD dst_unused:UNUSED_PAD src0_sel:DWORD src1_sel:BYTE_0
	;; [unrolled: 1-line block ×3, first 2 shown]
	s_add_i32 s12, s4, 1
	v_mov_b32_e32 v5, 0
	v_lshlrev_b32_e32 v36, 1, v0
	v_lshlrev_b32_sdwa v59, v15, sext(v10) dst_sel:DWORD dst_unused:UNUSED_PAD src0_sel:DWORD src1_sel:WORD_0
	v_bfe_i32 v10, v11, 0, 8
	v_lshlrev_b32_sdwa v14, v15, sext(v14) dst_sel:DWORD dst_unused:UNUSED_PAD src0_sel:DWORD src1_sel:WORD_0
	v_bfe_i32 v16, v16, 0, 8
	v_bfe_i32 v24, v24, 0, 8
	v_lshlrev_b32_sdwa v26, v19, sext(v3) dst_sel:DWORD dst_unused:UNUSED_PAD src0_sel:DWORD src1_sel:WORD_0
	s_mul_i32 s16, s4, s8
	s_add_i32 s15, s15, s11
	s_mul_i32 s8, s8, s12
	v_ashrrev_i32_e32 v7, 31, v6
	v_ashrrev_i32_e32 v9, 31, v8
	;; [unrolled: 1-line block ×8, first 2 shown]
	v_mov_b32_e32 v15, v14
	v_mov_b32_e32 v19, v18
	;; [unrolled: 1-line block ×4, first 2 shown]
	s_add_i32 s11, s15, s16
	v_lshlrev_b32_e32 v32, 2, v0
	v_mov_b32_e32 v33, v5
	v_lshl_add_u64 v[34:35], s[22:23], 0, v[34:35]
	s_add_i32 s15, s15, s8
	v_lshl_add_u32 v61, v55, 3, s9
	s_mov_b64 s[8:9], 0
	s_movk_i32 s19, 0x6e
	v_lshlrev_b32_e32 v4, 1, v2
	v_lshlrev_b32_e32 v36, 1, v36
	;; [unrolled: 1-line block ×3, first 2 shown]
	s_mov_b64 s[12:13], 0x48
	s_mov_b64 s[16:17], 0x6c
	;; [unrolled: 1-line block ×3, first 2 shown]
	v_mov_b32_e32 v0, v5
	v_mov_b32_e32 v1, v5
	;; [unrolled: 1-line block ×4, first 2 shown]
.LBB113_2:                              ; =>This Inner Loop Header: Depth=1
	v_add_u32_e32 v39, s11, v55
	v_add_u32_e32 v44, s15, v55
	v_mov_b64_e32 v[42:43], s[20:21]
	v_mad_i64_i32 v[40:41], s[24:25], v39, s19, v[42:43]
	v_mad_i64_i32 v[42:43], s[24:25], v44, s19, v[42:43]
	v_mov_b32_e32 v37, v5
	v_lshl_add_u64 v[44:45], v[42:43], 0, v[6:7]
	v_lshl_add_u64 v[50:51], v[40:41], 0, v[6:7]
	;; [unrolled: 1-line block ×5, first 2 shown]
	global_load_ubyte v39, v[44:45], off offset:96
	global_load_ubyte v64, v[46:47], off offset:104
	;; [unrolled: 1-line block ×4, first 2 shown]
	v_lshl_add_u64 v[44:45], v[40:41], 0, v[4:5]
	v_lshl_add_u64 v[46:47], v[42:43], 0, v[36:37]
	global_load_dword v50, v[48:49], off
	global_load_dword v62, v[44:45], off offset:32
	v_lshl_add_u64 v[44:45], v[42:43], 0, v[4:5]
	global_load_dword v48, v[46:47], off
	global_load_dword v37, v[44:45], off offset:32
	v_add_u32_e32 v55, 8, v55
	v_cmp_le_u32_e32 vcc, s7, v55
	s_or_b64 s[8:9], vcc, s[8:9]
	s_waitcnt vmcnt(7)
	v_bfe_u32 v39, v39, v57, 4
	s_waitcnt vmcnt(6)
	v_lshrrev_b32_e32 v44, v58, v64
	s_waitcnt vmcnt(4)
	v_lshrrev_b32_e32 v46, v58, v66
	v_bfe_u32 v45, v65, v57, 4
	s_waitcnt vmcnt(3)
	v_ashrrev_i32_e32 v47, v56, v50
	v_lshlrev_b32_e32 v44, 4, v44
	v_lshlrev_b32_e32 v46, 4, v46
	v_not_b32_e32 v63, v47
	s_waitcnt vmcnt(1)
	v_ashrrev_i32_e32 v48, v56, v48
	v_and_or_b32 v39, v44, 48, v39
	v_and_or_b32 v44, v46, 48, v45
	v_lshlrev_b32_e32 v45, 2, v63
	v_not_b32_e32 v64, v48
	v_bfe_u32 v49, v62, 24, 2
	v_and_b32_e32 v50, 0x3030303, v62
	v_and_b32_e32 v45, 0x4040404, v45
	v_lshlrev_b32_e32 v48, 2, v64
	v_sub_u16_sdwa v46, v49, v45 dst_sel:BYTE_1 dst_unused:UNUSED_PAD src0_sel:DWORD src1_sel:BYTE_3
	v_sub_u16_e32 v47, v50, v45
	v_sub_u16_sdwa v49, v50, v45 dst_sel:BYTE_1 dst_unused:UNUSED_PAD src0_sel:BYTE_1 src1_sel:BYTE_1
	v_sub_u16_sdwa v45, v50, v45 dst_sel:DWORD dst_unused:UNUSED_PAD src0_sel:WORD_1 src1_sel:WORD_1
	v_and_b32_e32 v48, 0x4040404, v48
	s_waitcnt vmcnt(0)
	v_bfe_u32 v50, v37, 24, 2
	v_and_b32_e32 v51, 0x3030303, v37
	v_sub_u16_sdwa v50, v50, v48 dst_sel:BYTE_1 dst_unused:UNUSED_PAD src0_sel:DWORD src1_sel:BYTE_3
	v_sub_u16_e32 v65, v51, v48
	v_sub_u16_sdwa v66, v51, v48 dst_sel:BYTE_1 dst_unused:UNUSED_PAD src0_sel:BYTE_1 src1_sel:BYTE_1
	v_sub_u16_sdwa v48, v51, v48 dst_sel:DWORD dst_unused:UNUSED_PAD src0_sel:WORD_1 src1_sel:WORD_1
	v_or_b32_sdwa v45, v45, v46 dst_sel:WORD_1 dst_unused:UNUSED_PAD src0_sel:BYTE_0 src1_sel:DWORD
	v_or_b32_sdwa v46, v65, v66 dst_sel:DWORD dst_unused:UNUSED_PAD src0_sel:BYTE_0 src1_sel:DWORD
	v_or_b32_sdwa v48, v48, v50 dst_sel:WORD_1 dst_unused:UNUSED_PAD src0_sel:BYTE_0 src1_sel:DWORD
	v_or_b32_sdwa v47, v47, v49 dst_sel:DWORD dst_unused:UNUSED_PAD src0_sel:BYTE_0 src1_sel:DWORD
	v_or_b32_sdwa v66, v46, v48 dst_sel:DWORD dst_unused:UNUSED_PAD src0_sel:WORD_0 src1_sel:DWORD
	v_lshl_add_u64 v[48:49], v[34:35], 0, v[32:33]
	global_load_dword v46, v[48:49], off offset:4
	v_or_b32_sdwa v65, v47, v45 dst_sel:DWORD dst_unused:UNUSED_PAD src0_sel:WORD_0 src1_sel:DWORD
	v_mov_b32_e32 v45, v5
	v_mov_b32_e32 v47, v5
	v_subrev_u32_e32 v67, 32, v39
	v_subrev_u32_e32 v68, 32, v44
	v_lshlrev_b32_e32 v72, 1, v64
	v_and_b32_e32 v72, 0x4040404, v72
	s_waitcnt vmcnt(0)
	v_dot4c_i32_i8_e32 v45, v65, v46
	v_dot4c_i32_i8_e32 v47, v66, v46
	s_nop 1
	v_mul_lo_u32 v39, v68, v45
	v_mul_lo_u32 v44, v67, v47
	v_cvt_f32_i32_e32 v45, v44
	v_cvt_f32_i32_e32 v44, v39
	global_load_dword v39, v[34:35], off
	s_waitcnt vmcnt(0)
	v_cvt_f32_f16_e32 v46, v39
	v_pk_fma_f32 v[44:45], v[46:47], v[44:45], 0 op_sel_hi:[0,1,0]
	v_lshl_add_u64 v[46:47], v[42:43], 0, v[12:13]
	global_load_ubyte v39, v[46:47], off offset:104
	v_lshl_add_u64 v[46:47], v[42:43], 0, v[10:11]
	global_load_ubyte v50, v[46:47], off offset:96
	;; [unrolled: 2-line block ×4, first 2 shown]
	s_waitcnt vmcnt(3)
	v_lshrrev_b32_e32 v39, v60, v39
	v_lshlrev_b32_e32 v39, 4, v39
	s_waitcnt vmcnt(2)
	v_bfe_u32 v47, v50, v59, 4
	v_and_or_b32 v39, v39, 48, v47
	s_waitcnt vmcnt(1)
	v_lshrrev_b32_e32 v47, v60, v51
	v_lshlrev_b32_e32 v47, 4, v47
	s_waitcnt vmcnt(0)
	v_bfe_u32 v46, v46, v59, 4
	v_and_or_b32 v46, v47, 48, v46
	v_lshrrev_b32_e32 v47, 2, v62
	v_lshlrev_b32_e32 v51, 1, v63
	v_and_b32_e32 v50, 0x3030303, v47
	v_bfe_u32 v47, v47, 24, 2
	v_and_b32_e32 v51, 0x4040404, v51
	v_sub_u16_sdwa v47, v47, v51 dst_sel:BYTE_1 dst_unused:UNUSED_PAD src0_sel:DWORD src1_sel:BYTE_3
	v_sub_u16_e32 v69, v50, v51
	v_sub_u16_sdwa v70, v50, v51 dst_sel:BYTE_1 dst_unused:UNUSED_PAD src0_sel:BYTE_1 src1_sel:BYTE_1
	v_sub_u16_sdwa v50, v50, v51 dst_sel:DWORD dst_unused:UNUSED_PAD src0_sel:WORD_1 src1_sel:WORD_1
	v_lshrrev_b32_e32 v51, 2, v37
	v_and_b32_e32 v71, 0x3030303, v51
	v_bfe_u32 v51, v51, 24, 2
	v_sub_u16_sdwa v51, v51, v72 dst_sel:BYTE_1 dst_unused:UNUSED_PAD src0_sel:DWORD src1_sel:BYTE_3
	v_sub_u16_e32 v73, v71, v72
	v_sub_u16_sdwa v74, v71, v72 dst_sel:BYTE_1 dst_unused:UNUSED_PAD src0_sel:BYTE_1 src1_sel:BYTE_1
	v_sub_u16_sdwa v71, v71, v72 dst_sel:DWORD dst_unused:UNUSED_PAD src0_sel:WORD_1 src1_sel:WORD_1
	v_or_b32_sdwa v47, v50, v47 dst_sel:WORD_1 dst_unused:UNUSED_PAD src0_sel:BYTE_0 src1_sel:DWORD
	v_or_b32_sdwa v50, v73, v74 dst_sel:DWORD dst_unused:UNUSED_PAD src0_sel:BYTE_0 src1_sel:DWORD
	v_or_b32_sdwa v51, v71, v51 dst_sel:WORD_1 dst_unused:UNUSED_PAD src0_sel:BYTE_0 src1_sel:DWORD
	v_or_b32_sdwa v69, v69, v70 dst_sel:DWORD dst_unused:UNUSED_PAD src0_sel:BYTE_0 src1_sel:DWORD
	v_or_b32_sdwa v70, v50, v51 dst_sel:DWORD dst_unused:UNUSED_PAD src0_sel:WORD_0 src1_sel:DWORD
	global_load_dword v50, v[48:49], off offset:40
	v_or_b32_sdwa v69, v69, v47 dst_sel:DWORD dst_unused:UNUSED_PAD src0_sel:WORD_0 src1_sel:DWORD
	v_mov_b32_e32 v47, v5
	v_mov_b32_e32 v51, v5
	v_subrev_u32_e32 v71, 32, v39
	v_subrev_u32_e32 v72, 32, v46
	v_mov_b32_e32 v73, v5
	v_mov_b32_e32 v74, v5
	s_waitcnt vmcnt(0)
	v_dot4c_i32_i8_e32 v47, v69, v50
	v_dot4c_i32_i8_e32 v51, v70, v50
	s_nop 1
	v_mul_lo_u32 v39, v72, v47
	v_mul_lo_u32 v46, v71, v51
	v_cvt_f32_i32_e32 v47, v46
	v_cvt_f32_i32_e32 v46, v39
	global_load_dword v39, v[34:35], off offset:36
	s_waitcnt vmcnt(0)
	v_cvt_f32_f16_e32 v50, v39
	v_mov_b32_e32 v39, v5
	v_pk_fma_f32 v[44:45], v[50:51], v[46:47], v[44:45] op_sel_hi:[0,1,1]
	v_mad_u64_u32 v[50:51], s[24:25], v61, 36, v[30:31]
	v_lshl_add_u64 v[46:47], v[50:51], 0, v[38:39]
	global_load_dword v46, v[46:47], off offset:4
	v_add_u32_e32 v61, 64, v61
	s_waitcnt vmcnt(0)
	v_dot4c_i32_i8_e32 v73, v65, v46
	v_mov_b32_e32 v65, v5
	v_dot4c_i32_i8_e32 v65, v66, v46
	v_lshl_add_u64 v[46:47], v[50:51], 0, 36
	v_lshl_add_u64 v[46:47], v[46:47], 0, v[38:39]
	global_load_dword v46, v[46:47], off offset:4
	v_mul_lo_u32 v47, v67, v65
	global_load_dword v65, v[50:51], off
	v_cvt_f32_i32_e32 v47, v47
	s_waitcnt vmcnt(1)
	v_dot4c_i32_i8_e32 v74, v69, v46
	v_mov_b32_e32 v69, v5
	v_dot4c_i32_i8_e32 v69, v70, v46
	v_mul_lo_u32 v46, v68, v73
	v_cvt_f32_i32_e32 v46, v46
	s_waitcnt vmcnt(0)
	v_cvt_f32_f16_e32 v66, v65
	v_mul_lo_u32 v65, v72, v74
	v_and_b32_e32 v73, 0x4040404, v64
	v_lshrrev_b32_e32 v64, 1, v64
	v_pk_fma_f32 v[46:47], v[66:67], v[46:47], 0 op_sel_hi:[0,1,0]
	v_mul_lo_u32 v66, v71, v69
	v_cvt_f32_i32_e32 v67, v66
	v_cvt_f32_i32_e32 v66, v65
	global_load_dword v65, v[50:51], off offset:36
	v_and_b32_e32 v64, 0x4040404, v64
	s_waitcnt vmcnt(0)
	v_cvt_f32_f16_e32 v68, v65
	v_pk_fma_f32 v[46:47], v[68:69], v[66:67], v[46:47] op_sel_hi:[0,1,1]
	v_lshl_add_u64 v[66:67], v[42:43], 0, v[16:17]
	global_load_ubyte v65, v[66:67], off offset:96
	v_lshl_add_u64 v[66:67], v[42:43], 0, v[20:21]
	global_load_ubyte v68, v[66:67], off offset:104
	;; [unrolled: 2-line block ×4, first 2 shown]
	s_waitcnt vmcnt(3)
	v_bfe_u32 v65, v65, v15, 4
	s_waitcnt vmcnt(2)
	v_lshrrev_b32_e32 v67, v19, v68
	v_lshlrev_b32_e32 v67, 4, v67
	v_and_or_b32 v65, v67, 48, v65
	s_waitcnt vmcnt(1)
	v_bfe_u32 v67, v69, v14, 4
	s_waitcnt vmcnt(0)
	v_lshrrev_b32_e32 v66, v18, v66
	v_lshlrev_b32_e32 v66, 4, v66
	v_and_or_b32 v66, v66, 48, v67
	v_lshrrev_b32_e32 v67, 4, v62
	v_and_b32_e32 v68, 0x3030303, v67
	v_bfe_u32 v67, v67, 24, 2
	v_and_b32_e32 v69, 0x4040404, v63
	v_sub_u16_sdwa v67, v67, v69 dst_sel:BYTE_1 dst_unused:UNUSED_PAD src0_sel:DWORD src1_sel:BYTE_3
	v_sub_u16_e32 v70, v68, v69
	v_sub_u16_sdwa v71, v68, v69 dst_sel:BYTE_1 dst_unused:UNUSED_PAD src0_sel:BYTE_1 src1_sel:BYTE_1
	v_sub_u16_sdwa v68, v68, v69 dst_sel:DWORD dst_unused:UNUSED_PAD src0_sel:WORD_1 src1_sel:WORD_1
	v_lshrrev_b32_e32 v69, 4, v37
	v_and_b32_e32 v72, 0x3030303, v69
	v_bfe_u32 v69, v69, 24, 2
	v_sub_u16_sdwa v69, v69, v73 dst_sel:BYTE_1 dst_unused:UNUSED_PAD src0_sel:DWORD src1_sel:BYTE_3
	v_sub_u16_e32 v74, v72, v73
	v_sub_u16_sdwa v75, v72, v73 dst_sel:BYTE_1 dst_unused:UNUSED_PAD src0_sel:BYTE_1 src1_sel:BYTE_1
	v_sub_u16_sdwa v72, v72, v73 dst_sel:DWORD dst_unused:UNUSED_PAD src0_sel:WORD_1 src1_sel:WORD_1
	v_or_b32_sdwa v67, v68, v67 dst_sel:WORD_1 dst_unused:UNUSED_PAD src0_sel:BYTE_0 src1_sel:DWORD
	v_or_b32_sdwa v68, v74, v75 dst_sel:DWORD dst_unused:UNUSED_PAD src0_sel:BYTE_0 src1_sel:DWORD
	v_or_b32_sdwa v69, v72, v69 dst_sel:WORD_1 dst_unused:UNUSED_PAD src0_sel:BYTE_0 src1_sel:DWORD
	v_or_b32_sdwa v70, v70, v71 dst_sel:DWORD dst_unused:UNUSED_PAD src0_sel:BYTE_0 src1_sel:DWORD
	v_or_b32_sdwa v69, v68, v69 dst_sel:DWORD dst_unused:UNUSED_PAD src0_sel:WORD_0 src1_sel:DWORD
	global_load_dword v68, v[48:49], off offset:76
	v_or_b32_sdwa v70, v70, v67 dst_sel:DWORD dst_unused:UNUSED_PAD src0_sel:WORD_0 src1_sel:DWORD
	v_mov_b32_e32 v67, v5
	v_mov_b32_e32 v71, v5
	v_subrev_u32_e32 v65, 32, v65
	v_subrev_u32_e32 v72, 32, v66
	s_waitcnt vmcnt(0)
	v_dot4c_i32_i8_e32 v67, v70, v68
	v_dot4c_i32_i8_e32 v71, v69, v68
	global_load_dword v68, v[34:35], off offset:72
	s_nop 0
	v_mul_lo_u32 v66, v72, v67
	v_cvt_f32_i32_e32 v66, v66
	v_mul_lo_u32 v67, v65, v71
	v_cvt_f32_i32_e32 v67, v67
	s_waitcnt vmcnt(0)
	v_cvt_f32_f16_e32 v68, v68
	v_pk_fma_f32 v[44:45], v[68:69], v[66:67], v[44:45] op_sel_hi:[0,1,1]
	v_lshl_add_u64 v[66:67], v[50:51], 0, s[12:13]
	v_lshl_add_u64 v[66:67], v[66:67], 0, v[38:39]
	global_load_dword v66, v[66:67], off offset:4
	v_mov_b32_e32 v68, v5
	v_mov_b32_e32 v67, v5
	s_waitcnt vmcnt(0)
	v_dot4c_i32_i8_e32 v68, v69, v66
	v_dot4c_i32_i8_e32 v67, v70, v66
	s_nop 1
	v_mul_lo_u32 v65, v65, v68
	v_mul_lo_u32 v66, v72, v67
	v_cvt_f32_i32_e32 v67, v65
	global_load_dword v65, v[50:51], off offset:72
	v_cvt_f32_i32_e32 v66, v66
	s_waitcnt vmcnt(0)
	v_cvt_f32_f16_e32 v68, v65
	global_load_dword v65, v[48:49], off offset:112
	v_lshl_add_u64 v[48:49], v[50:51], 0, s[16:17]
	v_lshl_add_u64 v[48:49], v[48:49], 0, v[38:39]
	global_load_dword v39, v[48:49], off offset:4
	v_lshrrev_b32_e32 v48, 6, v62
	v_lshrrev_b32_e32 v49, 30, v62
	;; [unrolled: 1-line block ×3, first 2 shown]
	v_and_b32_e32 v48, 0x3030303, v48
	v_and_b32_e32 v62, 0x4040404, v62
	v_pk_fma_f32 v[46:47], v[68:69], v[66:67], v[46:47] op_sel_hi:[0,1,1]
	v_sub_u16_sdwa v49, v49, v62 dst_sel:BYTE_1 dst_unused:UNUSED_PAD src0_sel:DWORD src1_sel:BYTE_3
	v_sub_u16_e32 v63, v48, v62
	v_sub_u16_sdwa v66, v48, v62 dst_sel:BYTE_1 dst_unused:UNUSED_PAD src0_sel:BYTE_1 src1_sel:BYTE_1
	v_sub_u16_sdwa v48, v48, v62 dst_sel:DWORD dst_unused:UNUSED_PAD src0_sel:WORD_1 src1_sel:WORD_1
	v_lshrrev_b32_e32 v62, 6, v37
	v_lshrrev_b32_e32 v37, 30, v37
	v_and_b32_e32 v62, 0x3030303, v62
	v_sub_u16_sdwa v37, v37, v64 dst_sel:BYTE_1 dst_unused:UNUSED_PAD src0_sel:DWORD src1_sel:BYTE_3
	v_sub_u16_e32 v67, v62, v64
	v_sub_u16_sdwa v68, v62, v64 dst_sel:BYTE_1 dst_unused:UNUSED_PAD src0_sel:BYTE_1 src1_sel:BYTE_1
	v_sub_u16_sdwa v62, v62, v64 dst_sel:DWORD dst_unused:UNUSED_PAD src0_sel:WORD_1 src1_sel:WORD_1
	v_or_b32_sdwa v63, v63, v66 dst_sel:DWORD dst_unused:UNUSED_PAD src0_sel:BYTE_0 src1_sel:DWORD
	v_or_b32_sdwa v48, v48, v49 dst_sel:WORD_1 dst_unused:UNUSED_PAD src0_sel:BYTE_0 src1_sel:DWORD
	v_or_b32_sdwa v49, v67, v68 dst_sel:DWORD dst_unused:UNUSED_PAD src0_sel:BYTE_0 src1_sel:DWORD
	v_or_b32_sdwa v37, v62, v37 dst_sel:WORD_1 dst_unused:UNUSED_PAD src0_sel:BYTE_0 src1_sel:DWORD
	v_or_b32_sdwa v48, v63, v48 dst_sel:DWORD dst_unused:UNUSED_PAD src0_sel:WORD_0 src1_sel:DWORD
	v_or_b32_sdwa v37, v49, v37 dst_sel:DWORD dst_unused:UNUSED_PAD src0_sel:WORD_0 src1_sel:DWORD
	v_mov_b32_e32 v62, v5
	v_mov_b32_e32 v63, v5
	;; [unrolled: 1-line block ×3, first 2 shown]
	s_waitcnt vmcnt(1)
	v_dot4c_i32_i8_e32 v62, v48, v65
	v_dot4c_i32_i8_e32 v63, v37, v65
	v_mov_b32_e32 v65, v5
	s_waitcnt vmcnt(0)
	v_dot4c_i32_i8_e32 v64, v48, v39
	v_lshl_add_u64 v[48:49], v[42:43], 0, v[24:25]
	v_dot4c_i32_i8_e32 v65, v37, v39
	global_load_dword v37, v[50:51], off offset:108
	global_load_ubyte v39, v[48:49], off offset:96
	s_nop 0
	global_load_ushort v50, v[42:43], off offset:108
	v_lshl_add_u64 v[42:43], v[42:43], 0, v[28:29]
	global_load_ubyte v48, v[42:43], off offset:104
	v_lshl_add_u64 v[42:43], v[40:41], 0, v[24:25]
	global_load_ubyte v49, v[42:43], off offset:96
	global_load_ushort v51, v[40:41], off offset:108
	v_lshl_add_u64 v[40:41], v[40:41], 0, v[28:29]
	global_load_ubyte v42, v[40:41], off offset:104
	s_waitcnt vmcnt(5)
	v_bfe_u32 v39, v39, v23, 4
	s_waitcnt vmcnt(4)
	v_cvt_f32_f16_e32 v41, v50
	s_waitcnt vmcnt(3)
	v_lshrrev_b32_e32 v43, v27, v48
	v_lshlrev_b32_e32 v43, 4, v43
	v_and_or_b32 v39, v43, 48, v39
	s_waitcnt vmcnt(2)
	v_bfe_u32 v43, v49, v22, 4
	s_waitcnt vmcnt(0)
	v_lshrrev_b32_e32 v42, v26, v42
	v_lshlrev_b32_e32 v42, 4, v42
	v_and_or_b32 v42, v42, 48, v43
	global_load_dword v43, v[34:35], off offset:108
	v_subrev_u32_e32 v42, 32, v42
	v_subrev_u32_e32 v39, 32, v39
	v_mul_lo_u32 v48, v42, v62
	v_mul_lo_u32 v50, v42, v64
	v_cvt_f32_f16_e32 v40, v51
	v_cvt_f32_i32_e32 v48, v48
	v_cvt_f32_i32_e32 v50, v50
	v_cvt_f32_f16_e32 v62, v37
	v_lshl_add_u64 v[34:35], v[34:35], 0, s[22:23]
	s_waitcnt vmcnt(0)
	v_cvt_f32_f16_e32 v42, v43
	v_mul_lo_u32 v43, v39, v63
	v_mul_lo_u32 v39, v39, v65
	v_cvt_f32_i32_e32 v49, v43
	v_cvt_f32_i32_e32 v51, v39
	v_pk_fma_f32 v[42:43], v[42:43], v[48:49], v[44:45] op_sel_hi:[0,1,1]
	v_pk_fma_f32 v[44:45], v[62:63], v[50:51], v[46:47] op_sel_hi:[0,1,1]
	v_pk_fma_f32 v[0:1], v[42:43], v[40:41], v[0:1]
	v_pk_fma_f32 v[2:3], v[44:45], v[40:41], v[2:3]
	s_andn2_b64 exec, exec, s[8:9]
	s_cbranch_execnz .LBB113_2
; %bb.3:
	s_or_b64 exec, exec, s[8:9]
	ds_write_b128 v53, v[0:3]
.LBB113_4:
	s_or_b64 exec, exec, s[0:1]
	v_cmp_eq_u32_e32 vcc, 0, v54
	v_cmp_ne_u32_e64 s[0:1], 0, v54
	v_lshlrev_b32_e32 v4, 2, v52
	s_and_saveexec_b64 s[8:9], s[0:1]
	s_cbranch_execz .LBB113_6
; %bb.5:
	v_lshl_or_b32 v5, v54, 10, v4
	v_add_u32_e32 v5, 0xfffffc00, v5
	ds_write2st64_b32 v5, v0, v1 offset1:1
	ds_write2st64_b32 v5, v2, v3 offset0:2 offset1:3
.LBB113_6:
	s_or_b64 exec, exec, s[8:9]
	s_waitcnt lgkmcnt(0)
	s_barrier
	s_and_saveexec_b64 s[0:1], vcc
	s_cbranch_execz .LBB113_11
; %bb.7:
	v_mbcnt_lo_u32_b32 v0, -1, 0
	v_mbcnt_hi_u32_b32 v12, -1, v0
	ds_read2st64_b32 v[2:3], v4 offset1:1
	ds_read_b64 v[6:7], v53
	v_and_b32_e32 v0, 64, v12
	v_add_u32_e32 v13, 64, v0
	v_xor_b32_e32 v0, 32, v12
	v_cmp_lt_i32_e32 vcc, v0, v13
	s_waitcnt lgkmcnt(0)
	v_pk_add_f32 v[2:3], v[2:3], v[6:7]
	v_xor_b32_e32 v1, 16, v12
	v_cndmask_b32_e32 v0, v12, v0, vcc
	v_lshlrev_b32_e32 v0, 2, v0
	ds_bpermute_b32 v6, v0, v2
	ds_bpermute_b32 v7, v0, v3
	v_cmp_lt_i32_e32 vcc, v1, v13
	v_xor_b32_e32 v5, 2, v12
	s_load_dwordx2 s[0:1], s[2:3], 0x38
	v_cndmask_b32_e32 v1, v12, v1, vcc
	v_lshlrev_b32_e32 v1, 2, v1
	s_waitcnt lgkmcnt(0)
	v_pk_add_f32 v[6:7], v[2:3], v[6:7]
	ds_bpermute_b32 v8, v1, v6
	ds_bpermute_b32 v9, v1, v7
	v_xor_b32_e32 v2, 8, v12
	v_cmp_lt_i32_e32 vcc, v2, v13
	v_xor_b32_e32 v3, 4, v12
	s_mul_i32 s2, s5, s14
	v_cndmask_b32_e32 v2, v12, v2, vcc
	v_lshlrev_b32_e32 v2, 2, v2
	s_waitcnt lgkmcnt(0)
	v_pk_add_f32 v[6:7], v[6:7], v[8:9]
	ds_bpermute_b32 v8, v2, v6
	ds_bpermute_b32 v9, v2, v7
	v_cmp_lt_i32_e32 vcc, v3, v13
	s_mul_i32 s6, s6, s18
	s_add_i32 s2, s2, s4
	v_cndmask_b32_e32 v3, v12, v3, vcc
	v_lshlrev_b32_e32 v3, 2, v3
	s_waitcnt lgkmcnt(0)
	v_pk_add_f32 v[6:7], v[6:7], v[8:9]
	ds_bpermute_b32 v8, v3, v6
	ds_bpermute_b32 v9, v3, v7
	v_cmp_lt_i32_e32 vcc, v5, v13
	s_add_i32 s2, s2, s6
	s_mov_b32 s3, 0
	v_cndmask_b32_e32 v5, v12, v5, vcc
	v_lshlrev_b32_e32 v5, 2, v5
	s_waitcnt lgkmcnt(0)
	v_pk_add_f32 v[8:9], v[6:7], v[8:9]
	ds_bpermute_b32 v10, v5, v8
	ds_bpermute_b32 v11, v5, v9
	v_xor_b32_e32 v6, 1, v12
	v_cmp_lt_i32_e32 vcc, v6, v13
	s_lshl_b64 s[2:3], s[2:3], 2
	s_add_u32 s2, s0, s2
	v_cndmask_b32_e32 v6, v12, v6, vcc
	v_lshlrev_b32_e32 v6, 2, v6
	s_waitcnt lgkmcnt(0)
	v_pk_add_f32 v[8:9], v[8:9], v[10:11]
	ds_bpermute_b32 v10, v6, v8
	ds_bpermute_b32 v11, v6, v9
	v_or_b32_e32 v7, s4, v52
	s_addc_u32 s3, s1, s3
	v_cmp_gt_u32_e32 vcc, 2, v52
	v_cmp_gt_u32_e64 s[0:1], s10, v7
	s_and_b64 s[0:1], vcc, s[0:1]
	s_waitcnt lgkmcnt(0)
	v_pk_add_f32 v[8:9], v[8:9], v[10:11]
	ds_write_b64 v53, v[8:9]
	s_and_saveexec_b64 s[4:5], s[0:1]
	s_cbranch_execz .LBB113_9
; %bb.8:
	v_add_u32_e32 v7, v53, v4
	ds_read_b32 v7, v7
	s_waitcnt lgkmcnt(0)
	global_store_dword v4, v7, s[2:3]
.LBB113_9:
	s_or_b64 exec, exec, s[4:5]
	ds_read2st64_b32 v[8:9], v4 offset0:2 offset1:3
	ds_read_b64 v[10:11], v53 offset:8
	s_waitcnt lgkmcnt(0)
	v_pk_add_f32 v[8:9], v[8:9], v[10:11]
	ds_bpermute_b32 v10, v0, v8
	ds_bpermute_b32 v11, v0, v9
	s_waitcnt lgkmcnt(0)
	v_pk_add_f32 v[8:9], v[8:9], v[10:11]
	ds_bpermute_b32 v0, v1, v8
	ds_bpermute_b32 v1, v1, v9
	;; [unrolled: 4-line block ×6, first 2 shown]
	s_waitcnt lgkmcnt(0)
	v_pk_add_f32 v[0:1], v[0:1], v[2:3]
	ds_write_b64 v53, v[0:1] offset:8
	s_and_b64 exec, exec, s[0:1]
	s_cbranch_execz .LBB113_11
; %bb.10:
	v_lshl_add_u32 v0, v52, 2, v53
	ds_read_b32 v2, v0 offset:8
	v_add_u32_e32 v0, s10, v52
	v_mov_b32_e32 v1, 0
	v_lshl_add_u64 v[0:1], v[0:1], 2, s[2:3]
	s_waitcnt lgkmcnt(0)
	global_store_dword v[0:1], v2, off
.LBB113_11:
	s_endpgm
	.section	.rodata,"a",@progbits
	.p2align	6, 0x0
	.amdhsa_kernel _ZL13mul_mat_vec_qIL9ggml_type11ELi2ELb0ELb0EEvPKvS2_PKi31ggml_cuda_mm_fusion_args_devicePfj15HIP_vector_typeIjLj3EEjjjS8_jjjS8_jjjj
		.amdhsa_group_segment_fixed_size 3072
		.amdhsa_private_segment_fixed_size 0
		.amdhsa_kernarg_size 144
		.amdhsa_user_sgpr_count 4
		.amdhsa_user_sgpr_dispatch_ptr 1
		.amdhsa_user_sgpr_queue_ptr 0
		.amdhsa_user_sgpr_kernarg_segment_ptr 1
		.amdhsa_user_sgpr_dispatch_id 0
		.amdhsa_user_sgpr_kernarg_preload_length 0
		.amdhsa_user_sgpr_kernarg_preload_offset 0
		.amdhsa_user_sgpr_private_segment_size 0
		.amdhsa_uses_dynamic_stack 0
		.amdhsa_enable_private_segment 0
		.amdhsa_system_sgpr_workgroup_id_x 1
		.amdhsa_system_sgpr_workgroup_id_y 1
		.amdhsa_system_sgpr_workgroup_id_z 1
		.amdhsa_system_sgpr_workgroup_info 0
		.amdhsa_system_vgpr_workitem_id 2
		.amdhsa_next_free_vgpr 76
		.amdhsa_next_free_sgpr 26
		.amdhsa_accum_offset 76
		.amdhsa_reserve_vcc 1
		.amdhsa_float_round_mode_32 0
		.amdhsa_float_round_mode_16_64 0
		.amdhsa_float_denorm_mode_32 3
		.amdhsa_float_denorm_mode_16_64 3
		.amdhsa_dx10_clamp 1
		.amdhsa_ieee_mode 1
		.amdhsa_fp16_overflow 0
		.amdhsa_tg_split 0
		.amdhsa_exception_fp_ieee_invalid_op 0
		.amdhsa_exception_fp_denorm_src 0
		.amdhsa_exception_fp_ieee_div_zero 0
		.amdhsa_exception_fp_ieee_overflow 0
		.amdhsa_exception_fp_ieee_underflow 0
		.amdhsa_exception_fp_ieee_inexact 0
		.amdhsa_exception_int_div_zero 0
	.end_amdhsa_kernel
	.section	.text._ZL13mul_mat_vec_qIL9ggml_type11ELi2ELb0ELb0EEvPKvS2_PKi31ggml_cuda_mm_fusion_args_devicePfj15HIP_vector_typeIjLj3EEjjjS8_jjjS8_jjjj,"axG",@progbits,_ZL13mul_mat_vec_qIL9ggml_type11ELi2ELb0ELb0EEvPKvS2_PKi31ggml_cuda_mm_fusion_args_devicePfj15HIP_vector_typeIjLj3EEjjjS8_jjjS8_jjjj,comdat
.Lfunc_end113:
	.size	_ZL13mul_mat_vec_qIL9ggml_type11ELi2ELb0ELb0EEvPKvS2_PKi31ggml_cuda_mm_fusion_args_devicePfj15HIP_vector_typeIjLj3EEjjjS8_jjjS8_jjjj, .Lfunc_end113-_ZL13mul_mat_vec_qIL9ggml_type11ELi2ELb0ELb0EEvPKvS2_PKi31ggml_cuda_mm_fusion_args_devicePfj15HIP_vector_typeIjLj3EEjjjS8_jjjS8_jjjj
                                        ; -- End function
	.section	.AMDGPU.csdata,"",@progbits
; Kernel info:
; codeLenInByte = 3784
; NumSgprs: 32
; NumVgprs: 76
; NumAgprs: 0
; TotalNumVgprs: 76
; ScratchSize: 0
; MemoryBound: 0
; FloatMode: 240
; IeeeMode: 1
; LDSByteSize: 3072 bytes/workgroup (compile time only)
; SGPRBlocks: 3
; VGPRBlocks: 9
; NumSGPRsForWavesPerEU: 32
; NumVGPRsForWavesPerEU: 76
; AccumOffset: 76
; Occupancy: 6
; WaveLimiterHint : 0
; COMPUTE_PGM_RSRC2:SCRATCH_EN: 0
; COMPUTE_PGM_RSRC2:USER_SGPR: 4
; COMPUTE_PGM_RSRC2:TRAP_HANDLER: 0
; COMPUTE_PGM_RSRC2:TGID_X_EN: 1
; COMPUTE_PGM_RSRC2:TGID_Y_EN: 1
; COMPUTE_PGM_RSRC2:TGID_Z_EN: 1
; COMPUTE_PGM_RSRC2:TIDIG_COMP_CNT: 2
; COMPUTE_PGM_RSRC3_GFX90A:ACCUM_OFFSET: 18
; COMPUTE_PGM_RSRC3_GFX90A:TG_SPLIT: 0
	.section	.text._ZL13mul_mat_vec_qIL9ggml_type11ELi3ELb0ELb0EEvPKvS2_PKi31ggml_cuda_mm_fusion_args_devicePfj15HIP_vector_typeIjLj3EEjjjS8_jjjS8_jjjj,"axG",@progbits,_ZL13mul_mat_vec_qIL9ggml_type11ELi3ELb0ELb0EEvPKvS2_PKi31ggml_cuda_mm_fusion_args_devicePfj15HIP_vector_typeIjLj3EEjjjS8_jjjS8_jjjj,comdat
	.globl	_ZL13mul_mat_vec_qIL9ggml_type11ELi3ELb0ELb0EEvPKvS2_PKi31ggml_cuda_mm_fusion_args_devicePfj15HIP_vector_typeIjLj3EEjjjS8_jjjS8_jjjj ; -- Begin function _ZL13mul_mat_vec_qIL9ggml_type11ELi3ELb0ELb0EEvPKvS2_PKi31ggml_cuda_mm_fusion_args_devicePfj15HIP_vector_typeIjLj3EEjjjS8_jjjS8_jjjj
	.p2align	8
	.type	_ZL13mul_mat_vec_qIL9ggml_type11ELi3ELb0ELb0EEvPKvS2_PKi31ggml_cuda_mm_fusion_args_devicePfj15HIP_vector_typeIjLj3EEjjjS8_jjjS8_jjjj,@function
_ZL13mul_mat_vec_qIL9ggml_type11ELi3ELb0ELb0EEvPKvS2_PKi31ggml_cuda_mm_fusion_args_devicePfj15HIP_vector_typeIjLj3EEjjjS8_jjjS8_jjjj: ; @_ZL13mul_mat_vec_qIL9ggml_type11ELi3ELb0ELb0EEvPKvS2_PKi31ggml_cuda_mm_fusion_args_devicePfj15HIP_vector_typeIjLj3EEjjjS8_jjjS8_jjjj
; %bb.0:
	v_bfe_u32 v65, v0, 10, 10
	v_and_b32_e32 v64, 0x3ff, v0
	v_lshl_add_u32 v4, v65, 6, v64
	s_load_dword s6, s[0:1], 0x40
	s_load_dwordx4 s[8:11], s[0:1], 0x50
	s_load_dword s25, s[0:1], 0x60
	s_load_dwordx4 s[12:15], s[0:1], 0x68
	;; [unrolled: 2-line block ×3, first 2 shown]
	s_lshl_b32 s5, s2, 1
	s_waitcnt lgkmcnt(0)
	s_lshr_b32 s2, s6, 8
	v_mov_b32_e32 v0, 0
	v_lshrrev_b32_e32 v66, 4, v4
	v_mov_b32_e32 v1, v0
	v_mov_b32_e32 v2, v0
	;; [unrolled: 1-line block ×3, first 2 shown]
	v_cmp_gt_u32_e32 vcc, s2, v66
	v_mov_b32_e32 v27, v0
	v_mov_b32_e32 v26, v0
	scratch_store_dwordx2 off, v[0:1], off offset:16
	scratch_store_dwordx4 off, v[0:3], off
	s_and_saveexec_b64 s[6:7], vcc
	s_cbranch_execz .LBB114_4
; %bb.1:
	v_lshrrev_b32_e32 v0, 1, v64
	v_and_b32_e32 v1, 15, v64
	v_and_b32_e32 v67, 4, v0
	;; [unrolled: 1-line block ×3, first 2 shown]
	v_lshlrev_b32_e32 v2, 1, v1
	v_sub_u32_e32 v1, v1, v0
	v_bfe_u32 v3, v64, 2, 1
	v_add_u32_e32 v1, v1, v3
	v_lshrrev_b16_e32 v3, 12, v1
	v_and_b32_e32 v3, 7, v3
	v_add_u16_e32 v3, v1, v3
	v_and_b32_e32 v4, 0xf8, v3
	v_ashrrev_i16_e32 v3, 3, v3
	v_mov_b32_e32 v15, 2
	v_lshlrev_b32_sdwa v68, v15, sext(v3) dst_sel:DWORD dst_unused:UNUSED_PAD src0_sel:DWORD src1_sel:WORD_0
	v_lshrrev_b16_e32 v3, 6, v1
	v_and_b32_e32 v3, 3, v3
	v_sub_u16_e32 v4, v1, v4
	v_add_u16_e32 v3, v1, v3
	v_bfe_i32 v6, v4, 0, 8
	v_and_b32_e32 v4, 0xfc, v3
	v_ashrrev_i16_e32 v3, 2, v3
	v_mov_b32_e32 v19, 1
	v_sub_u16_e32 v4, v1, v4
	v_lshlrev_b32_sdwa v69, v19, sext(v3) dst_sel:DWORD dst_unused:UNUSED_PAD src0_sel:DWORD src1_sel:WORD_0
	v_add_u16_e32 v3, 2, v1
	v_bfe_i32 v8, v4, 0, 8
	v_lshrrev_b16_e32 v4, 7, v3
	v_mov_b32_e32 v22, 5
	v_mov_b32_e32 v27, 6
	v_lshrrev_b16_sdwa v10, v22, v4 dst_sel:DWORD dst_unused:UNUSED_PAD src0_sel:DWORD src1_sel:BYTE_0
	v_lshrrev_b16_sdwa v4, v27, v4 dst_sel:DWORD dst_unused:UNUSED_PAD src0_sel:DWORD src1_sel:BYTE_0
	v_add_u16_e32 v10, v3, v10
	v_add_u16_e32 v4, v3, v4
	v_and_b32_e32 v11, 0xf8, v10
	v_and_b32_e32 v12, 0xfc, v4
	s_load_dwordx4 s[20:23], s[0:1], 0x0
	v_sub_u16_e32 v11, v3, v11
	v_sub_u16_e32 v3, v3, v12
	v_ashrrev_i16_sdwa v4, v15, sext(v4) dst_sel:DWORD dst_unused:UNUSED_PAD src0_sel:DWORD src1_sel:BYTE_0
	v_bfe_i32 v12, v3, 0, 8
	v_add_u16_e32 v3, 4, v1
	v_lshlrev_b32_sdwa v71, v19, sext(v4) dst_sel:DWORD dst_unused:UNUSED_PAD src0_sel:DWORD src1_sel:WORD_0
	v_lshrrev_b16_e32 v4, 7, v3
	s_mul_i32 s17, s4, s17
	v_lshrrev_b16_sdwa v14, v22, v4 dst_sel:DWORD dst_unused:UNUSED_PAD src0_sel:DWORD src1_sel:BYTE_0
	v_lshrrev_b16_sdwa v4, v27, v4 dst_sel:DWORD dst_unused:UNUSED_PAD src0_sel:DWORD src1_sel:BYTE_0
	s_mul_hi_u32 s19, s17, 36
	s_mul_i32 s17, s17, 36
	v_add_u16_e32 v14, v3, v14
	v_add_u16_e32 v4, v3, v4
	s_mul_i32 s13, s3, s13
	s_waitcnt lgkmcnt(0)
	s_add_u32 s17, s22, s17
	v_and_b32_e32 v16, 0xf8, v14
	v_and_b32_e32 v18, 0xfc, v4
	s_addc_u32 s19, s23, s19
	s_mul_hi_u32 s23, s13, 36
	s_mul_i32 s13, s13, 36
	v_sub_u16_e32 v16, v3, v16
	v_sub_u16_e32 v3, v3, v18
	v_add_u16_e32 v1, 6, v1
	s_add_u32 s22, s17, s13
	s_mul_hi_u32 s11, s11, s3
	v_ashrrev_i16_sdwa v4, v15, sext(v4) dst_sel:DWORD dst_unused:UNUSED_PAD src0_sel:DWORD src1_sel:BYTE_0
	v_bfe_i32 v20, v3, 0, 8
	v_lshrrev_b16_e32 v3, 7, v1
	s_addc_u32 s23, s19, s23
	s_add_i32 s11, s3, s11
	v_lshlrev_b32_sdwa v18, v19, sext(v4) dst_sel:DWORD dst_unused:UNUSED_PAD src0_sel:DWORD src1_sel:WORD_0
	v_lshrrev_b16_sdwa v4, v22, v3 dst_sel:DWORD dst_unused:UNUSED_PAD src0_sel:DWORD src1_sel:BYTE_0
	s_lshr_b32 s11, s11, s25
	v_mov_b32_e32 v23, 3
	v_add_u16_e32 v4, v1, v4
	v_lshrrev_b16_sdwa v3, v27, v3 dst_sel:DWORD dst_unused:UNUSED_PAD src0_sel:DWORD src1_sel:BYTE_0
	s_mul_i32 s11, s11, s12
	s_mul_hi_u32 s12, s15, s4
	v_and_b32_e32 v22, 0xf8, v4
	v_ashrrev_i16_sdwa v4, v23, sext(v4) dst_sel:DWORD dst_unused:UNUSED_PAD src0_sel:DWORD src1_sel:BYTE_0
	v_add_u16_e32 v3, v1, v3
	s_add_i32 s12, s4, s12
	v_sub_u16_e32 v24, v1, v22
	v_lshlrev_b32_sdwa v22, v15, sext(v4) dst_sel:DWORD dst_unused:UNUSED_PAD src0_sel:DWORD src1_sel:WORD_0
	v_and_b32_e32 v4, 0xfc, v3
	s_lshr_b32 s12, s12, s24
	v_sub_u16_e32 v1, v1, v4
	s_mul_i32 s15, s12, s16
	v_bfe_i32 v30, v1, 0, 8
	v_mad_u64_u32 v[32:33], s[12:13], v67, 36, s[22:23]
	v_bfe_u32 v1, v64, 3, 1
	v_mul_hi_u32_u24_e32 v37, 0x90, v1
	v_mul_u32_u24_e32 v36, 0x90, v1
	s_movk_i32 s12, 0x120
	v_mad_u64_u32 v[36:37], s[12:13], v66, s12, v[36:37]
	v_ashrrev_i16_sdwa v10, v23, sext(v10) dst_sel:DWORD dst_unused:UNUSED_PAD src0_sel:DWORD src1_sel:BYTE_0
	v_ashrrev_i16_sdwa v14, v23, sext(v14) dst_sel:DWORD dst_unused:UNUSED_PAD src0_sel:DWORD src1_sel:BYTE_0
	;; [unrolled: 1-line block ×3, first 2 shown]
	s_add_i32 s12, s5, 1
	v_mov_b32_e32 v5, 0
	v_lshlrev_b32_e32 v26, 1, v0
	v_lshlrev_b32_sdwa v70, v15, sext(v10) dst_sel:DWORD dst_unused:UNUSED_PAD src0_sel:DWORD src1_sel:WORD_0
	v_bfe_i32 v10, v11, 0, 8
	v_lshlrev_b32_sdwa v14, v15, sext(v14) dst_sel:DWORD dst_unused:UNUSED_PAD src0_sel:DWORD src1_sel:WORD_0
	v_bfe_i32 v16, v16, 0, 8
	v_bfe_i32 v24, v24, 0, 8
	v_lshlrev_b32_sdwa v28, v19, sext(v3) dst_sel:DWORD dst_unused:UNUSED_PAD src0_sel:DWORD src1_sel:WORD_0
	s_mul_i32 s16, s5, s8
	s_add_i32 s15, s15, s11
	s_mul_i32 s8, s8, s12
	v_lshlrev_b32_e32 v1, 3, v66
	v_ashrrev_i32_e32 v7, 31, v6
	v_ashrrev_i32_e32 v9, 31, v8
	;; [unrolled: 1-line block ×8, first 2 shown]
	v_mov_b32_e32 v15, v14
	v_mov_b32_e32 v19, v18
	;; [unrolled: 1-line block ×4, first 2 shown]
	s_add_i32 s11, s15, s16
	v_lshlrev_b32_e32 v34, 2, v0
	v_mov_b32_e32 v35, v5
	v_lshl_add_u64 v[36:37], s[22:23], 0, v[36:37]
	s_add_i32 s15, s15, s8
	v_lshl_add_u32 v72, s9, 1, v1
	v_add_u32_e32 v73, s9, v1
	s_mov_b64 s[8:9], 0
	s_movk_i32 s19, 0x6e
	v_lshlrev_b32_e32 v4, 1, v2
	v_lshlrev_b32_e32 v38, 1, v26
	;; [unrolled: 1-line block ×3, first 2 shown]
	s_mov_b64 s[12:13], 0x48
	s_mov_b64 s[16:17], 0x6c
	;; [unrolled: 1-line block ×3, first 2 shown]
	v_mov_b32_e32 v0, v5
	v_mov_b32_e32 v1, v5
	;; [unrolled: 1-line block ×6, first 2 shown]
.LBB114_2:                              ; =>This Inner Loop Header: Depth=1
	v_lshl_add_u64 v[42:43], v[36:37], 0, v[34:35]
	v_add_u32_e32 v41, s11, v66
	v_add_u32_e32 v46, s15, v66
	v_mov_b64_e32 v[44:45], s[20:21]
	global_load_dword v77, v[42:43], off offset:4
	global_load_dword v76, v[42:43], off offset:40
	;; [unrolled: 1-line block ×4, first 2 shown]
	v_mad_i64_i32 v[42:43], s[24:25], v41, s19, v[44:45]
	v_mad_i64_i32 v[44:45], s[24:25], v46, s19, v[44:45]
	v_mov_b32_e32 v39, v5
	v_lshl_add_u64 v[54:55], v[44:45], 0, v[6:7]
	v_lshl_add_u64 v[60:61], v[42:43], 0, v[6:7]
	;; [unrolled: 1-line block ×9, first 2 shown]
	global_load_ubyte v84, v[54:55], off offset:96
	global_load_ubyte v85, v[58:59], off offset:104
	;; [unrolled: 1-line block ×7, first 2 shown]
	global_load_dword v91, v[62:63], off
	v_lshl_add_u64 v[48:49], v[42:43], 0, v[4:5]
	v_lshl_add_u64 v[50:51], v[44:45], 0, v[4:5]
	;; [unrolled: 1-line block ×8, first 2 shown]
	global_load_dword v83, v[48:49], off offset:32
	global_load_dword v88, v[46:47], off
	global_load_dword v82, v[50:51], off offset:32
	global_load_ubyte v80, v[54:55], off offset:96
	global_load_ubyte v81, v[58:59], off offset:104
	;; [unrolled: 1-line block ×6, first 2 shown]
	global_load_ushort v93, v[44:45], off offset:108
	global_load_ushort v94, v[42:43], off offset:108
	v_add_u32_e32 v66, 8, v66
	v_cmp_le_u32_e32 vcc, s2, v66
	s_or_b64 s[8:9], vcc, s[8:9]
	s_waitcnt vmcnt(18)
	v_bfe_u32 v44, v84, v68, 4
	s_waitcnt vmcnt(17)
	v_lshrrev_b32_e32 v45, v69, v85
	s_waitcnt vmcnt(15)
	v_lshrrev_b32_e32 v47, v69, v90
	v_bfe_u32 v46, v87, v68, 4
	s_waitcnt vmcnt(11)
	v_ashrrev_i32_e32 v48, v67, v91
	s_waitcnt vmcnt(9)
	v_ashrrev_i32_e32 v51, v67, v88
	v_lshrrev_b32_e32 v56, v71, v86
	v_lshlrev_b32_e32 v45, 4, v45
	v_lshlrev_b32_e32 v47, 4, v47
	v_not_b32_e32 v58, v48
	v_not_b32_e32 v59, v51
	s_waitcnt vmcnt(3)
	v_lshrrev_b32_e32 v54, v71, v89
	v_bfe_u32 v41, v41, v70, 4
	v_lshlrev_b32_e32 v51, 4, v56
	v_and_or_b32 v44, v45, 48, v44
	v_and_or_b32 v45, v47, 48, v46
	v_lshlrev_b32_e32 v46, 2, v58
	v_lshlrev_b32_e32 v47, 2, v59
	v_bfe_u32 v49, v83, 24, 2
	v_and_b32_e32 v50, 0x3030303, v83
	v_bfe_u32 v52, v82, 24, 2
	v_and_b32_e32 v53, 0x3030303, v82
	s_waitcnt vmcnt(2)
	v_bfe_u32 v55, v92, v70, 4
	v_lshrrev_b32_e32 v57, 2, v83
	v_lshlrev_b32_e32 v48, 4, v54
	v_and_or_b32 v51, v51, 48, v41
	v_lshlrev_b32_e32 v41, 1, v58
	v_and_b32_e32 v46, 0x4040404, v46
	v_and_b32_e32 v47, 0x4040404, v47
	v_and_b32_e32 v54, 0x3030303, v57
	v_bfe_u32 v56, v57, 24, 2
	v_and_or_b32 v48, v48, 48, v55
	v_and_b32_e32 v41, 0x4040404, v41
	v_sub_u16_sdwa v49, v49, v46 dst_sel:BYTE_1 dst_unused:UNUSED_PAD src0_sel:DWORD src1_sel:BYTE_3
	v_sub_u16_e32 v55, v50, v46
	v_sub_u16_sdwa v57, v50, v46 dst_sel:BYTE_1 dst_unused:UNUSED_PAD src0_sel:BYTE_1 src1_sel:BYTE_1
	v_sub_u16_sdwa v46, v50, v46 dst_sel:DWORD dst_unused:UNUSED_PAD src0_sel:WORD_1 src1_sel:WORD_1
	v_sub_u16_sdwa v50, v52, v47 dst_sel:BYTE_1 dst_unused:UNUSED_PAD src0_sel:DWORD src1_sel:BYTE_3
	v_sub_u16_e32 v52, v53, v47
	v_sub_u16_sdwa v60, v53, v47 dst_sel:BYTE_1 dst_unused:UNUSED_PAD src0_sel:BYTE_1 src1_sel:BYTE_1
	v_sub_u16_sdwa v47, v53, v47 dst_sel:DWORD dst_unused:UNUSED_PAD src0_sel:WORD_1 src1_sel:WORD_1
	v_sub_u16_sdwa v53, v56, v41 dst_sel:BYTE_1 dst_unused:UNUSED_PAD src0_sel:DWORD src1_sel:BYTE_3
	v_sub_u16_e32 v56, v54, v41
	v_sub_u16_sdwa v61, v54, v41 dst_sel:BYTE_1 dst_unused:UNUSED_PAD src0_sel:BYTE_1 src1_sel:BYTE_1
	v_or_b32_sdwa v47, v47, v50 dst_sel:WORD_1 dst_unused:UNUSED_PAD src0_sel:BYTE_0 src1_sel:DWORD
	global_load_dword v50, v[36:37], off
	v_or_b32_sdwa v46, v46, v49 dst_sel:WORD_1 dst_unused:UNUSED_PAD src0_sel:BYTE_0 src1_sel:DWORD
	v_or_b32_sdwa v49, v52, v60 dst_sel:DWORD dst_unused:UNUSED_PAD src0_sel:BYTE_0 src1_sel:DWORD
	v_or_b32_sdwa v52, v56, v61 dst_sel:DWORD dst_unused:UNUSED_PAD src0_sel:BYTE_0 src1_sel:DWORD
	global_load_dword v56, v[36:37], off offset:36
	global_load_dword v61, v[36:37], off offset:72
	v_sub_u16_sdwa v41, v54, v41 dst_sel:DWORD dst_unused:UNUSED_PAD src0_sel:WORD_1 src1_sel:WORD_1
	v_lshrrev_b32_e32 v54, 2, v82
	v_lshlrev_b32_e32 v63, 1, v59
	v_and_b32_e32 v62, 0x3030303, v54
	v_bfe_u32 v54, v54, 24, 2
	v_and_b32_e32 v63, 0x4040404, v63
	v_or_b32_sdwa v55, v55, v57 dst_sel:DWORD dst_unused:UNUSED_PAD src0_sel:BYTE_0 src1_sel:DWORD
	v_sub_u16_sdwa v54, v54, v63 dst_sel:BYTE_1 dst_unused:UNUSED_PAD src0_sel:DWORD src1_sel:BYTE_3
	v_sub_u16_e32 v84, v62, v63
	v_sub_u16_sdwa v85, v62, v63 dst_sel:BYTE_1 dst_unused:UNUSED_PAD src0_sel:BYTE_1 src1_sel:BYTE_1
	v_sub_u16_sdwa v62, v62, v63 dst_sel:DWORD dst_unused:UNUSED_PAD src0_sel:WORD_1 src1_sel:WORD_1
	v_or_b32_sdwa v41, v41, v53 dst_sel:WORD_1 dst_unused:UNUSED_PAD src0_sel:BYTE_0 src1_sel:DWORD
	v_mov_b32_e32 v53, v5
	v_or_b32_sdwa v55, v55, v46 dst_sel:DWORD dst_unused:UNUSED_PAD src0_sel:WORD_0 src1_sel:DWORD
	v_or_b32_sdwa v57, v84, v85 dst_sel:DWORD dst_unused:UNUSED_PAD src0_sel:BYTE_0 src1_sel:DWORD
	v_mov_b32_e32 v60, v5
	v_or_b32_sdwa v54, v62, v54 dst_sel:WORD_1 dst_unused:UNUSED_PAD src0_sel:BYTE_0 src1_sel:DWORD
	global_load_dword v62, v[36:37], off offset:108
	v_or_b32_sdwa v63, v49, v47 dst_sel:DWORD dst_unused:UNUSED_PAD src0_sel:WORD_0 src1_sel:DWORD
	v_subrev_u32_e32 v86, 32, v45
	v_dot4c_i32_i8_e32 v53, v55, v77
	v_mov_b32_e32 v49, v5
	v_or_b32_sdwa v52, v52, v41 dst_sel:DWORD dst_unused:UNUSED_PAD src0_sel:WORD_0 src1_sel:DWORD
	v_mov_b32_e32 v84, v5
	v_subrev_u32_e32 v85, 32, v44
	v_dot4c_i32_i8_e32 v60, v63, v77
	v_mul_lo_u32 v44, v86, v53
	v_or_b32_sdwa v53, v57, v54 dst_sel:DWORD dst_unused:UNUSED_PAD src0_sel:WORD_0 src1_sel:DWORD
	v_subrev_u32_e32 v57, 32, v48
	v_mul_lo_u32 v45, v85, v60
	v_subrev_u32_e32 v60, 32, v51
	v_dot4c_i32_i8_e32 v49, v52, v76
	v_dot4c_i32_i8_e32 v84, v53, v76
	v_cvt_f32_i32_e32 v45, v45
	v_cvt_f32_i32_e32 v44, v44
	v_mul_lo_u32 v48, v60, v49
	v_mul_lo_u32 v49, v57, v84
	v_cvt_f32_i32_e32 v49, v49
	v_cvt_f32_i32_e32 v48, v48
	v_mov_b32_e32 v41, v5
	v_mov_b32_e32 v54, v5
	v_bfe_u32 v39, v39, v14, 4
	v_lshl_add_u64 v[36:37], v[36:37], 0, s[22:23]
	s_waitcnt vmcnt(3)
	v_cvt_f32_f16_e32 v46, v50
	s_waitcnt vmcnt(2)
	v_cvt_f32_f16_e32 v50, v56
	v_pk_fma_f32 v[44:45], v[46:47], v[44:45], 0 op_sel_hi:[0,1,0]
	v_mad_u64_u32 v[46:47], s[24:25], v73, 36, v[32:33]
	v_pk_fma_f32 v[44:45], v[50:51], v[48:49], v[44:45] op_sel_hi:[0,1,1]
	v_lshl_add_u64 v[48:49], v[46:47], 0, v[40:41]
	global_load_dword v51, v[46:47], off
	global_load_dword v56, v[48:49], off offset:4
	global_load_dword v76, v[46:47], off offset:108
	v_mov_b32_e32 v50, v5
	v_add_u32_e32 v73, 64, v73
	s_waitcnt vmcnt(1)
	v_dot4c_i32_i8_e32 v54, v55, v56
	v_dot4c_i32_i8_e32 v50, v63, v56
	s_nop 1
	v_mul_lo_u32 v48, v86, v54
	v_cvt_f32_i32_e32 v48, v48
	global_load_dword v54, v[46:47], off offset:36
	global_load_dword v56, v[46:47], off offset:72
	v_mul_lo_u32 v49, v85, v50
	v_cvt_f32_i32_e32 v49, v49
	v_cvt_f32_f16_e32 v50, v51
	v_pk_fma_f32 v[48:49], v[50:51], v[48:49], 0 op_sel_hi:[0,1,0]
	v_lshl_add_u64 v[50:51], v[46:47], 0, 36
	v_lshl_add_u64 v[50:51], v[50:51], 0, v[40:41]
	global_load_dword v77, v[50:51], off offset:4
	v_lshl_add_u64 v[50:51], v[46:47], 0, s[12:13]
	v_lshl_add_u64 v[46:47], v[46:47], 0, s[16:17]
	;; [unrolled: 1-line block ×4, first 2 shown]
	global_load_dword v84, v[50:51], off offset:4
	global_load_dword v87, v[46:47], off offset:4
	v_mov_b32_e32 v46, v5
	v_mov_b32_e32 v47, v5
	s_waitcnt vmcnt(4)
	v_cvt_f32_f16_e32 v50, v54
	v_mov_b32_e32 v54, v5
	s_waitcnt vmcnt(2)
	v_dot4c_i32_i8_e32 v46, v52, v77
	v_dot4c_i32_i8_e32 v47, v53, v77
	s_nop 1
	v_mul_lo_u32 v46, v60, v46
	v_cvt_f32_i32_e32 v46, v46
	v_mul_lo_u32 v47, v57, v47
	v_cvt_f32_i32_e32 v47, v47
	v_pk_fma_f32 v[46:47], v[50:51], v[46:47], v[48:49] op_sel_hi:[0,1,1]
	v_mad_u64_u32 v[48:49], s[24:25], v72, 36, v[32:33]
	v_lshl_add_u64 v[50:51], v[48:49], 0, v[40:41]
	global_load_dword v50, v[50:51], off offset:4
	v_add_u32_e32 v72, 64, v72
	global_load_dword v77, v[48:49], off offset:108
	s_waitcnt vmcnt(1)
	v_dot4c_i32_i8_e32 v54, v55, v50
	v_mov_b32_e32 v55, v5
	v_dot4c_i32_i8_e32 v55, v63, v50
	v_lshl_add_u64 v[50:51], v[48:49], 0, 36
	v_lshl_add_u64 v[50:51], v[50:51], 0, v[40:41]
	global_load_dword v63, v[50:51], off offset:4
	v_lshl_add_u64 v[50:51], v[48:49], 0, s[12:13]
	v_lshl_add_u64 v[50:51], v[50:51], 0, v[40:41]
	global_load_dword v88, v[50:51], off offset:4
	;; [unrolled: 3-line block ×3, first 2 shown]
	v_mov_b32_e32 v51, v5
	s_waitcnt vmcnt(2)
	v_dot4c_i32_i8_e32 v51, v52, v63
	v_mov_b32_e32 v52, v5
	v_dot4c_i32_i8_e32 v52, v53, v63
	global_load_dword v50, v[48:49], off
	global_load_dword v53, v[48:49], off offset:36
	global_load_dword v63, v[48:49], off offset:72
	v_mul_lo_u32 v48, v86, v54
	v_mul_lo_u32 v49, v85, v55
	v_cvt_f32_i32_e32 v49, v49
	v_cvt_f32_i32_e32 v48, v48
	v_mov_b32_e32 v86, v5
	s_waitcnt vmcnt(2)
	v_cvt_f32_f16_e32 v50, v50
	v_pk_fma_f32 v[48:49], v[50:51], v[48:49], 0 op_sel_hi:[0,1,0]
	v_mul_lo_u32 v50, v60, v51
	v_mul_lo_u32 v51, v57, v52
	v_cvt_f32_i32_e32 v51, v51
	v_cvt_f32_i32_e32 v50, v50
	s_waitcnt vmcnt(1)
	v_cvt_f32_f16_e32 v52, v53
	v_and_b32_e32 v57, 0x4040404, v59
	v_lshrrev_b32_e32 v59, 1, v59
	v_and_b32_e32 v59, 0x4040404, v59
	v_pk_fma_f32 v[48:49], v[52:53], v[50:51], v[48:49] op_sel_hi:[0,1,1]
	v_lshrrev_b32_e32 v50, 4, v83
	v_and_b32_e32 v51, 0x3030303, v50
	v_bfe_u32 v50, v50, 24, 2
	v_and_b32_e32 v52, 0x4040404, v58
	v_sub_u16_sdwa v50, v50, v52 dst_sel:BYTE_1 dst_unused:UNUSED_PAD src0_sel:DWORD src1_sel:BYTE_3
	v_sub_u16_e32 v53, v51, v52
	v_sub_u16_sdwa v54, v51, v52 dst_sel:BYTE_1 dst_unused:UNUSED_PAD src0_sel:BYTE_1 src1_sel:BYTE_1
	v_sub_u16_sdwa v51, v51, v52 dst_sel:DWORD dst_unused:UNUSED_PAD src0_sel:WORD_1 src1_sel:WORD_1
	v_lshrrev_b32_e32 v52, 4, v82
	v_and_b32_e32 v55, 0x3030303, v52
	v_bfe_u32 v52, v52, 24, 2
	v_sub_u16_sdwa v52, v52, v57 dst_sel:BYTE_1 dst_unused:UNUSED_PAD src0_sel:DWORD src1_sel:BYTE_3
	v_sub_u16_e32 v60, v55, v57
	v_sub_u16_sdwa v85, v55, v57 dst_sel:BYTE_1 dst_unused:UNUSED_PAD src0_sel:BYTE_1 src1_sel:BYTE_1
	v_sub_u16_sdwa v55, v55, v57 dst_sel:DWORD dst_unused:UNUSED_PAD src0_sel:WORD_1 src1_sel:WORD_1
	v_or_b32_sdwa v53, v53, v54 dst_sel:DWORD dst_unused:UNUSED_PAD src0_sel:BYTE_0 src1_sel:DWORD
	v_or_b32_sdwa v50, v51, v50 dst_sel:WORD_1 dst_unused:UNUSED_PAD src0_sel:BYTE_0 src1_sel:DWORD
	v_or_b32_sdwa v51, v60, v85 dst_sel:DWORD dst_unused:UNUSED_PAD src0_sel:BYTE_0 src1_sel:DWORD
	v_or_b32_sdwa v52, v55, v52 dst_sel:WORD_1 dst_unused:UNUSED_PAD src0_sel:BYTE_0 src1_sel:DWORD
	v_or_b32_sdwa v50, v53, v50 dst_sel:DWORD dst_unused:UNUSED_PAD src0_sel:WORD_0 src1_sel:DWORD
	v_or_b32_sdwa v51, v51, v52 dst_sel:DWORD dst_unused:UNUSED_PAD src0_sel:WORD_0 src1_sel:DWORD
	v_mov_b32_e32 v53, v5
	v_mov_b32_e32 v55, v5
	v_dot4c_i32_i8_e32 v53, v50, v75
	v_dot4c_i32_i8_e32 v55, v51, v75
	v_mov_b32_e32 v57, v5
	v_mov_b32_e32 v60, v5
	v_mov_b32_e32 v75, v5
	v_dot4c_i32_i8_e32 v57, v50, v84
	v_dot4c_i32_i8_e32 v60, v51, v84
	;; [unrolled: 1-line block ×3, first 2 shown]
	v_mov_b32_e32 v84, v5
	v_lshrrev_b32_e32 v50, 6, v83
	v_lshrrev_b32_e32 v52, 1, v58
	v_dot4c_i32_i8_e32 v84, v51, v88
	v_lshrrev_b32_e32 v51, 30, v83
	v_and_b32_e32 v50, 0x3030303, v50
	v_and_b32_e32 v52, 0x4040404, v52
	v_sub_u16_sdwa v51, v51, v52 dst_sel:BYTE_1 dst_unused:UNUSED_PAD src0_sel:DWORD src1_sel:BYTE_3
	v_sub_u16_e32 v54, v50, v52
	v_sub_u16_sdwa v58, v50, v52 dst_sel:BYTE_1 dst_unused:UNUSED_PAD src0_sel:BYTE_1 src1_sel:BYTE_1
	v_sub_u16_sdwa v50, v50, v52 dst_sel:DWORD dst_unused:UNUSED_PAD src0_sel:WORD_1 src1_sel:WORD_1
	v_lshrrev_b32_e32 v52, 6, v82
	v_lshrrev_b32_e32 v82, 30, v82
	v_and_b32_e32 v52, 0x3030303, v52
	v_sub_u16_sdwa v82, v82, v59 dst_sel:BYTE_1 dst_unused:UNUSED_PAD src0_sel:DWORD src1_sel:BYTE_3
	v_sub_u16_e32 v83, v52, v59
	v_sub_u16_sdwa v85, v52, v59 dst_sel:BYTE_1 dst_unused:UNUSED_PAD src0_sel:BYTE_1 src1_sel:BYTE_1
	v_sub_u16_sdwa v52, v52, v59 dst_sel:DWORD dst_unused:UNUSED_PAD src0_sel:WORD_1 src1_sel:WORD_1
	v_or_b32_sdwa v54, v54, v58 dst_sel:DWORD dst_unused:UNUSED_PAD src0_sel:BYTE_0 src1_sel:DWORD
	v_or_b32_sdwa v50, v50, v51 dst_sel:WORD_1 dst_unused:UNUSED_PAD src0_sel:BYTE_0 src1_sel:DWORD
	v_or_b32_sdwa v51, v83, v85 dst_sel:DWORD dst_unused:UNUSED_PAD src0_sel:BYTE_0 src1_sel:DWORD
	v_or_b32_sdwa v52, v52, v82 dst_sel:WORD_1 dst_unused:UNUSED_PAD src0_sel:BYTE_0 src1_sel:DWORD
	v_or_b32_sdwa v50, v54, v50 dst_sel:DWORD dst_unused:UNUSED_PAD src0_sel:WORD_0 src1_sel:DWORD
	v_or_b32_sdwa v51, v51, v52 dst_sel:DWORD dst_unused:UNUSED_PAD src0_sel:WORD_0 src1_sel:DWORD
	v_mov_b32_e32 v83, v5
	v_mov_b32_e32 v85, v5
	;; [unrolled: 1-line block ×4, first 2 shown]
	v_dot4c_i32_i8_e32 v83, v50, v87
	v_dot4c_i32_i8_e32 v85, v51, v87
	v_mov_b32_e32 v87, v5
	v_dot4c_i32_i8_e32 v59, v50, v74
	v_dot4c_i32_i8_e32 v82, v51, v74
	v_dot4c_i32_i8_e32 v86, v50, v41
	v_dot4c_i32_i8_e32 v87, v51, v41
	v_lshl_add_u64 v[50:51], v[42:43], 0, v[20:21]
	global_load_ubyte v41, v[50:51], off offset:104
	v_lshl_add_u64 v[50:51], v[42:43], 0, v[24:25]
	v_lshl_add_u64 v[42:43], v[42:43], 0, v[30:31]
	global_load_ubyte v51, v[50:51], off offset:96
	v_lshrrev_b32_e32 v52, v19, v81
	global_load_ubyte v58, v[42:43], off offset:104
	v_lshrrev_b32_e32 v54, v29, v79
	v_bfe_u32 v50, v80, v15, 4
	v_lshlrev_b32_e32 v52, 4, v52
	v_lshlrev_b32_e32 v54, 4, v54
	v_and_or_b32 v74, v52, 48, v50
	v_cvt_f32_f16_e32 v50, v61
	v_subrev_u32_e32 v61, 32, v74
	v_mul_lo_u32 v74, v61, v84
	v_cvt_f32_f16_e32 v52, v62
	v_mul_lo_u32 v55, v61, v55
	v_mul_lo_u32 v62, v61, v60
	v_cvt_f32_i32_e32 v61, v55
	v_cvt_f32_f16_e32 v43, v93
	v_cvt_f32_f16_e32 v42, v94
	s_waitcnt vmcnt(2)
	v_lshrrev_b32_e32 v41, v18, v41
	v_lshlrev_b32_e32 v41, 4, v41
	v_and_or_b32 v39, v41, 48, v39
	v_bfe_u32 v41, v78, v23, 4
	v_and_or_b32 v41, v54, 48, v41
	v_cvt_f32_f16_e32 v54, v56
	s_waitcnt vmcnt(0)
	v_lshrrev_b32_e32 v56, v28, v58
	v_bfe_u32 v51, v51, v22, 4
	v_lshlrev_b32_e32 v56, 4, v56
	v_subrev_u32_e32 v39, 32, v39
	v_and_or_b32 v51, v56, 48, v51
	v_mul_lo_u32 v53, v39, v53
	v_mul_lo_u32 v57, v39, v57
	;; [unrolled: 1-line block ×3, first 2 shown]
	v_cvt_f32_i32_e32 v75, v74
	v_cvt_f32_i32_e32 v74, v39
	v_subrev_u32_e32 v39, 32, v41
	v_subrev_u32_e32 v41, 32, v51
	v_cvt_f32_f16_e32 v56, v63
	v_cvt_f32_i32_e32 v60, v53
	v_cvt_f32_i32_e32 v63, v62
	;; [unrolled: 1-line block ×3, first 2 shown]
	v_mul_lo_u32 v51, v41, v59
	v_mul_lo_u32 v53, v39, v82
	v_mul_lo_u32 v55, v41, v83
	v_mul_lo_u32 v57, v39, v85
	v_mul_lo_u32 v41, v41, v86
	v_mul_lo_u32 v39, v39, v87
	v_cvt_f32_f16_e32 v58, v76
	v_cvt_f32_f16_e32 v76, v77
	v_cvt_f32_i32_e32 v79, v53
	v_cvt_f32_i32_e32 v78, v51
	;; [unrolled: 1-line block ×6, first 2 shown]
	v_pk_fma_f32 v[44:45], v[50:51], v[60:61], v[44:45] op_sel_hi:[0,1,1]
	v_pk_fma_f32 v[46:47], v[54:55], v[62:63], v[46:47] op_sel_hi:[0,1,1]
	;; [unrolled: 1-line block ×6, first 2 shown]
	v_pk_fma_f32 v[0:1], v[44:45], v[42:43], v[0:1]
	v_pk_fma_f32 v[2:3], v[46:47], v[42:43], v[2:3]
	;; [unrolled: 1-line block ×3, first 2 shown]
	s_andn2_b64 exec, exec, s[8:9]
	s_cbranch_execnz .LBB114_2
; %bb.3:
	s_or_b64 exec, exec, s[8:9]
	scratch_store_dwordx4 off, v[0:3], off
	scratch_store_dwordx2 off, v[26:27], off offset:16
.LBB114_4:
	s_or_b64 exec, exec, s[6:7]
	v_cmp_eq_u32_e32 vcc, 0, v65
	v_cmp_ne_u32_e64 s[6:7], 0, v65
	v_lshlrev_b32_e32 v4, 2, v64
	s_and_saveexec_b64 s[8:9], s[6:7]
	s_cbranch_execz .LBB114_6
; %bb.5:
	v_mul_u32_u24_e32 v5, 0x600, v65
	s_movk_i32 s2, 0xfa00
	v_add3_u32 v5, v5, v4, s2
	ds_write2st64_b32 v5, v0, v1 offset1:1
	ds_write2st64_b32 v5, v2, v3 offset0:2 offset1:3
	ds_write2st64_b32 v5, v26, v27 offset0:4 offset1:5
.LBB114_6:
	s_or_b64 exec, exec, s[8:9]
	s_waitcnt lgkmcnt(0)
	s_barrier
	s_and_saveexec_b64 s[6:7], vcc
	s_cbranch_execz .LBB114_13
; %bb.7:
	scratch_load_dwordx2 v[2:3], off, off
	v_mbcnt_lo_u32_b32 v0, -1, 0
	ds_read2st64_b32 v[6:7], v4 offset1:1
	v_mbcnt_hi_u32_b32 v12, -1, v0
	v_and_b32_e32 v0, 64, v12
	v_xor_b32_e32 v1, 32, v12
	v_add_u32_e32 v13, 64, v0
	v_cmp_lt_i32_e32 vcc, v1, v13
	v_xor_b32_e32 v5, 16, v12
	v_xor_b32_e32 v10, 8, v12
	v_cndmask_b32_e32 v0, v12, v1, vcc
	v_lshlrev_b32_e32 v0, 2, v0
	v_cmp_lt_i32_e32 vcc, v5, v13
	v_xor_b32_e32 v11, 4, v12
	v_xor_b32_e32 v14, 1, v12
	v_cndmask_b32_e32 v1, v12, v5, vcc
	v_lshlrev_b32_e32 v1, 2, v1
	v_cmp_lt_i32_e32 vcc, v10, v13
	v_xor_b32_e32 v5, 2, v12
	s_load_dwordx2 s[0:1], s[0:1], 0x38
	s_mul_i32 s2, s3, s14
	s_mul_i32 s4, s4, s18
	s_add_i32 s2, s2, s5
	s_mov_b32 s3, 0
	s_add_i32 s2, s2, s4
	s_lshl_b64 s[2:3], s[2:3], 2
	s_waitcnt lgkmcnt(0)
	s_add_u32 s2, s0, s2
	s_addc_u32 s3, s1, s3
	s_waitcnt vmcnt(0)
	v_pk_add_f32 v[2:3], v[6:7], v[2:3]
	ds_bpermute_b32 v6, v0, v2
	ds_bpermute_b32 v7, v0, v3
	s_waitcnt lgkmcnt(0)
	v_pk_add_f32 v[6:7], v[2:3], v[6:7]
	ds_bpermute_b32 v8, v1, v6
	ds_bpermute_b32 v9, v1, v7
	v_cndmask_b32_e32 v2, v12, v10, vcc
	v_lshlrev_b32_e32 v2, 2, v2
	v_cmp_lt_i32_e32 vcc, v11, v13
	s_waitcnt lgkmcnt(0)
	v_pk_add_f32 v[6:7], v[6:7], v[8:9]
	ds_bpermute_b32 v8, v2, v6
	ds_bpermute_b32 v9, v2, v7
	v_cndmask_b32_e32 v3, v12, v11, vcc
	v_lshlrev_b32_e32 v3, 2, v3
	v_cmp_lt_i32_e32 vcc, v5, v13
	;; [unrolled: 7-line block ×3, first 2 shown]
	s_waitcnt lgkmcnt(0)
	v_pk_add_f32 v[8:9], v[6:7], v[8:9]
	ds_bpermute_b32 v10, v5, v8
	ds_bpermute_b32 v11, v5, v9
	v_cndmask_b32_e32 v6, v12, v14, vcc
	v_lshlrev_b32_e32 v6, 2, v6
	v_or_b32_e32 v7, s5, v64
	v_cmp_gt_u32_e32 vcc, 2, v64
	s_waitcnt lgkmcnt(0)
	v_pk_add_f32 v[8:9], v[8:9], v[10:11]
	ds_bpermute_b32 v10, v6, v8
	ds_bpermute_b32 v11, v6, v9
	v_cmp_gt_u32_e64 s[0:1], s10, v7
	s_and_b64 s[0:1], vcc, s[0:1]
	s_waitcnt lgkmcnt(0)
	v_pk_add_f32 v[8:9], v[8:9], v[10:11]
	scratch_store_dwordx2 off, v[8:9], off
	s_and_saveexec_b64 s[4:5], s[0:1]
	s_cbranch_execz .LBB114_9
; %bb.8:
	scratch_load_dword v7, v4, off
	s_waitcnt vmcnt(0)
	global_store_dword v4, v7, s[2:3]
.LBB114_9:
	s_or_b64 exec, exec, s[4:5]
	scratch_load_dwordx2 v[8:9], off, off offset:8
	ds_read2st64_b32 v[10:11], v4 offset0:2 offset1:3
	s_waitcnt vmcnt(0) lgkmcnt(0)
	v_pk_add_f32 v[8:9], v[10:11], v[8:9]
	ds_bpermute_b32 v10, v0, v8
	ds_bpermute_b32 v11, v0, v9
	s_waitcnt lgkmcnt(0)
	v_pk_add_f32 v[8:9], v[8:9], v[10:11]
	ds_bpermute_b32 v10, v1, v8
	ds_bpermute_b32 v11, v1, v9
	s_waitcnt lgkmcnt(0)
	;; [unrolled: 4-line block ×6, first 2 shown]
	v_pk_add_f32 v[8:9], v[8:9], v[10:11]
	scratch_store_dwordx2 off, v[8:9], off offset:8
	s_and_saveexec_b64 s[4:5], s[0:1]
	s_cbranch_execz .LBB114_11
; %bb.10:
	scratch_load_dword v7, v4, off offset:8
	v_add_u32_e32 v8, s10, v64
	v_mov_b32_e32 v9, 0
	v_lshl_add_u64 v[8:9], v[8:9], 2, s[2:3]
	s_waitcnt vmcnt(0)
	global_store_dword v[8:9], v7, off
.LBB114_11:
	s_or_b64 exec, exec, s[4:5]
	scratch_load_dwordx2 v[8:9], off, off offset:16
	ds_read2st64_b32 v[10:11], v4 offset0:4 offset1:5
	s_waitcnt vmcnt(0) lgkmcnt(0)
	v_pk_add_f32 v[8:9], v[10:11], v[8:9]
	ds_bpermute_b32 v10, v0, v8
	ds_bpermute_b32 v11, v0, v9
	s_waitcnt lgkmcnt(0)
	v_pk_add_f32 v[8:9], v[8:9], v[10:11]
	ds_bpermute_b32 v0, v1, v8
	ds_bpermute_b32 v1, v1, v9
	s_waitcnt lgkmcnt(0)
	;; [unrolled: 4-line block ×6, first 2 shown]
	v_pk_add_f32 v[0:1], v[0:1], v[2:3]
	scratch_store_dwordx2 off, v[0:1], off offset:16
	s_and_b64 exec, exec, s[0:1]
	s_cbranch_execz .LBB114_13
; %bb.12:
	scratch_load_dword v2, v4, off offset:16
	v_lshl_or_b32 v0, s10, 1, v64
	v_mov_b32_e32 v1, 0
	v_lshl_add_u64 v[0:1], v[0:1], 2, s[2:3]
	s_waitcnt vmcnt(0)
	global_store_dword v[0:1], v2, off
.LBB114_13:
	s_endpgm
	.section	.rodata,"a",@progbits
	.p2align	6, 0x0
	.amdhsa_kernel _ZL13mul_mat_vec_qIL9ggml_type11ELi3ELb0ELb0EEvPKvS2_PKi31ggml_cuda_mm_fusion_args_devicePfj15HIP_vector_typeIjLj3EEjjjS8_jjjS8_jjjj
		.amdhsa_group_segment_fixed_size 1536
		.amdhsa_private_segment_fixed_size 32
		.amdhsa_kernarg_size 144
		.amdhsa_user_sgpr_count 2
		.amdhsa_user_sgpr_dispatch_ptr 0
		.amdhsa_user_sgpr_queue_ptr 0
		.amdhsa_user_sgpr_kernarg_segment_ptr 1
		.amdhsa_user_sgpr_dispatch_id 0
		.amdhsa_user_sgpr_kernarg_preload_length 0
		.amdhsa_user_sgpr_kernarg_preload_offset 0
		.amdhsa_user_sgpr_private_segment_size 0
		.amdhsa_uses_dynamic_stack 0
		.amdhsa_enable_private_segment 1
		.amdhsa_system_sgpr_workgroup_id_x 1
		.amdhsa_system_sgpr_workgroup_id_y 1
		.amdhsa_system_sgpr_workgroup_id_z 1
		.amdhsa_system_sgpr_workgroup_info 0
		.amdhsa_system_vgpr_workitem_id 1
		.amdhsa_next_free_vgpr 95
		.amdhsa_next_free_sgpr 26
		.amdhsa_accum_offset 96
		.amdhsa_reserve_vcc 1
		.amdhsa_float_round_mode_32 0
		.amdhsa_float_round_mode_16_64 0
		.amdhsa_float_denorm_mode_32 3
		.amdhsa_float_denorm_mode_16_64 3
		.amdhsa_dx10_clamp 1
		.amdhsa_ieee_mode 1
		.amdhsa_fp16_overflow 0
		.amdhsa_tg_split 0
		.amdhsa_exception_fp_ieee_invalid_op 0
		.amdhsa_exception_fp_denorm_src 0
		.amdhsa_exception_fp_ieee_div_zero 0
		.amdhsa_exception_fp_ieee_overflow 0
		.amdhsa_exception_fp_ieee_underflow 0
		.amdhsa_exception_fp_ieee_inexact 0
		.amdhsa_exception_int_div_zero 0
	.end_amdhsa_kernel
	.section	.text._ZL13mul_mat_vec_qIL9ggml_type11ELi3ELb0ELb0EEvPKvS2_PKi31ggml_cuda_mm_fusion_args_devicePfj15HIP_vector_typeIjLj3EEjjjS8_jjjS8_jjjj,"axG",@progbits,_ZL13mul_mat_vec_qIL9ggml_type11ELi3ELb0ELb0EEvPKvS2_PKi31ggml_cuda_mm_fusion_args_devicePfj15HIP_vector_typeIjLj3EEjjjS8_jjjS8_jjjj,comdat
.Lfunc_end114:
	.size	_ZL13mul_mat_vec_qIL9ggml_type11ELi3ELb0ELb0EEvPKvS2_PKi31ggml_cuda_mm_fusion_args_devicePfj15HIP_vector_typeIjLj3EEjjjS8_jjjS8_jjjj, .Lfunc_end114-_ZL13mul_mat_vec_qIL9ggml_type11ELi3ELb0ELb0EEvPKvS2_PKi31ggml_cuda_mm_fusion_args_devicePfj15HIP_vector_typeIjLj3EEjjjS8_jjjS8_jjjj
                                        ; -- End function
	.section	.AMDGPU.csdata,"",@progbits
; Kernel info:
; codeLenInByte = 4304
; NumSgprs: 32
; NumVgprs: 95
; NumAgprs: 0
; TotalNumVgprs: 95
; ScratchSize: 32
; MemoryBound: 0
; FloatMode: 240
; IeeeMode: 1
; LDSByteSize: 1536 bytes/workgroup (compile time only)
; SGPRBlocks: 3
; VGPRBlocks: 11
; NumSGPRsForWavesPerEU: 32
; NumVGPRsForWavesPerEU: 95
; AccumOffset: 96
; Occupancy: 5
; WaveLimiterHint : 0
; COMPUTE_PGM_RSRC2:SCRATCH_EN: 1
; COMPUTE_PGM_RSRC2:USER_SGPR: 2
; COMPUTE_PGM_RSRC2:TRAP_HANDLER: 0
; COMPUTE_PGM_RSRC2:TGID_X_EN: 1
; COMPUTE_PGM_RSRC2:TGID_Y_EN: 1
; COMPUTE_PGM_RSRC2:TGID_Z_EN: 1
; COMPUTE_PGM_RSRC2:TIDIG_COMP_CNT: 1
; COMPUTE_PGM_RSRC3_GFX90A:ACCUM_OFFSET: 23
; COMPUTE_PGM_RSRC3_GFX90A:TG_SPLIT: 0
	.section	.text._ZL13mul_mat_vec_qIL9ggml_type11ELi4ELb0ELb0EEvPKvS2_PKi31ggml_cuda_mm_fusion_args_devicePfj15HIP_vector_typeIjLj3EEjjjS8_jjjS8_jjjj,"axG",@progbits,_ZL13mul_mat_vec_qIL9ggml_type11ELi4ELb0ELb0EEvPKvS2_PKi31ggml_cuda_mm_fusion_args_devicePfj15HIP_vector_typeIjLj3EEjjjS8_jjjS8_jjjj,comdat
	.globl	_ZL13mul_mat_vec_qIL9ggml_type11ELi4ELb0ELb0EEvPKvS2_PKi31ggml_cuda_mm_fusion_args_devicePfj15HIP_vector_typeIjLj3EEjjjS8_jjjS8_jjjj ; -- Begin function _ZL13mul_mat_vec_qIL9ggml_type11ELi4ELb0ELb0EEvPKvS2_PKi31ggml_cuda_mm_fusion_args_devicePfj15HIP_vector_typeIjLj3EEjjjS8_jjjS8_jjjj
	.p2align	8
	.type	_ZL13mul_mat_vec_qIL9ggml_type11ELi4ELb0ELb0EEvPKvS2_PKi31ggml_cuda_mm_fusion_args_devicePfj15HIP_vector_typeIjLj3EEjjjS8_jjjS8_jjjj,@function
_ZL13mul_mat_vec_qIL9ggml_type11ELi4ELb0ELb0EEvPKvS2_PKi31ggml_cuda_mm_fusion_args_devicePfj15HIP_vector_typeIjLj3EEjjjS8_jjjS8_jjjj: ; @_ZL13mul_mat_vec_qIL9ggml_type11ELi4ELb0ELb0EEvPKvS2_PKi31ggml_cuda_mm_fusion_args_devicePfj15HIP_vector_typeIjLj3EEjjjS8_jjjS8_jjjj
; %bb.0:
	s_mov_b32 s20, 0
	v_bfe_u32 v33, v0, 10, 10
	v_and_b32_e32 v8, 0x3ff, v0
	s_mov_b32 s21, s20
	v_lshl_add_u32 v4, v33, 6, v8
	s_mov_b32 s22, s20
	s_mov_b32 s23, s20
	v_mov_b64_e32 v[0:1], s[20:21]
	s_load_dword s6, s[0:1], 0x40
	s_load_dwordx4 s[8:11], s[0:1], 0x50
	s_load_dword s27, s[0:1], 0x60
	s_load_dwordx4 s[12:15], s[0:1], 0x68
	;; [unrolled: 2-line block ×3, first 2 shown]
	s_lshl_b32 s5, s2, 1
	s_waitcnt lgkmcnt(0)
	s_lshr_b32 s2, s6, 8
	v_mov_b64_e32 v[2:3], s[22:23]
	v_lshrrev_b32_e32 v68, 4, v4
	scratch_store_dwordx4 off, v[0:3], off offset:16
	scratch_store_dwordx4 off, v[0:3], off
	v_cmp_gt_u32_e32 vcc, s2, v68
	v_mov_b32_e32 v7, 0
	v_mov_b32_e32 v0, 0
	;; [unrolled: 1-line block ×8, first 2 shown]
	s_and_saveexec_b64 s[6:7], vcc
	s_cbranch_execz .LBB115_4
; %bb.1:
	v_lshrrev_b32_e32 v0, 1, v8
	v_and_b32_e32 v1, 15, v8
	v_and_b32_e32 v69, 4, v0
	;; [unrolled: 1-line block ×3, first 2 shown]
	v_lshlrev_b32_e32 v2, 1, v1
	v_sub_u32_e32 v1, v1, v0
	v_bfe_u32 v3, v8, 2, 1
	v_add_u32_e32 v1, v1, v3
	v_lshrrev_b16_e32 v3, 12, v1
	v_and_b32_e32 v3, 7, v3
	v_add_u16_e32 v3, v1, v3
	v_and_b32_e32 v5, 0xf8, v3
	v_ashrrev_i16_e32 v3, 3, v3
	v_mov_b32_e32 v6, 2
	v_lshlrev_b32_sdwa v70, v6, sext(v3) dst_sel:DWORD dst_unused:UNUSED_PAD src0_sel:DWORD src1_sel:WORD_0
	v_lshrrev_b16_e32 v3, 6, v1
	v_and_b32_e32 v3, 3, v3
	v_sub_u16_e32 v5, v1, v5
	v_add_u16_e32 v3, v1, v3
	v_bfe_i32 v12, v5, 0, 8
	v_and_b32_e32 v5, 0xfc, v3
	v_ashrrev_i16_e32 v3, 2, v3
	v_mov_b32_e32 v7, 1
	v_sub_u16_e32 v5, v1, v5
	v_lshlrev_b32_sdwa v71, v7, sext(v3) dst_sel:DWORD dst_unused:UNUSED_PAD src0_sel:DWORD src1_sel:WORD_0
	v_add_u16_e32 v3, 2, v1
	v_bfe_i32 v14, v5, 0, 8
	v_lshrrev_b16_e32 v5, 7, v3
	v_mov_b32_e32 v9, 5
	v_lshrrev_b16_sdwa v10, v9, v5 dst_sel:DWORD dst_unused:UNUSED_PAD src0_sel:DWORD src1_sel:BYTE_0
	v_add_u16_e32 v10, v3, v10
	v_mov_b32_e32 v21, 3
	v_and_b32_e32 v16, 0xf8, v10
	v_ashrrev_i16_sdwa v10, v21, sext(v10) dst_sel:DWORD dst_unused:UNUSED_PAD src0_sel:DWORD src1_sel:BYTE_0
	v_lshlrev_b32_sdwa v72, v6, sext(v10) dst_sel:DWORD dst_unused:UNUSED_PAD src0_sel:DWORD src1_sel:WORD_0
	v_mov_b32_e32 v10, 6
	v_lshrrev_b16_sdwa v5, v10, v5 dst_sel:DWORD dst_unused:UNUSED_PAD src0_sel:DWORD src1_sel:BYTE_0
	v_add_u16_e32 v5, v3, v5
	v_and_b32_e32 v18, 0xfc, v5
	s_load_dwordx4 s[20:23], s[0:1], 0x0
	v_sub_u16_e32 v16, v3, v16
	v_sub_u16_e32 v3, v3, v18
	v_ashrrev_i16_sdwa v5, v6, sext(v5) dst_sel:DWORD dst_unused:UNUSED_PAD src0_sel:DWORD src1_sel:BYTE_0
	v_bfe_i32 v18, v3, 0, 8
	v_add_u16_e32 v3, 4, v1
	v_lshlrev_b32_sdwa v73, v7, sext(v5) dst_sel:DWORD dst_unused:UNUSED_PAD src0_sel:DWORD src1_sel:WORD_0
	v_lshrrev_b16_e32 v5, 7, v3
	s_mul_i32 s17, s4, s17
	v_lshrrev_b16_sdwa v20, v9, v5 dst_sel:DWORD dst_unused:UNUSED_PAD src0_sel:DWORD src1_sel:BYTE_0
	v_lshrrev_b16_sdwa v5, v10, v5 dst_sel:DWORD dst_unused:UNUSED_PAD src0_sel:DWORD src1_sel:BYTE_0
	s_mul_hi_u32 s19, s17, 36
	s_mul_i32 s17, s17, 36
	v_add_u16_e32 v20, v3, v20
	v_add_u16_e32 v5, v3, v5
	s_mul_i32 s13, s3, s13
	s_waitcnt lgkmcnt(0)
	s_add_u32 s17, s22, s17
	v_and_b32_e32 v22, 0xf8, v20
	v_and_b32_e32 v24, 0xfc, v5
	s_addc_u32 s19, s23, s19
	s_mul_hi_u32 s22, s13, 36
	s_mul_i32 s13, s13, 36
	v_sub_u16_e32 v22, v3, v22
	v_sub_u16_e32 v3, v3, v24
	v_add_u16_e32 v1, 6, v1
	s_add_u32 s24, s17, s13
	s_mul_hi_u32 s11, s11, s3
	v_ashrrev_i16_sdwa v5, v6, sext(v5) dst_sel:DWORD dst_unused:UNUSED_PAD src0_sel:DWORD src1_sel:BYTE_0
	v_bfe_i32 v26, v3, 0, 8
	v_lshrrev_b16_e32 v3, 7, v1
	s_addc_u32 s25, s19, s22
	s_add_i32 s11, s3, s11
	v_lshlrev_b32_sdwa v24, v7, sext(v5) dst_sel:DWORD dst_unused:UNUSED_PAD src0_sel:DWORD src1_sel:WORD_0
	v_lshrrev_b16_sdwa v5, v9, v3 dst_sel:DWORD dst_unused:UNUSED_PAD src0_sel:DWORD src1_sel:BYTE_0
	s_lshr_b32 s11, s11, s27
	v_add_u16_e32 v5, v1, v5
	v_lshrrev_b16_sdwa v3, v10, v3 dst_sel:DWORD dst_unused:UNUSED_PAD src0_sel:DWORD src1_sel:BYTE_0
	s_mul_i32 s11, s11, s12
	s_mul_hi_u32 s12, s15, s4
	v_and_b32_e32 v9, 0xf8, v5
	v_ashrrev_i16_sdwa v5, v21, sext(v5) dst_sel:DWORD dst_unused:UNUSED_PAD src0_sel:DWORD src1_sel:BYTE_0
	v_add_u16_e32 v3, v1, v3
	s_add_i32 s12, s4, s12
	v_lshlrev_b32_sdwa v28, v6, sext(v5) dst_sel:DWORD dst_unused:UNUSED_PAD src0_sel:DWORD src1_sel:WORD_0
	v_and_b32_e32 v5, 0xfc, v3
	s_lshr_b32 s12, s12, s26
	v_sub_u16_e32 v9, v1, v9
	v_sub_u16_e32 v1, v1, v5
	s_mul_i32 s12, s12, s16
	v_ashrrev_i16_sdwa v20, v21, sext(v20) dst_sel:DWORD dst_unused:UNUSED_PAD src0_sel:DWORD src1_sel:BYTE_0
	v_ashrrev_i16_sdwa v3, v6, sext(v3) dst_sel:DWORD dst_unused:UNUSED_PAD src0_sel:DWORD src1_sel:BYTE_0
	v_bfe_i32 v34, v1, 0, 8
	v_bfe_u32 v1, v8, 3, 1
	v_lshlrev_b32_sdwa v20, v6, sext(v20) dst_sel:DWORD dst_unused:UNUSED_PAD src0_sel:DWORD src1_sel:WORD_0
	v_lshlrev_b32_sdwa v32, v7, sext(v3) dst_sel:DWORD dst_unused:UNUSED_PAD src0_sel:DWORD src1_sel:WORD_0
	s_mul_i32 s13, s5, s8
	s_add_i32 s15, s12, s11
	v_mul_hi_u32_u24_e32 v7, 0x90, v1
	v_mul_u32_u24_e32 v6, 0x90, v1
	s_movk_i32 s12, 0x120
	s_add_i32 s11, s15, s13
	v_mad_u64_u32 v[6:7], s[12:13], v68, s12, v[6:7]
	v_lshl_add_u64 v[38:39], s[24:25], 0, v[6:7]
	s_add_i32 s12, s5, 1
	v_lshlrev_b32_e32 v6, 3, v68
	v_mov_b32_e32 v11, 0
	v_lshlrev_b32_e32 v4, 1, v0
	v_bfe_i32 v16, v16, 0, 8
	v_bfe_i32 v22, v22, 0, 8
	;; [unrolled: 1-line block ×3, first 2 shown]
	s_mul_i32 s8, s8, s12
	v_mad_u64_u32 v[40:41], s[12:13], s9, 3, v[6:7]
	v_ashrrev_i32_e32 v13, 31, v12
	v_ashrrev_i32_e32 v15, 31, v14
	;; [unrolled: 1-line block ×8, first 2 shown]
	v_mov_b32_e32 v9, v20
	v_mov_b32_e32 v21, v24
	;; [unrolled: 1-line block ×3, first 2 shown]
	v_lshlrev_b32_e32 v36, 2, v0
	v_mov_b32_e32 v37, v11
	s_add_i32 s15, s15, s8
	v_lshl_add_u32 v74, s9, 1, v6
	v_add_u32_e32 v41, s9, v6
	s_mov_b64 s[8:9], 0
	s_movk_i32 s19, 0x6e
	v_lshlrev_b32_e32 v10, 1, v2
	v_lshlrev_b32_e32 v42, 1, v4
	v_lshlrev_b32_e32 v44, 2, v0
	s_mov_b64 s[12:13], 0x48
	s_mov_b64 s[16:17], 0x6c
	;; [unrolled: 1-line block ×3, first 2 shown]
	v_mov_b32_e32 v0, v11
	v_mov_b32_e32 v1, v11
	;; [unrolled: 1-line block ×9, first 2 shown]
	v_mad_u64_u32 v[46:47], s[24:25], v69, 36, s[24:25]
.LBB115_2:                              ; =>This Inner Loop Header: Depth=1
	v_add_u32_e32 v45, s11, v68
	v_add_u32_e32 v52, s15, v68
	v_mov_b64_e32 v[50:51], s[20:21]
	v_mad_i64_i32 v[48:49], s[24:25], v45, s19, v[50:51]
	v_mad_i64_i32 v[50:51], s[24:25], v52, s19, v[50:51]
	v_mov_b32_e32 v43, v11
	v_lshl_add_u64 v[52:53], v[50:51], 0, v[12:13]
	v_lshl_add_u64 v[58:59], v[48:49], 0, v[12:13]
	global_load_dword v78, v[38:39], off
	v_lshl_add_u64 v[54:55], v[50:51], 0, v[14:15]
	v_lshl_add_u64 v[56:57], v[48:49], 0, v[42:43]
	;; [unrolled: 1-line block ×3, first 2 shown]
	global_load_ubyte v45, v[52:53], off offset:96
	global_load_ubyte v79, v[54:55], off offset:104
	;; [unrolled: 1-line block ×4, first 2 shown]
	v_lshl_add_u64 v[66:67], v[48:49], 0, v[10:11]
	global_load_dword v58, v[56:57], off
	global_load_dword v75, v[66:67], off offset:32
	v_lshl_add_u64 v[76:77], v[50:51], 0, v[42:43]
	v_lshl_add_u64 v[62:63], v[48:49], 0, v[16:17]
	;; [unrolled: 1-line block ×6, first 2 shown]
	global_load_dword v59, v[76:77], off
	global_load_dword v43, v[52:53], off offset:32
	global_load_ubyte v60, v[54:55], off offset:104
	global_load_ubyte v61, v[56:57], off offset:96
	;; [unrolled: 1-line block ×4, first 2 shown]
	v_mov_b32_e32 v86, v11
	v_add_u32_e32 v68, 8, v68
	v_cmp_le_u32_e32 vcc, s2, v68
	s_or_b64 s[8:9], vcc, s[8:9]
	s_waitcnt vmcnt(11)
	v_bfe_u32 v45, v45, v70, 4
	s_waitcnt vmcnt(10)
	v_lshrrev_b32_e32 v52, v71, v79
	s_waitcnt vmcnt(8)
	v_lshrrev_b32_e32 v54, v71, v81
	s_waitcnt vmcnt(7)
	v_ashrrev_i32_e32 v55, v69, v58
	v_bfe_u32 v53, v80, v70, 4
	v_lshlrev_b32_e32 v52, 4, v52
	s_waitcnt vmcnt(5)
	v_ashrrev_i32_e32 v58, v69, v59
	v_lshlrev_b32_e32 v54, 4, v54
	v_not_b32_e32 v77, v55
	v_not_b32_e32 v76, v58
	s_waitcnt vmcnt(3)
	v_lshrrev_b32_e32 v60, v73, v60
	s_waitcnt vmcnt(1)
	v_lshrrev_b32_e32 v63, v73, v66
	v_and_or_b32 v45, v52, 48, v45
	v_and_or_b32 v53, v54, 48, v53
	v_lshlrev_b32_e32 v52, 2, v77
	v_lshlrev_b32_e32 v54, 2, v76
	v_bfe_u32 v56, v75, 24, 2
	v_and_b32_e32 v57, 0x3030303, v75
	v_bfe_u32 v59, v43, 24, 2
	v_and_b32_e32 v62, 0x3030303, v43
	v_bfe_u32 v61, v61, v72, 4
	s_waitcnt vmcnt(0)
	v_bfe_u32 v64, v67, v72, 4
	v_lshlrev_b32_e32 v55, 4, v60
	v_lshlrev_b32_e32 v58, 4, v63
	v_and_b32_e32 v52, 0x4040404, v52
	v_and_b32_e32 v54, 0x4040404, v54
	v_and_or_b32 v63, v55, 48, v61
	v_and_or_b32 v58, v58, 48, v64
	v_sub_u16_sdwa v55, v56, v52 dst_sel:BYTE_1 dst_unused:UNUSED_PAD src0_sel:DWORD src1_sel:BYTE_3
	v_sub_u16_e32 v56, v57, v52
	v_sub_u16_sdwa v64, v57, v52 dst_sel:BYTE_1 dst_unused:UNUSED_PAD src0_sel:BYTE_1 src1_sel:BYTE_1
	v_sub_u16_sdwa v52, v57, v52 dst_sel:DWORD dst_unused:UNUSED_PAD src0_sel:WORD_1 src1_sel:WORD_1
	v_sub_u16_sdwa v57, v59, v54 dst_sel:BYTE_1 dst_unused:UNUSED_PAD src0_sel:DWORD src1_sel:BYTE_3
	v_sub_u16_e32 v59, v62, v54
	v_sub_u16_sdwa v65, v62, v54 dst_sel:BYTE_1 dst_unused:UNUSED_PAD src0_sel:BYTE_1 src1_sel:BYTE_1
	v_lshl_add_u64 v[60:61], v[38:39], 0, v[36:37]
	v_or_b32_sdwa v59, v59, v65 dst_sel:DWORD dst_unused:UNUSED_PAD src0_sel:BYTE_0 src1_sel:DWORD
	global_load_dword v65, v[60:61], off offset:4
	v_sub_u16_sdwa v54, v62, v54 dst_sel:DWORD dst_unused:UNUSED_PAD src0_sel:WORD_1 src1_sel:WORD_1
	v_or_b32_sdwa v56, v56, v64 dst_sel:DWORD dst_unused:UNUSED_PAD src0_sel:BYTE_0 src1_sel:DWORD
	v_or_b32_sdwa v55, v52, v55 dst_sel:WORD_1 dst_unused:UNUSED_PAD src0_sel:BYTE_0 src1_sel:DWORD
	v_or_b32_sdwa v54, v54, v57 dst_sel:WORD_1 dst_unused:UNUSED_PAD src0_sel:BYTE_0 src1_sel:DWORD
	v_mov_b32_e32 v62, v11
	v_mov_b32_e32 v64, v11
	v_cvt_f32_f16_e32 v52, v78
	v_or_b32_sdwa v78, v56, v55 dst_sel:DWORD dst_unused:UNUSED_PAD src0_sel:WORD_0 src1_sel:DWORD
	v_or_b32_sdwa v79, v59, v54 dst_sel:DWORD dst_unused:UNUSED_PAD src0_sel:WORD_0 src1_sel:DWORD
	v_subrev_u32_e32 v80, 32, v45
	v_subrev_u32_e32 v81, 32, v53
	v_lshrrev_b32_e32 v55, 2, v75
	v_and_b32_e32 v56, 0x3030303, v55
	v_bfe_u32 v57, v55, 24, 2
	v_subrev_u32_e32 v84, 32, v63
	v_subrev_u32_e32 v85, 32, v58
	v_mov_b32_e32 v58, v11
	v_mov_b32_e32 v66, v11
	s_waitcnt vmcnt(0)
	v_dot4c_i32_i8_e32 v62, v78, v65
	v_dot4c_i32_i8_e32 v64, v79, v65
	s_nop 1
	v_mul_lo_u32 v45, v81, v62
	v_cvt_f32_i32_e32 v54, v45
	v_lshlrev_b32_e32 v45, 1, v77
	v_mul_lo_u32 v53, v80, v64
	v_cvt_f32_i32_e32 v55, v53
	v_and_b32_e32 v45, 0x4040404, v45
	v_sub_u16_sdwa v57, v57, v45 dst_sel:BYTE_1 dst_unused:UNUSED_PAD src0_sel:DWORD src1_sel:BYTE_3
	v_lshlrev_b32_e32 v62, 1, v76
	v_pk_fma_f32 v[52:53], v[52:53], v[54:55], 0 op_sel_hi:[0,1,0]
	v_sub_u16_e32 v54, v56, v45
	v_sub_u16_sdwa v55, v56, v45 dst_sel:BYTE_1 dst_unused:UNUSED_PAD src0_sel:BYTE_1 src1_sel:BYTE_1
	v_sub_u16_sdwa v45, v56, v45 dst_sel:DWORD dst_unused:UNUSED_PAD src0_sel:WORD_1 src1_sel:WORD_1
	v_or_b32_sdwa v54, v54, v55 dst_sel:DWORD dst_unused:UNUSED_PAD src0_sel:BYTE_0 src1_sel:DWORD
	v_or_b32_sdwa v45, v45, v57 dst_sel:WORD_1 dst_unused:UNUSED_PAD src0_sel:BYTE_0 src1_sel:DWORD
	v_lshrrev_b32_e32 v56, 2, v43
	v_or_b32_sdwa v82, v54, v45 dst_sel:DWORD dst_unused:UNUSED_PAD src0_sel:WORD_0 src1_sel:DWORD
	global_load_dword v54, v[60:61], off offset:40
	v_and_b32_e32 v59, 0x3030303, v56
	v_bfe_u32 v56, v56, 24, 2
	v_and_b32_e32 v62, 0x4040404, v62
	v_sub_u16_sdwa v56, v56, v62 dst_sel:BYTE_1 dst_unused:UNUSED_PAD src0_sel:DWORD src1_sel:BYTE_3
	v_sub_u16_e32 v64, v59, v62
	v_sub_u16_sdwa v65, v59, v62 dst_sel:BYTE_1 dst_unused:UNUSED_PAD src0_sel:BYTE_1 src1_sel:BYTE_1
	v_sub_u16_sdwa v59, v59, v62 dst_sel:DWORD dst_unused:UNUSED_PAD src0_sel:WORD_1 src1_sel:WORD_1
	v_or_b32_sdwa v55, v64, v65 dst_sel:DWORD dst_unused:UNUSED_PAD src0_sel:BYTE_0 src1_sel:DWORD
	v_or_b32_sdwa v56, v59, v56 dst_sel:WORD_1 dst_unused:UNUSED_PAD src0_sel:BYTE_0 src1_sel:DWORD
	v_mov_b32_e32 v45, v11
	v_or_b32_sdwa v83, v55, v56 dst_sel:DWORD dst_unused:UNUSED_PAD src0_sel:WORD_0 src1_sel:DWORD
	v_mov_b32_e32 v57, v11
	v_mad_u64_u32 v[64:65], s[24:25], v41, 36, v[46:47]
	v_mov_b32_e32 v62, v11
	v_add_u32_e32 v41, 64, v41
	s_waitcnt vmcnt(0)
	v_dot4c_i32_i8_e32 v45, v83, v54
	s_nop 2
	v_mul_lo_u32 v45, v84, v45
	v_cvt_f32_i32_e32 v55, v45
	global_load_dword v45, v[38:39], off offset:36
	v_dot4c_i32_i8_e32 v57, v82, v54
	s_waitcnt vmcnt(0)
	v_cvt_f32_f16_e32 v56, v45
	s_nop 0
	v_mul_lo_u32 v54, v85, v57
	v_cvt_f32_i32_e32 v54, v54
	v_mov_b32_e32 v45, v11
	v_pk_fma_f32 v[54:55], v[56:57], v[54:55], v[52:53] op_sel_hi:[0,1,1]
	v_lshl_add_u64 v[52:53], v[64:65], 0, v[44:45]
	global_load_dword v52, v[52:53], off offset:4
	v_mov_b32_e32 v53, v11
	v_mov_b32_e32 v56, v11
	s_waitcnt vmcnt(0)
	v_dot4c_i32_i8_e32 v53, v78, v52
	v_dot4c_i32_i8_e32 v56, v79, v52
	s_nop 1
	v_mul_lo_u32 v52, v81, v53
	v_cvt_f32_i32_e32 v52, v52
	v_mul_lo_u32 v53, v80, v56
	global_load_dword v56, v[64:65], off
	v_cvt_f32_i32_e32 v53, v53
	s_waitcnt vmcnt(0)
	v_cvt_f32_f16_e32 v56, v56
	v_pk_fma_f32 v[52:53], v[56:57], v[52:53], 0 op_sel_hi:[0,1,0]
	v_lshl_add_u64 v[56:57], v[64:65], 0, 36
	v_lshl_add_u64 v[56:57], v[56:57], 0, v[44:45]
	global_load_dword v56, v[56:57], off offset:4
	v_mov_b32_e32 v57, v11
	s_waitcnt vmcnt(0)
	v_dot4c_i32_i8_e32 v57, v82, v56
	v_dot4c_i32_i8_e32 v58, v83, v56
	s_nop 1
	v_mul_lo_u32 v56, v85, v57
	v_cvt_f32_i32_e32 v56, v56
	v_mul_lo_u32 v57, v84, v58
	global_load_dword v58, v[64:65], off offset:36
	v_cvt_f32_i32_e32 v57, v57
	s_waitcnt vmcnt(0)
	v_cvt_f32_f16_e32 v58, v58
	v_pk_fma_f32 v[58:59], v[58:59], v[56:57], v[52:53] op_sel_hi:[0,1,1]
	v_mad_u64_u32 v[52:53], s[24:25], v74, 36, v[46:47]
	v_lshl_add_u64 v[56:57], v[52:53], 0, v[44:45]
	global_load_dword v56, v[56:57], off offset:4
	v_mov_b32_e32 v57, v11
	v_add_u32_e32 v74, 64, v74
	s_waitcnt vmcnt(0)
	v_dot4c_i32_i8_e32 v57, v78, v56
	v_dot4c_i32_i8_e32 v62, v79, v56
	s_nop 1
	v_mul_lo_u32 v56, v81, v57
	v_cvt_f32_i32_e32 v56, v56
	v_mul_lo_u32 v57, v80, v62
	global_load_dword v62, v[52:53], off
	v_cvt_f32_i32_e32 v57, v57
	s_waitcnt vmcnt(0)
	v_cvt_f32_f16_e32 v62, v62
	v_pk_fma_f32 v[56:57], v[62:63], v[56:57], 0 op_sel_hi:[0,1,0]
	v_lshl_add_u64 v[62:63], v[52:53], 0, 36
	v_lshl_add_u64 v[62:63], v[62:63], 0, v[44:45]
	global_load_dword v62, v[62:63], off offset:4
	v_mov_b32_e32 v63, v11
	s_waitcnt vmcnt(0)
	v_dot4c_i32_i8_e32 v63, v82, v62
	v_dot4c_i32_i8_e32 v66, v83, v62
	s_nop 1
	v_mul_lo_u32 v62, v85, v63
	v_cvt_f32_i32_e32 v62, v62
	v_mul_lo_u32 v63, v84, v66
	global_load_dword v66, v[52:53], off offset:36
	v_cvt_f32_i32_e32 v63, v63
	s_waitcnt vmcnt(0)
	v_cvt_f32_f16_e32 v66, v66
	v_pk_fma_f32 v[62:63], v[66:67], v[62:63], v[56:57] op_sel_hi:[0,1,1]
	v_mad_u64_u32 v[56:57], s[24:25], v40, 36, v[46:47]
	v_lshl_add_u64 v[66:67], v[56:57], 0, v[44:45]
	global_load_dword v66, v[66:67], off offset:4
	v_add_u32_e32 v40, 64, v40
	s_waitcnt vmcnt(0)
	v_dot4c_i32_i8_e32 v86, v78, v66
	v_mov_b32_e32 v78, v11
	v_dot4c_i32_i8_e32 v78, v79, v66
	v_lshl_add_u64 v[66:67], v[56:57], 0, 36
	v_lshl_add_u64 v[66:67], v[66:67], 0, v[44:45]
	global_load_dword v66, v[66:67], off offset:4
	v_mul_lo_u32 v67, v80, v78
	global_load_dword v78, v[56:57], off
	global_load_dword v80, v[56:57], off offset:36
	v_mov_b32_e32 v79, v11
	v_cvt_f32_i32_e32 v67, v67
	s_waitcnt vmcnt(2)
	v_dot4c_i32_i8_e32 v79, v82, v66
	v_mov_b32_e32 v82, v11
	v_dot4c_i32_i8_e32 v82, v83, v66
	v_mul_lo_u32 v66, v81, v86
	v_cvt_f32_i32_e32 v66, v66
	s_waitcnt vmcnt(1)
	v_cvt_f32_f16_e32 v78, v78
	s_waitcnt vmcnt(0)
	v_cvt_f32_f16_e32 v80, v80
	v_and_b32_e32 v86, 0x4040404, v76
	v_lshrrev_b32_e32 v76, 1, v76
	v_pk_fma_f32 v[66:67], v[78:79], v[66:67], 0 op_sel_hi:[0,1,0]
	v_mul_lo_u32 v78, v85, v79
	v_mul_lo_u32 v79, v84, v82
	v_cvt_f32_i32_e32 v79, v79
	v_cvt_f32_i32_e32 v78, v78
	v_and_b32_e32 v76, 0x4040404, v76
	v_pk_fma_f32 v[66:67], v[80:81], v[78:79], v[66:67] op_sel_hi:[0,1,1]
	v_lshl_add_u64 v[78:79], v[50:51], 0, v[22:23]
	global_load_ubyte v80, v[78:79], off offset:96
	v_lshl_add_u64 v[78:79], v[50:51], 0, v[26:27]
	global_load_ubyte v81, v[78:79], off offset:104
	v_lshl_add_u64 v[78:79], v[48:49], 0, v[22:23]
	global_load_ubyte v82, v[78:79], off offset:96
	v_lshl_add_u64 v[78:79], v[48:49], 0, v[26:27]
	global_load_ubyte v78, v[78:79], off offset:104
	s_waitcnt vmcnt(3)
	v_bfe_u32 v79, v80, v9, 4
	s_waitcnt vmcnt(2)
	v_lshrrev_b32_e32 v80, v21, v81
	v_lshlrev_b32_e32 v80, 4, v80
	v_and_or_b32 v79, v80, 48, v79
	s_waitcnt vmcnt(1)
	v_bfe_u32 v80, v82, v20, 4
	s_waitcnt vmcnt(0)
	v_lshrrev_b32_e32 v78, v24, v78
	v_lshlrev_b32_e32 v78, 4, v78
	v_and_or_b32 v78, v78, 48, v80
	v_lshrrev_b32_e32 v80, 4, v75
	v_and_b32_e32 v81, 0x3030303, v80
	v_bfe_u32 v80, v80, 24, 2
	v_and_b32_e32 v82, 0x4040404, v77
	v_sub_u16_sdwa v80, v80, v82 dst_sel:BYTE_1 dst_unused:UNUSED_PAD src0_sel:DWORD src1_sel:BYTE_3
	v_sub_u16_e32 v83, v81, v82
	v_sub_u16_sdwa v84, v81, v82 dst_sel:BYTE_1 dst_unused:UNUSED_PAD src0_sel:BYTE_1 src1_sel:BYTE_1
	v_sub_u16_sdwa v81, v81, v82 dst_sel:DWORD dst_unused:UNUSED_PAD src0_sel:WORD_1 src1_sel:WORD_1
	v_lshrrev_b32_e32 v82, 4, v43
	v_and_b32_e32 v85, 0x3030303, v82
	v_bfe_u32 v82, v82, 24, 2
	v_sub_u16_sdwa v82, v82, v86 dst_sel:BYTE_1 dst_unused:UNUSED_PAD src0_sel:DWORD src1_sel:BYTE_3
	v_sub_u16_e32 v87, v85, v86
	v_sub_u16_sdwa v88, v85, v86 dst_sel:BYTE_1 dst_unused:UNUSED_PAD src0_sel:BYTE_1 src1_sel:BYTE_1
	v_sub_u16_sdwa v85, v85, v86 dst_sel:DWORD dst_unused:UNUSED_PAD src0_sel:WORD_1 src1_sel:WORD_1
	v_or_b32_sdwa v80, v81, v80 dst_sel:WORD_1 dst_unused:UNUSED_PAD src0_sel:BYTE_0 src1_sel:DWORD
	v_or_b32_sdwa v81, v87, v88 dst_sel:DWORD dst_unused:UNUSED_PAD src0_sel:BYTE_0 src1_sel:DWORD
	v_or_b32_sdwa v82, v85, v82 dst_sel:WORD_1 dst_unused:UNUSED_PAD src0_sel:BYTE_0 src1_sel:DWORD
	v_or_b32_sdwa v83, v83, v84 dst_sel:DWORD dst_unused:UNUSED_PAD src0_sel:BYTE_0 src1_sel:DWORD
	v_or_b32_sdwa v81, v81, v82 dst_sel:DWORD dst_unused:UNUSED_PAD src0_sel:WORD_0 src1_sel:DWORD
	global_load_dword v82, v[60:61], off offset:76
	v_or_b32_sdwa v83, v83, v80 dst_sel:DWORD dst_unused:UNUSED_PAD src0_sel:WORD_0 src1_sel:DWORD
	v_mov_b32_e32 v80, v11
	v_subrev_u32_e32 v85, 32, v78
	v_mov_b32_e32 v84, v11
	v_lshrrev_b32_e32 v77, 1, v77
	v_and_b32_e32 v77, 0x4040404, v77
	s_waitcnt vmcnt(0)
	v_dot4c_i32_i8_e32 v80, v83, v82
	s_nop 2
	v_mul_lo_u32 v78, v85, v80
	global_load_dword v80, v[38:39], off offset:72
	v_dot4c_i32_i8_e32 v84, v81, v82
	v_subrev_u32_e32 v82, 32, v79
	v_cvt_f32_i32_e32 v78, v78
	s_waitcnt vmcnt(0)
	v_cvt_f32_f16_e32 v80, v80
	v_mul_lo_u32 v79, v82, v84
	v_cvt_f32_i32_e32 v79, v79
	v_pk_fma_f32 v[78:79], v[80:81], v[78:79], v[54:55] op_sel_hi:[0,1,1]
	v_lshl_add_u64 v[54:55], v[64:65], 0, s[12:13]
	v_lshl_add_u64 v[54:55], v[54:55], 0, v[44:45]
	global_load_dword v54, v[54:55], off offset:4
	v_mov_b32_e32 v55, v11
	v_mov_b32_e32 v80, v11
	s_waitcnt vmcnt(0)
	v_dot4c_i32_i8_e32 v55, v83, v54
	v_dot4c_i32_i8_e32 v80, v81, v54
	s_nop 1
	v_mul_lo_u32 v54, v85, v55
	v_cvt_f32_i32_e32 v54, v54
	v_mul_lo_u32 v55, v82, v80
	global_load_dword v80, v[64:65], off offset:72
	v_cvt_f32_i32_e32 v55, v55
	s_waitcnt vmcnt(0)
	v_cvt_f32_f16_e32 v80, v80
	v_pk_fma_f32 v[54:55], v[80:81], v[54:55], v[58:59] op_sel_hi:[0,1,1]
	v_lshl_add_u64 v[58:59], v[52:53], 0, s[12:13]
	v_lshl_add_u64 v[58:59], v[58:59], 0, v[44:45]
	global_load_dword v58, v[58:59], off offset:4
	v_mov_b32_e32 v59, v11
	v_mov_b32_e32 v80, v11
	s_waitcnt vmcnt(0)
	v_dot4c_i32_i8_e32 v59, v83, v58
	v_dot4c_i32_i8_e32 v80, v81, v58
	s_nop 1
	v_mul_lo_u32 v58, v85, v59
	v_cvt_f32_i32_e32 v58, v58
	v_mul_lo_u32 v59, v82, v80
	global_load_dword v80, v[52:53], off offset:72
	v_cvt_f32_i32_e32 v59, v59
	s_waitcnt vmcnt(0)
	v_cvt_f32_f16_e32 v80, v80
	;; [unrolled: 17-line block ×3, first 2 shown]
	v_pk_fma_f32 v[62:63], v[80:81], v[62:63], v[66:67] op_sel_hi:[0,1,1]
	global_load_dword v66, v[60:61], off offset:112
	v_lshl_add_u64 v[60:61], v[50:51], 0, v[30:31]
	global_load_ubyte v67, v[60:61], off offset:96
	v_lshl_add_u64 v[60:61], v[50:51], 0, v[34:35]
	global_load_ubyte v80, v[60:61], off offset:104
	;; [unrolled: 2-line block ×4, first 2 shown]
	s_waitcnt vmcnt(3)
	v_bfe_u32 v61, v67, v25, 4
	s_waitcnt vmcnt(2)
	v_lshrrev_b32_e32 v67, v29, v80
	v_lshlrev_b32_e32 v67, 4, v67
	v_and_or_b32 v61, v67, 48, v61
	s_waitcnt vmcnt(1)
	v_bfe_u32 v67, v81, v28, 4
	s_waitcnt vmcnt(0)
	v_lshrrev_b32_e32 v60, v32, v60
	v_lshlrev_b32_e32 v60, 4, v60
	v_and_or_b32 v60, v60, 48, v67
	v_lshrrev_b32_e32 v67, 6, v75
	v_lshrrev_b32_e32 v75, 30, v75
	v_and_b32_e32 v67, 0x3030303, v67
	v_sub_u16_sdwa v75, v75, v77 dst_sel:BYTE_1 dst_unused:UNUSED_PAD src0_sel:DWORD src1_sel:BYTE_3
	v_sub_u16_e32 v80, v67, v77
	v_sub_u16_sdwa v81, v67, v77 dst_sel:BYTE_1 dst_unused:UNUSED_PAD src0_sel:BYTE_1 src1_sel:BYTE_1
	v_sub_u16_sdwa v67, v67, v77 dst_sel:DWORD dst_unused:UNUSED_PAD src0_sel:WORD_1 src1_sel:WORD_1
	v_lshrrev_b32_e32 v77, 6, v43
	v_lshrrev_b32_e32 v43, 30, v43
	v_and_b32_e32 v77, 0x3030303, v77
	v_sub_u16_sdwa v43, v43, v76 dst_sel:BYTE_1 dst_unused:UNUSED_PAD src0_sel:DWORD src1_sel:BYTE_3
	v_sub_u16_e32 v82, v77, v76
	v_sub_u16_sdwa v83, v77, v76 dst_sel:BYTE_1 dst_unused:UNUSED_PAD src0_sel:BYTE_1 src1_sel:BYTE_1
	v_sub_u16_sdwa v76, v77, v76 dst_sel:DWORD dst_unused:UNUSED_PAD src0_sel:WORD_1 src1_sel:WORD_1
	v_or_b32_sdwa v77, v80, v81 dst_sel:DWORD dst_unused:UNUSED_PAD src0_sel:BYTE_0 src1_sel:DWORD
	v_or_b32_sdwa v67, v67, v75 dst_sel:WORD_1 dst_unused:UNUSED_PAD src0_sel:BYTE_0 src1_sel:DWORD
	v_or_b32_sdwa v75, v82, v83 dst_sel:DWORD dst_unused:UNUSED_PAD src0_sel:BYTE_0 src1_sel:DWORD
	v_or_b32_sdwa v43, v76, v43 dst_sel:WORD_1 dst_unused:UNUSED_PAD src0_sel:BYTE_0 src1_sel:DWORD
	v_or_b32_sdwa v67, v77, v67 dst_sel:DWORD dst_unused:UNUSED_PAD src0_sel:WORD_0 src1_sel:DWORD
	v_or_b32_sdwa v75, v75, v43 dst_sel:DWORD dst_unused:UNUSED_PAD src0_sel:WORD_0 src1_sel:DWORD
	v_mov_b32_e32 v76, v11
	v_mov_b32_e32 v77, v11
	v_dot4c_i32_i8_e32 v76, v67, v66
	v_dot4c_i32_i8_e32 v77, v75, v66
	global_load_dword v66, v[38:39], off offset:108
	v_subrev_u32_e32 v43, 32, v61
	v_subrev_u32_e32 v80, 32, v60
	v_mul_lo_u32 v60, v80, v76
	v_mul_lo_u32 v61, v43, v77
	v_cvt_f32_i32_e32 v61, v61
	v_cvt_f32_i32_e32 v60, v60
	v_lshl_add_u64 v[38:39], v[38:39], 0, s[22:23]
	s_waitcnt vmcnt(0)
	v_cvt_f32_f16_e32 v66, v66
	v_pk_fma_f32 v[60:61], v[66:67], v[60:61], v[78:79] op_sel_hi:[0,1,1]
	global_load_dword v66, v[64:65], off offset:108
	v_lshl_add_u64 v[64:65], v[64:65], 0, s[16:17]
	global_load_ushort v76, v[50:51], off offset:108
	global_load_dword v77, v[52:53], off offset:108
	v_lshl_add_u64 v[50:51], v[52:53], 0, s[16:17]
	v_lshl_add_u64 v[52:53], v[64:65], 0, v[44:45]
	global_load_dword v64, v[52:53], off offset:4
	global_load_dword v65, v[56:57], off offset:108
	v_lshl_add_u64 v[52:53], v[56:57], 0, s[16:17]
	v_lshl_add_u64 v[50:51], v[50:51], 0, v[44:45]
	;; [unrolled: 1-line block ×3, first 2 shown]
	global_load_dword v45, v[50:51], off offset:4
	global_load_dword v56, v[52:53], off offset:4
	global_load_ushort v57, v[48:49], off offset:108
	v_mov_b32_e32 v49, v11
	v_mov_b32_e32 v53, v11
	;; [unrolled: 1-line block ×3, first 2 shown]
	s_waitcnt vmcnt(7)
	v_cvt_f32_f16_e32 v48, v66
	s_waitcnt vmcnt(6)
	v_cvt_f32_f16_e32 v51, v76
	;; [unrolled: 2-line block ×3, first 2 shown]
	s_waitcnt vmcnt(4)
	v_dot4c_i32_i8_e32 v49, v67, v64
	v_dot4c_i32_i8_e32 v53, v75, v64
	v_mov_b32_e32 v64, v11
	s_waitcnt vmcnt(2)
	v_dot4c_i32_i8_e32 v78, v67, v45
	v_dot4c_i32_i8_e32 v64, v75, v45
	v_mov_b32_e32 v45, v11
	s_waitcnt vmcnt(1)
	v_dot4c_i32_i8_e32 v45, v67, v56
	v_mov_b32_e32 v67, v11
	v_dot4c_i32_i8_e32 v67, v75, v56
	s_waitcnt vmcnt(0)
	v_cvt_f32_f16_e32 v50, v57
	v_mul_lo_u32 v49, v80, v49
	v_mul_lo_u32 v57, v80, v78
	;; [unrolled: 1-line block ×6, first 2 shown]
	v_cvt_f32_f16_e32 v56, v65
	v_cvt_f32_i32_e32 v65, v53
	v_cvt_f32_i32_e32 v64, v49
	;; [unrolled: 1-line block ×6, first 2 shown]
	v_pk_fma_f32 v[48:49], v[48:49], v[64:65], v[54:55] op_sel_hi:[0,1,1]
	v_pk_fma_f32 v[52:53], v[52:53], v[66:67], v[58:59] op_sel_hi:[0,1,1]
	v_pk_fma_f32 v[0:1], v[60:61], v[50:51], v[0:1]
	v_pk_fma_f32 v[54:55], v[56:57], v[76:77], v[62:63] op_sel_hi:[0,1,1]
	v_pk_fma_f32 v[2:3], v[48:49], v[50:51], v[2:3]
	v_pk_fma_f32 v[4:5], v[52:53], v[50:51], v[4:5]
	;; [unrolled: 1-line block ×3, first 2 shown]
	s_andn2_b64 exec, exec, s[8:9]
	s_cbranch_execnz .LBB115_2
; %bb.3:
	s_or_b64 exec, exec, s[8:9]
	scratch_store_dwordx4 off, v[0:3], off
	scratch_store_dwordx4 off, v[4:7], off offset:16
.LBB115_4:
	s_or_b64 exec, exec, s[6:7]
	v_cmp_eq_u32_e32 vcc, 0, v33
	v_cmp_ne_u32_e64 s[6:7], 0, v33
	v_lshlrev_b32_e32 v9, 2, v8
	s_and_saveexec_b64 s[8:9], s[6:7]
	s_cbranch_execz .LBB115_6
; %bb.5:
	v_lshlrev_b32_e32 v10, 11, v33
	s_movk_i32 s2, 0xf800
	v_add3_u32 v10, v10, v9, s2
	ds_write2st64_b32 v10, v0, v1 offset1:1
	ds_write2st64_b32 v10, v2, v3 offset0:2 offset1:3
	ds_write2st64_b32 v10, v4, v5 offset0:4 offset1:5
	;; [unrolled: 1-line block ×3, first 2 shown]
.LBB115_6:
	s_or_b64 exec, exec, s[8:9]
	s_waitcnt lgkmcnt(0)
	s_barrier
	s_and_saveexec_b64 s[6:7], vcc
	s_cbranch_execz .LBB115_15
; %bb.7:
	scratch_load_dwordx2 v[2:3], off, off
	v_mbcnt_lo_u32_b32 v0, -1, 0
	ds_read2st64_b32 v[4:5], v9 offset1:1
	v_mbcnt_hi_u32_b32 v12, -1, v0
	v_and_b32_e32 v0, 64, v12
	v_xor_b32_e32 v1, 32, v12
	v_add_u32_e32 v13, 64, v0
	v_cmp_lt_i32_e32 vcc, v1, v13
	v_xor_b32_e32 v6, 16, v12
	v_xor_b32_e32 v10, 8, v12
	v_cndmask_b32_e32 v0, v12, v1, vcc
	v_lshlrev_b32_e32 v0, 2, v0
	v_cmp_lt_i32_e32 vcc, v6, v13
	v_xor_b32_e32 v11, 4, v12
	v_xor_b32_e32 v14, 2, v12
	v_cndmask_b32_e32 v1, v12, v6, vcc
	v_lshlrev_b32_e32 v1, 2, v1
	v_cmp_lt_i32_e32 vcc, v10, v13
	v_xor_b32_e32 v15, 1, v12
	s_load_dwordx2 s[0:1], s[0:1], 0x38
	s_mul_i32 s2, s3, s14
	s_mul_i32 s4, s4, s18
	s_add_i32 s2, s2, s5
	s_mov_b32 s3, 0
	s_add_i32 s2, s2, s4
	s_lshl_b64 s[2:3], s[2:3], 2
	s_waitcnt lgkmcnt(0)
	s_add_u32 s2, s0, s2
	s_addc_u32 s3, s1, s3
	s_waitcnt vmcnt(0)
	v_pk_add_f32 v[2:3], v[4:5], v[2:3]
	ds_bpermute_b32 v4, v0, v2
	ds_bpermute_b32 v5, v0, v3
	s_waitcnt lgkmcnt(0)
	v_pk_add_f32 v[4:5], v[2:3], v[4:5]
	ds_bpermute_b32 v6, v1, v4
	ds_bpermute_b32 v7, v1, v5
	v_cndmask_b32_e32 v2, v12, v10, vcc
	v_lshlrev_b32_e32 v2, 2, v2
	v_cmp_lt_i32_e32 vcc, v11, v13
	s_waitcnt lgkmcnt(0)
	v_pk_add_f32 v[4:5], v[4:5], v[6:7]
	ds_bpermute_b32 v6, v2, v4
	ds_bpermute_b32 v7, v2, v5
	v_cndmask_b32_e32 v3, v12, v11, vcc
	v_lshlrev_b32_e32 v3, 2, v3
	v_cmp_lt_i32_e32 vcc, v14, v13
	;; [unrolled: 7-line block ×3, first 2 shown]
	s_waitcnt lgkmcnt(0)
	v_pk_add_f32 v[6:7], v[6:7], v[10:11]
	ds_bpermute_b32 v10, v4, v6
	ds_bpermute_b32 v11, v4, v7
	v_cndmask_b32_e32 v5, v12, v15, vcc
	v_lshlrev_b32_e32 v5, 2, v5
	v_or_b32_e32 v12, s5, v8
	v_cmp_gt_u32_e32 vcc, 2, v8
	s_waitcnt lgkmcnt(0)
	v_pk_add_f32 v[6:7], v[6:7], v[10:11]
	ds_bpermute_b32 v10, v5, v6
	ds_bpermute_b32 v11, v5, v7
	v_cmp_gt_u32_e64 s[0:1], s10, v12
	s_and_b64 s[0:1], vcc, s[0:1]
	s_waitcnt lgkmcnt(0)
	v_pk_add_f32 v[6:7], v[6:7], v[10:11]
	scratch_store_dwordx2 off, v[6:7], off
	s_and_saveexec_b64 s[4:5], s[0:1]
	s_cbranch_execz .LBB115_9
; %bb.8:
	scratch_load_dword v6, v9, off
	s_waitcnt vmcnt(0)
	global_store_dword v9, v6, s[2:3]
.LBB115_9:
	s_or_b64 exec, exec, s[4:5]
	scratch_load_dwordx2 v[6:7], off, off offset:8
	ds_read2st64_b32 v[10:11], v9 offset0:2 offset1:3
	s_waitcnt vmcnt(0) lgkmcnt(0)
	v_pk_add_f32 v[6:7], v[10:11], v[6:7]
	ds_bpermute_b32 v10, v0, v6
	ds_bpermute_b32 v11, v0, v7
	s_waitcnt lgkmcnt(0)
	v_pk_add_f32 v[6:7], v[6:7], v[10:11]
	ds_bpermute_b32 v10, v1, v6
	ds_bpermute_b32 v11, v1, v7
	s_waitcnt lgkmcnt(0)
	;; [unrolled: 4-line block ×6, first 2 shown]
	v_pk_add_f32 v[6:7], v[6:7], v[10:11]
	scratch_store_dwordx2 off, v[6:7], off offset:8
	s_and_saveexec_b64 s[4:5], s[0:1]
	s_cbranch_execz .LBB115_11
; %bb.10:
	scratch_load_dword v10, v9, off offset:8
	v_add_u32_e32 v6, s10, v8
	v_mov_b32_e32 v7, 0
	v_lshl_add_u64 v[6:7], v[6:7], 2, s[2:3]
	s_waitcnt vmcnt(0)
	global_store_dword v[6:7], v10, off
.LBB115_11:
	s_or_b64 exec, exec, s[4:5]
	scratch_load_dwordx2 v[6:7], off, off offset:16
	ds_read2st64_b32 v[10:11], v9 offset0:4 offset1:5
	s_waitcnt vmcnt(0) lgkmcnt(0)
	v_pk_add_f32 v[6:7], v[10:11], v[6:7]
	ds_bpermute_b32 v10, v0, v6
	ds_bpermute_b32 v11, v0, v7
	s_waitcnt lgkmcnt(0)
	v_pk_add_f32 v[6:7], v[6:7], v[10:11]
	ds_bpermute_b32 v10, v1, v6
	ds_bpermute_b32 v11, v1, v7
	s_waitcnt lgkmcnt(0)
	;; [unrolled: 4-line block ×6, first 2 shown]
	v_pk_add_f32 v[6:7], v[6:7], v[10:11]
	scratch_store_dwordx2 off, v[6:7], off offset:16
	s_and_saveexec_b64 s[4:5], s[0:1]
	s_cbranch_execz .LBB115_13
; %bb.12:
	scratch_load_dword v10, v9, off offset:16
	v_lshl_or_b32 v6, s10, 1, v8
	v_mov_b32_e32 v7, 0
	v_lshl_add_u64 v[6:7], v[6:7], 2, s[2:3]
	s_waitcnt vmcnt(0)
	global_store_dword v[6:7], v10, off
.LBB115_13:
	s_or_b64 exec, exec, s[4:5]
	scratch_load_dwordx2 v[6:7], off, off offset:24
	ds_read2st64_b32 v[10:11], v9 offset0:6 offset1:7
	s_waitcnt vmcnt(0) lgkmcnt(0)
	v_pk_add_f32 v[6:7], v[10:11], v[6:7]
	ds_bpermute_b32 v10, v0, v6
	ds_bpermute_b32 v11, v0, v7
	s_waitcnt lgkmcnt(0)
	v_pk_add_f32 v[6:7], v[6:7], v[10:11]
	ds_bpermute_b32 v0, v1, v6
	ds_bpermute_b32 v1, v1, v7
	s_waitcnt lgkmcnt(0)
	;; [unrolled: 4-line block ×6, first 2 shown]
	v_pk_add_f32 v[0:1], v[0:1], v[2:3]
	scratch_store_dwordx2 off, v[0:1], off offset:24
	s_and_b64 exec, exec, s[0:1]
	s_cbranch_execz .LBB115_15
; %bb.14:
	scratch_load_dword v2, v9, off offset:24
	v_mad_u64_u32 v[0:1], s[0:1], s10, 3, v[8:9]
	v_mov_b32_e32 v1, 0
	v_lshl_add_u64 v[0:1], v[0:1], 2, s[2:3]
	s_waitcnt vmcnt(0)
	global_store_dword v[0:1], v2, off
.LBB115_15:
	s_endpgm
	.section	.rodata,"a",@progbits
	.p2align	6, 0x0
	.amdhsa_kernel _ZL13mul_mat_vec_qIL9ggml_type11ELi4ELb0ELb0EEvPKvS2_PKi31ggml_cuda_mm_fusion_args_devicePfj15HIP_vector_typeIjLj3EEjjjS8_jjjS8_jjjj
		.amdhsa_group_segment_fixed_size 2048
		.amdhsa_private_segment_fixed_size 48
		.amdhsa_kernarg_size 144
		.amdhsa_user_sgpr_count 2
		.amdhsa_user_sgpr_dispatch_ptr 0
		.amdhsa_user_sgpr_queue_ptr 0
		.amdhsa_user_sgpr_kernarg_segment_ptr 1
		.amdhsa_user_sgpr_dispatch_id 0
		.amdhsa_user_sgpr_kernarg_preload_length 0
		.amdhsa_user_sgpr_kernarg_preload_offset 0
		.amdhsa_user_sgpr_private_segment_size 0
		.amdhsa_uses_dynamic_stack 0
		.amdhsa_enable_private_segment 1
		.amdhsa_system_sgpr_workgroup_id_x 1
		.amdhsa_system_sgpr_workgroup_id_y 1
		.amdhsa_system_sgpr_workgroup_id_z 1
		.amdhsa_system_sgpr_workgroup_info 0
		.amdhsa_system_vgpr_workitem_id 1
		.amdhsa_next_free_vgpr 89
		.amdhsa_next_free_sgpr 28
		.amdhsa_accum_offset 92
		.amdhsa_reserve_vcc 1
		.amdhsa_float_round_mode_32 0
		.amdhsa_float_round_mode_16_64 0
		.amdhsa_float_denorm_mode_32 3
		.amdhsa_float_denorm_mode_16_64 3
		.amdhsa_dx10_clamp 1
		.amdhsa_ieee_mode 1
		.amdhsa_fp16_overflow 0
		.amdhsa_tg_split 0
		.amdhsa_exception_fp_ieee_invalid_op 0
		.amdhsa_exception_fp_denorm_src 0
		.amdhsa_exception_fp_ieee_div_zero 0
		.amdhsa_exception_fp_ieee_overflow 0
		.amdhsa_exception_fp_ieee_underflow 0
		.amdhsa_exception_fp_ieee_inexact 0
		.amdhsa_exception_int_div_zero 0
	.end_amdhsa_kernel
	.section	.text._ZL13mul_mat_vec_qIL9ggml_type11ELi4ELb0ELb0EEvPKvS2_PKi31ggml_cuda_mm_fusion_args_devicePfj15HIP_vector_typeIjLj3EEjjjS8_jjjS8_jjjj,"axG",@progbits,_ZL13mul_mat_vec_qIL9ggml_type11ELi4ELb0ELb0EEvPKvS2_PKi31ggml_cuda_mm_fusion_args_devicePfj15HIP_vector_typeIjLj3EEjjjS8_jjjS8_jjjj,comdat
.Lfunc_end115:
	.size	_ZL13mul_mat_vec_qIL9ggml_type11ELi4ELb0ELb0EEvPKvS2_PKi31ggml_cuda_mm_fusion_args_devicePfj15HIP_vector_typeIjLj3EEjjjS8_jjjS8_jjjj, .Lfunc_end115-_ZL13mul_mat_vec_qIL9ggml_type11ELi4ELb0ELb0EEvPKvS2_PKi31ggml_cuda_mm_fusion_args_devicePfj15HIP_vector_typeIjLj3EEjjjS8_jjjS8_jjjj
                                        ; -- End function
	.section	.AMDGPU.csdata,"",@progbits
; Kernel info:
; codeLenInByte = 5112
; NumSgprs: 34
; NumVgprs: 89
; NumAgprs: 0
; TotalNumVgprs: 89
; ScratchSize: 48
; MemoryBound: 0
; FloatMode: 240
; IeeeMode: 1
; LDSByteSize: 2048 bytes/workgroup (compile time only)
; SGPRBlocks: 4
; VGPRBlocks: 11
; NumSGPRsForWavesPerEU: 34
; NumVGPRsForWavesPerEU: 89
; AccumOffset: 92
; Occupancy: 5
; WaveLimiterHint : 0
; COMPUTE_PGM_RSRC2:SCRATCH_EN: 1
; COMPUTE_PGM_RSRC2:USER_SGPR: 2
; COMPUTE_PGM_RSRC2:TRAP_HANDLER: 0
; COMPUTE_PGM_RSRC2:TGID_X_EN: 1
; COMPUTE_PGM_RSRC2:TGID_Y_EN: 1
; COMPUTE_PGM_RSRC2:TGID_Z_EN: 1
; COMPUTE_PGM_RSRC2:TIDIG_COMP_CNT: 1
; COMPUTE_PGM_RSRC3_GFX90A:ACCUM_OFFSET: 22
; COMPUTE_PGM_RSRC3_GFX90A:TG_SPLIT: 0
	.section	.text._ZL13mul_mat_vec_qIL9ggml_type11ELi5ELb0ELb0EEvPKvS2_PKi31ggml_cuda_mm_fusion_args_devicePfj15HIP_vector_typeIjLj3EEjjjS8_jjjS8_jjjj,"axG",@progbits,_ZL13mul_mat_vec_qIL9ggml_type11ELi5ELb0ELb0EEvPKvS2_PKi31ggml_cuda_mm_fusion_args_devicePfj15HIP_vector_typeIjLj3EEjjjS8_jjjS8_jjjj,comdat
	.globl	_ZL13mul_mat_vec_qIL9ggml_type11ELi5ELb0ELb0EEvPKvS2_PKi31ggml_cuda_mm_fusion_args_devicePfj15HIP_vector_typeIjLj3EEjjjS8_jjjS8_jjjj ; -- Begin function _ZL13mul_mat_vec_qIL9ggml_type11ELi5ELb0ELb0EEvPKvS2_PKi31ggml_cuda_mm_fusion_args_devicePfj15HIP_vector_typeIjLj3EEjjjS8_jjjS8_jjjj
	.p2align	8
	.type	_ZL13mul_mat_vec_qIL9ggml_type11ELi5ELb0ELb0EEvPKvS2_PKi31ggml_cuda_mm_fusion_args_devicePfj15HIP_vector_typeIjLj3EEjjjS8_jjjS8_jjjj,@function
_ZL13mul_mat_vec_qIL9ggml_type11ELi5ELb0ELb0EEvPKvS2_PKi31ggml_cuda_mm_fusion_args_devicePfj15HIP_vector_typeIjLj3EEjjjS8_jjjS8_jjjj: ; @_ZL13mul_mat_vec_qIL9ggml_type11ELi5ELb0ELb0EEvPKvS2_PKi31ggml_cuda_mm_fusion_args_devicePfj15HIP_vector_typeIjLj3EEjjjS8_jjjS8_jjjj
; %bb.0:
	v_bfe_u32 v33, v0, 10, 10
	v_and_b32_e32 v8, 0x3ff, v0
	s_mov_b32 s20, 0
	s_load_dword s5, s[0:1], 0x40
	s_load_dwordx4 s[8:11], s[0:1], 0x50
	s_load_dword s25, s[0:1], 0x60
	s_load_dwordx4 s[12:15], s[0:1], 0x68
	;; [unrolled: 2-line block ×3, first 2 shown]
	v_lshl_or_b32 v4, v33, 6, v8
	s_mov_b32 s21, s20
	s_waitcnt lgkmcnt(0)
	s_lshr_b32 s5, s5, 8
	v_mov_b32_e32 v11, 0
	s_mov_b32 s22, s20
	s_mov_b32 s23, s20
	v_mov_b64_e32 v[0:1], s[20:21]
	v_lshrrev_b32_e32 v72, 4, v4
	s_lshl_b32 s2, s2, 1
	v_mov_b32_e32 v10, v11
	v_mov_b64_e32 v[2:3], s[22:23]
	v_cmp_gt_u32_e32 vcc, s5, v72
	scratch_store_dwordx2 off, v[10:11], off offset:32
	scratch_store_dwordx4 off, v[0:3], off offset:16
	scratch_store_dwordx4 off, v[0:3], off
	s_and_saveexec_b64 s[6:7], vcc
	s_cbranch_execz .LBB116_4
; %bb.1:
	v_lshrrev_b32_e32 v0, 1, v8
	v_and_b32_e32 v1, 15, v8
	v_and_b32_e32 v73, 4, v0
	;; [unrolled: 1-line block ×3, first 2 shown]
	v_lshlrev_b32_e32 v2, 1, v1
	v_sub_u32_e32 v1, v1, v0
	v_bfe_u32 v3, v8, 2, 1
	v_add_u32_e32 v1, v1, v3
	v_lshrrev_b16_e32 v3, 12, v1
	v_and_b32_e32 v3, 7, v3
	v_add_u16_e32 v3, v1, v3
	v_and_b32_e32 v5, 0xf8, v3
	v_ashrrev_i16_e32 v3, 3, v3
	v_mov_b32_e32 v6, 2
	v_lshlrev_b32_sdwa v74, v6, sext(v3) dst_sel:DWORD dst_unused:UNUSED_PAD src0_sel:DWORD src1_sel:WORD_0
	v_lshrrev_b16_e32 v3, 6, v1
	v_and_b32_e32 v3, 3, v3
	v_sub_u16_e32 v5, v1, v5
	v_add_u16_e32 v3, v1, v3
	v_bfe_i32 v12, v5, 0, 8
	v_and_b32_e32 v5, 0xfc, v3
	v_ashrrev_i16_e32 v3, 2, v3
	v_mov_b32_e32 v7, 1
	v_sub_u16_e32 v5, v1, v5
	v_lshlrev_b32_sdwa v75, v7, sext(v3) dst_sel:DWORD dst_unused:UNUSED_PAD src0_sel:DWORD src1_sel:WORD_0
	v_add_u16_e32 v3, 2, v1
	v_bfe_i32 v14, v5, 0, 8
	v_lshrrev_b16_e32 v5, 7, v3
	v_mov_b32_e32 v9, 5
	v_lshrrev_b16_sdwa v10, v9, v5 dst_sel:DWORD dst_unused:UNUSED_PAD src0_sel:DWORD src1_sel:BYTE_0
	v_add_u16_e32 v10, v3, v10
	v_mov_b32_e32 v21, 3
	v_and_b32_e32 v16, 0xf8, v10
	v_ashrrev_i16_sdwa v10, v21, sext(v10) dst_sel:DWORD dst_unused:UNUSED_PAD src0_sel:DWORD src1_sel:BYTE_0
	v_lshlrev_b32_sdwa v76, v6, sext(v10) dst_sel:DWORD dst_unused:UNUSED_PAD src0_sel:DWORD src1_sel:WORD_0
	v_mov_b32_e32 v10, 6
	v_lshrrev_b16_sdwa v5, v10, v5 dst_sel:DWORD dst_unused:UNUSED_PAD src0_sel:DWORD src1_sel:BYTE_0
	v_add_u16_e32 v5, v3, v5
	v_and_b32_e32 v18, 0xfc, v5
	s_load_dwordx4 s[20:23], s[0:1], 0x0
	v_sub_u16_e32 v16, v3, v16
	v_sub_u16_e32 v3, v3, v18
	v_ashrrev_i16_sdwa v5, v6, sext(v5) dst_sel:DWORD dst_unused:UNUSED_PAD src0_sel:DWORD src1_sel:BYTE_0
	v_bfe_i32 v18, v3, 0, 8
	v_add_u16_e32 v3, 4, v1
	v_lshlrev_b32_sdwa v77, v7, sext(v5) dst_sel:DWORD dst_unused:UNUSED_PAD src0_sel:DWORD src1_sel:WORD_0
	v_lshrrev_b16_e32 v5, 7, v3
	s_mul_i32 s17, s4, s17
	v_lshrrev_b16_sdwa v20, v9, v5 dst_sel:DWORD dst_unused:UNUSED_PAD src0_sel:DWORD src1_sel:BYTE_0
	v_lshrrev_b16_sdwa v5, v10, v5 dst_sel:DWORD dst_unused:UNUSED_PAD src0_sel:DWORD src1_sel:BYTE_0
	s_mul_hi_u32 s19, s17, 36
	s_mul_i32 s17, s17, 36
	v_add_u16_e32 v20, v3, v20
	v_add_u16_e32 v5, v3, v5
	s_mul_i32 s13, s3, s13
	s_waitcnt lgkmcnt(0)
	s_add_u32 s17, s22, s17
	v_and_b32_e32 v22, 0xf8, v20
	v_and_b32_e32 v24, 0xfc, v5
	s_addc_u32 s19, s23, s19
	s_mul_hi_u32 s22, s13, 36
	s_mul_i32 s13, s13, 36
	v_sub_u16_e32 v22, v3, v22
	v_sub_u16_e32 v3, v3, v24
	v_add_u16_e32 v1, 6, v1
	s_add_u32 s26, s17, s13
	s_mul_hi_u32 s11, s11, s3
	v_ashrrev_i16_sdwa v5, v6, sext(v5) dst_sel:DWORD dst_unused:UNUSED_PAD src0_sel:DWORD src1_sel:BYTE_0
	v_bfe_i32 v26, v3, 0, 8
	v_lshrrev_b16_e32 v3, 7, v1
	s_addc_u32 s27, s19, s22
	s_add_i32 s11, s3, s11
	v_lshlrev_b32_sdwa v24, v7, sext(v5) dst_sel:DWORD dst_unused:UNUSED_PAD src0_sel:DWORD src1_sel:WORD_0
	v_lshrrev_b16_sdwa v5, v9, v3 dst_sel:DWORD dst_unused:UNUSED_PAD src0_sel:DWORD src1_sel:BYTE_0
	s_lshr_b32 s11, s11, s25
	v_add_u16_e32 v5, v1, v5
	v_lshrrev_b16_sdwa v3, v10, v3 dst_sel:DWORD dst_unused:UNUSED_PAD src0_sel:DWORD src1_sel:BYTE_0
	s_mul_i32 s11, s11, s12
	s_mul_hi_u32 s12, s15, s4
	v_and_b32_e32 v9, 0xf8, v5
	v_ashrrev_i16_sdwa v5, v21, sext(v5) dst_sel:DWORD dst_unused:UNUSED_PAD src0_sel:DWORD src1_sel:BYTE_0
	v_add_u16_e32 v3, v1, v3
	s_add_i32 s12, s4, s12
	v_lshlrev_b32_sdwa v28, v6, sext(v5) dst_sel:DWORD dst_unused:UNUSED_PAD src0_sel:DWORD src1_sel:WORD_0
	v_and_b32_e32 v5, 0xfc, v3
	s_lshr_b32 s12, s12, s24
	v_sub_u16_e32 v9, v1, v9
	v_sub_u16_e32 v1, v1, v5
	v_ashrrev_i16_sdwa v3, v6, sext(v3) dst_sel:DWORD dst_unused:UNUSED_PAD src0_sel:DWORD src1_sel:BYTE_0
	s_mul_i32 s12, s12, s16
	v_ashrrev_i16_sdwa v20, v21, sext(v20) dst_sel:DWORD dst_unused:UNUSED_PAD src0_sel:DWORD src1_sel:BYTE_0
	v_lshlrev_b32_sdwa v32, v7, sext(v3) dst_sel:DWORD dst_unused:UNUSED_PAD src0_sel:DWORD src1_sel:WORD_0
	v_bfe_i32 v34, v1, 0, 8
	v_lshl_add_u32 v1, v33, 6, v8
	v_bfe_u32 v3, v8, 3, 1
	v_lshlrev_b32_sdwa v20, v6, sext(v20) dst_sel:DWORD dst_unused:UNUSED_PAD src0_sel:DWORD src1_sel:WORD_0
	s_mul_i32 s13, s2, s8
	s_add_i32 s15, s12, s11
	v_lshrrev_b32_e32 v1, 4, v1
	v_mul_hi_u32_u24_e32 v7, 0x90, v3
	v_mul_u32_u24_e32 v6, 0x90, v3
	s_movk_i32 s12, 0x120
	s_add_i32 s11, s15, s13
	v_mad_u64_u32 v[6:7], s[12:13], v1, s12, v[6:7]
	s_add_i32 s12, s2, 1
	v_lshlrev_b32_e32 v4, 1, v0
	v_bfe_i32 v16, v16, 0, 8
	v_bfe_i32 v22, v22, 0, 8
	v_bfe_i32 v30, v9, 0, 8
	s_mul_i32 s8, s8, s12
	v_ashrrev_i32_e32 v13, 31, v12
	v_ashrrev_i32_e32 v15, 31, v14
	;; [unrolled: 1-line block ×8, first 2 shown]
	v_mov_b32_e32 v9, v20
	v_mov_b32_e32 v21, v24
	;; [unrolled: 1-line block ×3, first 2 shown]
	v_lshlrev_b32_e32 v36, 2, v0
	v_mov_b32_e32 v37, v11
	v_lshl_add_u64 v[38:39], s[26:27], 0, v[6:7]
	s_add_i32 s8, s15, s8
	s_lshl_b32 s15, s9, 1
	v_lshlrev_b32_e32 v78, 3, v72
	s_mul_i32 s19, s9, 3
	s_lshl_b32 s28, s9, 2
	s_mov_b64 s[12:13], 0
	s_movk_i32 s29, 0x6e
	v_lshlrev_b32_e32 v10, 1, v2
	v_lshlrev_b32_e32 v42, 1, v4
	;; [unrolled: 1-line block ×3, first 2 shown]
	s_mov_b64 s[16:17], 0x48
	s_mov_b64 s[22:23], 0x6c
	;; [unrolled: 1-line block ×3, first 2 shown]
	v_mov_b32_e32 v4, v11
	v_mov_b32_e32 v5, v11
	;; [unrolled: 1-line block ×11, first 2 shown]
	v_mad_u64_u32 v[46:47], s[26:27], v73, 36, s[26:27]
.LBB116_2:                              ; =>This Inner Loop Header: Depth=1
	v_add_u32_e32 v45, s11, v72
	v_add_u32_e32 v54, s8, v72
	v_mov_b64_e32 v[52:53], s[20:21]
	v_mad_i64_i32 v[50:51], s[26:27], v45, s29, v[52:53]
	v_mad_i64_i32 v[52:53], s[26:27], v54, s29, v[52:53]
	v_mov_b32_e32 v43, v11
	v_lshl_add_u64 v[54:55], v[52:53], 0, v[12:13]
	v_lshl_add_u64 v[56:57], v[52:53], 0, v[14:15]
	;; [unrolled: 1-line block ×4, first 2 shown]
	global_load_dword v70, v[38:39], off
	v_lshl_add_u64 v[58:59], v[50:51], 0, v[42:43]
	v_lshl_add_u64 v[62:63], v[50:51], 0, v[14:15]
	global_load_ubyte v45, v[54:55], off offset:96
	v_lshl_add_u64 v[54:55], v[52:53], 0, v[42:43]
	global_load_ubyte v71, v[56:57], off offset:104
	global_load_dword v80, v[58:59], off
	v_lshl_add_u64 v[56:57], v[52:53], 0, v[10:11]
	global_load_ubyte v81, v[60:61], off offset:96
	global_load_ubyte v82, v[62:63], off offset:104
	global_load_dword v79, v[68:69], off offset:32
	s_nop 0
	global_load_dword v60, v[54:55], off
	v_lshl_add_u64 v[64:65], v[50:51], 0, v[16:17]
	v_lshl_add_u64 v[66:67], v[50:51], 0, v[18:19]
	;; [unrolled: 1-line block ×4, first 2 shown]
	global_load_dword v43, v[56:57], off offset:32
	global_load_ubyte v61, v[58:59], off offset:104
	global_load_ubyte v62, v[54:55], off offset:96
	;; [unrolled: 1-line block ×4, first 2 shown]
	v_lshl_add_u64 v[48:49], v[38:39], 0, v[36:37]
	v_mov_b32_e32 v90, v11
	v_add_u32_e32 v72, 4, v72
	v_cmp_le_u32_e32 vcc, s5, v72
	s_or_b64 s[12:13], vcc, s[12:13]
	s_waitcnt vmcnt(11)
	v_bfe_u32 v45, v45, v74, 4
	s_waitcnt vmcnt(10)
	v_lshrrev_b32_e32 v54, v75, v71
	s_waitcnt vmcnt(9)
	v_ashrrev_i32_e32 v57, v73, v80
	s_waitcnt vmcnt(8)
	v_bfe_u32 v55, v81, v74, 4
	s_waitcnt vmcnt(7)
	v_lshrrev_b32_e32 v56, v75, v82
	s_waitcnt vmcnt(5)
	v_ashrrev_i32_e32 v60, v73, v60
	v_not_b32_e32 v80, v60
	v_lshlrev_b32_e32 v54, 4, v54
	v_lshlrev_b32_e32 v56, 4, v56
	s_waitcnt vmcnt(1)
	v_lshrrev_b32_e32 v63, v77, v63
	s_waitcnt vmcnt(0)
	v_bfe_u32 v66, v68, v76, 4
	v_lshlrev_b32_e32 v60, 4, v63
	v_and_or_b32 v60, v60, 48, v66
	global_load_dword v66, v[48:49], off offset:4
	v_not_b32_e32 v81, v57
	v_lshrrev_b32_e32 v61, v77, v61
	v_and_or_b32 v45, v54, 48, v45
	v_and_or_b32 v55, v56, 48, v55
	v_lshlrev_b32_e32 v54, 2, v81
	v_lshlrev_b32_e32 v56, 2, v80
	v_bfe_u32 v58, v79, 24, 2
	v_and_b32_e32 v59, 0x3030303, v79
	v_bfe_u32 v64, v43, 24, 2
	v_and_b32_e32 v65, 0x3030303, v43
	v_bfe_u32 v62, v62, v76, 4
	v_lshlrev_b32_e32 v57, 4, v61
	v_and_b32_e32 v54, 0x4040404, v54
	v_and_b32_e32 v56, 0x4040404, v56
	v_and_or_b32 v61, v57, 48, v62
	v_sub_u16_sdwa v57, v58, v54 dst_sel:BYTE_1 dst_unused:UNUSED_PAD src0_sel:DWORD src1_sel:BYTE_3
	v_sub_u16_e32 v58, v59, v54
	v_sub_u16_sdwa v62, v59, v54 dst_sel:BYTE_1 dst_unused:UNUSED_PAD src0_sel:BYTE_1 src1_sel:BYTE_1
	v_sub_u16_sdwa v54, v59, v54 dst_sel:DWORD dst_unused:UNUSED_PAD src0_sel:WORD_1 src1_sel:WORD_1
	v_sub_u16_sdwa v59, v64, v56 dst_sel:BYTE_1 dst_unused:UNUSED_PAD src0_sel:DWORD src1_sel:BYTE_3
	v_sub_u16_e32 v63, v65, v56
	v_sub_u16_sdwa v64, v65, v56 dst_sel:BYTE_1 dst_unused:UNUSED_PAD src0_sel:BYTE_1 src1_sel:BYTE_1
	v_sub_u16_sdwa v56, v65, v56 dst_sel:DWORD dst_unused:UNUSED_PAD src0_sel:WORD_1 src1_sel:WORD_1
	v_or_b32_sdwa v58, v58, v62 dst_sel:DWORD dst_unused:UNUSED_PAD src0_sel:BYTE_0 src1_sel:DWORD
	v_or_b32_sdwa v57, v54, v57 dst_sel:WORD_1 dst_unused:UNUSED_PAD src0_sel:BYTE_0 src1_sel:DWORD
	v_or_b32_sdwa v63, v63, v64 dst_sel:DWORD dst_unused:UNUSED_PAD src0_sel:BYTE_0 src1_sel:DWORD
	v_or_b32_sdwa v56, v56, v59 dst_sel:WORD_1 dst_unused:UNUSED_PAD src0_sel:BYTE_0 src1_sel:DWORD
	v_mov_b32_e32 v65, v11
	v_mov_b32_e32 v62, v11
	v_or_b32_sdwa v82, v58, v57 dst_sel:DWORD dst_unused:UNUSED_PAD src0_sel:WORD_0 src1_sel:DWORD
	v_or_b32_sdwa v83, v63, v56 dst_sel:DWORD dst_unused:UNUSED_PAD src0_sel:WORD_0 src1_sel:DWORD
	v_subrev_u32_e32 v84, 32, v45
	v_subrev_u32_e32 v85, 32, v55
	v_cvt_f32_f16_e32 v54, v70
	v_lshrrev_b32_e32 v59, 2, v79
	v_and_b32_e32 v63, 0x3030303, v59
	v_bfe_u32 v59, v59, 24, 2
	v_lshrrev_b32_e32 v58, 2, v43
	v_subrev_u32_e32 v88, 32, v61
	v_subrev_u32_e32 v89, 32, v60
	v_mov_b32_e32 v68, v11
	v_mov_b32_e32 v70, v11
	s_waitcnt vmcnt(0)
	v_dot4c_i32_i8_e32 v65, v82, v66
	v_dot4c_i32_i8_e32 v62, v83, v66
	s_nop 1
	v_mul_lo_u32 v45, v85, v65
	v_cvt_f32_i32_e32 v56, v45
	v_lshlrev_b32_e32 v45, 1, v81
	v_mul_lo_u32 v55, v84, v62
	v_cvt_f32_i32_e32 v57, v55
	v_and_b32_e32 v45, 0x4040404, v45
	v_sub_u16_sdwa v59, v59, v45 dst_sel:BYTE_1 dst_unused:UNUSED_PAD src0_sel:DWORD src1_sel:BYTE_3
	v_and_b32_e32 v62, 0x3030303, v58
	v_pk_fma_f32 v[54:55], v[54:55], v[56:57], 0 op_sel_hi:[0,1,0]
	v_sub_u16_e32 v56, v63, v45
	v_sub_u16_sdwa v57, v63, v45 dst_sel:BYTE_1 dst_unused:UNUSED_PAD src0_sel:BYTE_1 src1_sel:BYTE_1
	v_sub_u16_sdwa v45, v63, v45 dst_sel:DWORD dst_unused:UNUSED_PAD src0_sel:WORD_1 src1_sel:WORD_1
	v_lshlrev_b32_e32 v63, 1, v80
	v_bfe_u32 v58, v58, 24, 2
	v_and_b32_e32 v63, 0x4040404, v63
	v_sub_u16_sdwa v58, v58, v63 dst_sel:BYTE_1 dst_unused:UNUSED_PAD src0_sel:DWORD src1_sel:BYTE_3
	v_sub_u16_e32 v64, v62, v63
	v_sub_u16_sdwa v65, v62, v63 dst_sel:BYTE_1 dst_unused:UNUSED_PAD src0_sel:BYTE_1 src1_sel:BYTE_1
	v_sub_u16_sdwa v62, v62, v63 dst_sel:DWORD dst_unused:UNUSED_PAD src0_sel:WORD_1 src1_sel:WORD_1
	v_or_b32_sdwa v56, v56, v57 dst_sel:DWORD dst_unused:UNUSED_PAD src0_sel:BYTE_0 src1_sel:DWORD
	v_or_b32_sdwa v57, v64, v65 dst_sel:DWORD dst_unused:UNUSED_PAD src0_sel:BYTE_0 src1_sel:DWORD
	v_or_b32_sdwa v58, v62, v58 dst_sel:WORD_1 dst_unused:UNUSED_PAD src0_sel:BYTE_0 src1_sel:DWORD
	v_or_b32_sdwa v45, v45, v59 dst_sel:WORD_1 dst_unused:UNUSED_PAD src0_sel:BYTE_0 src1_sel:DWORD
	global_load_dword v59, v[38:39], off offset:36
	v_or_b32_sdwa v87, v57, v58 dst_sel:DWORD dst_unused:UNUSED_PAD src0_sel:WORD_0 src1_sel:DWORD
	global_load_dword v57, v[48:49], off offset:40
	v_mov_b32_e32 v62, v11
	v_or_b32_sdwa v86, v56, v45 dst_sel:DWORD dst_unused:UNUSED_PAD src0_sel:WORD_0 src1_sel:DWORD
	v_mov_b32_e32 v56, v11
	v_mov_b32_e32 v45, v11
	;; [unrolled: 1-line block ×3, first 2 shown]
	s_waitcnt vmcnt(0)
	v_dot4c_i32_i8_e32 v62, v86, v57
	v_dot4c_i32_i8_e32 v56, v87, v57
	s_nop 1
	v_mul_lo_u32 v58, v89, v62
	v_mul_lo_u32 v56, v88, v56
	v_cvt_f32_i32_e32 v57, v56
	v_cvt_f32_i32_e32 v56, v58
	v_cvt_f32_f16_e32 v58, v59
	v_pk_fma_f32 v[60:61], v[58:59], v[56:57], v[54:55] op_sel_hi:[0,1,1]
	v_add_u32_e32 v54, s9, v78
	v_mad_u64_u32 v[66:67], s[26:27], v54, 36, v[46:47]
	v_lshl_add_u64 v[54:55], v[66:67], 0, v[44:45]
	global_load_dword v54, v[54:55], off offset:4
	v_mov_b32_e32 v55, v11
	v_mov_b32_e32 v56, v11
	;; [unrolled: 1-line block ×3, first 2 shown]
	s_waitcnt vmcnt(0)
	v_dot4c_i32_i8_e32 v55, v82, v54
	v_dot4c_i32_i8_e32 v56, v83, v54
	s_nop 1
	v_mul_lo_u32 v54, v85, v55
	v_cvt_f32_i32_e32 v54, v54
	v_mul_lo_u32 v55, v84, v56
	global_load_dword v56, v[66:67], off
	v_cvt_f32_i32_e32 v55, v55
	s_waitcnt vmcnt(0)
	v_cvt_f32_f16_e32 v56, v56
	v_pk_fma_f32 v[54:55], v[56:57], v[54:55], 0 op_sel_hi:[0,1,0]
	v_lshl_add_u64 v[56:57], v[66:67], 0, 36
	v_lshl_add_u64 v[56:57], v[56:57], 0, v[44:45]
	global_load_dword v56, v[56:57], off offset:4
	v_mov_b32_e32 v57, v11
	s_waitcnt vmcnt(0)
	v_dot4c_i32_i8_e32 v57, v86, v56
	v_dot4c_i32_i8_e32 v58, v87, v56
	s_nop 1
	v_mul_lo_u32 v56, v89, v57
	v_cvt_f32_i32_e32 v56, v56
	v_mul_lo_u32 v57, v88, v58
	global_load_dword v58, v[66:67], off offset:36
	v_cvt_f32_i32_e32 v57, v57
	s_waitcnt vmcnt(0)
	v_cvt_f32_f16_e32 v58, v58
	v_pk_fma_f32 v[62:63], v[58:59], v[56:57], v[54:55] op_sel_hi:[0,1,1]
	v_add_u32_e32 v54, s15, v78
	v_mad_u64_u32 v[54:55], s[26:27], v54, 36, v[46:47]
	v_lshl_add_u64 v[56:57], v[54:55], 0, v[44:45]
	global_load_dword v56, v[56:57], off offset:4
	v_mov_b32_e32 v57, v11
	v_mov_b32_e32 v58, v11
	s_waitcnt vmcnt(0)
	v_dot4c_i32_i8_e32 v57, v82, v56
	v_dot4c_i32_i8_e32 v58, v83, v56
	s_nop 1
	v_mul_lo_u32 v56, v85, v57
	v_cvt_f32_i32_e32 v56, v56
	v_mul_lo_u32 v57, v84, v58
	global_load_dword v58, v[54:55], off
	v_cvt_f32_i32_e32 v57, v57
	s_waitcnt vmcnt(0)
	v_cvt_f32_f16_e32 v58, v58
	v_pk_fma_f32 v[56:57], v[58:59], v[56:57], 0 op_sel_hi:[0,1,0]
	v_lshl_add_u64 v[58:59], v[54:55], 0, 36
	v_lshl_add_u64 v[58:59], v[58:59], 0, v[44:45]
	global_load_dword v58, v[58:59], off offset:4
	v_mov_b32_e32 v59, v11
	s_waitcnt vmcnt(0)
	v_dot4c_i32_i8_e32 v59, v86, v58
	v_dot4c_i32_i8_e32 v64, v87, v58
	s_nop 1
	v_mul_lo_u32 v58, v89, v59
	v_cvt_f32_i32_e32 v58, v58
	v_mul_lo_u32 v59, v88, v64
	global_load_dword v64, v[54:55], off offset:36
	v_cvt_f32_i32_e32 v59, v59
	s_waitcnt vmcnt(0)
	v_cvt_f32_f16_e32 v64, v64
	v_pk_fma_f32 v[64:65], v[64:65], v[58:59], v[56:57] op_sel_hi:[0,1,1]
	v_add_u32_e32 v56, s19, v78
	v_mad_u64_u32 v[56:57], s[26:27], v56, 36, v[46:47]
	v_lshl_add_u64 v[58:59], v[56:57], 0, v[44:45]
	global_load_dword v58, v[58:59], off offset:4
	v_mov_b32_e32 v59, v11
	s_waitcnt vmcnt(0)
	v_dot4c_i32_i8_e32 v59, v82, v58
	v_dot4c_i32_i8_e32 v68, v83, v58
	s_nop 1
	v_mul_lo_u32 v58, v85, v59
	v_cvt_f32_i32_e32 v58, v58
	v_mul_lo_u32 v59, v84, v68
	global_load_dword v68, v[56:57], off
	v_cvt_f32_i32_e32 v59, v59
	s_waitcnt vmcnt(0)
	v_cvt_f32_f16_e32 v68, v68
	v_pk_fma_f32 v[58:59], v[68:69], v[58:59], 0 op_sel_hi:[0,1,0]
	v_lshl_add_u64 v[68:69], v[56:57], 0, 36
	v_lshl_add_u64 v[68:69], v[68:69], 0, v[44:45]
	global_load_dword v68, v[68:69], off offset:4
	v_mov_b32_e32 v69, v11
	s_waitcnt vmcnt(0)
	v_dot4c_i32_i8_e32 v69, v86, v68
	v_dot4c_i32_i8_e32 v70, v87, v68
	s_nop 1
	v_mul_lo_u32 v68, v89, v69
	v_cvt_f32_i32_e32 v68, v68
	v_mul_lo_u32 v69, v88, v70
	global_load_dword v70, v[56:57], off offset:36
	v_cvt_f32_i32_e32 v69, v69
	s_waitcnt vmcnt(0)
	v_cvt_f32_f16_e32 v70, v70
	v_pk_fma_f32 v[68:69], v[70:71], v[68:69], v[58:59] op_sel_hi:[0,1,1]
	v_add_u32_e32 v58, s28, v78
	v_mad_u64_u32 v[58:59], s[26:27], v58, 36, v[46:47]
	v_lshl_add_u64 v[70:71], v[58:59], 0, v[44:45]
	global_load_dword v70, v[70:71], off offset:4
	v_add_u32_e32 v78, 32, v78
	s_waitcnt vmcnt(0)
	v_dot4c_i32_i8_e32 v90, v82, v70
	v_mov_b32_e32 v82, v11
	v_dot4c_i32_i8_e32 v82, v83, v70
	v_lshl_add_u64 v[70:71], v[58:59], 0, 36
	v_lshl_add_u64 v[70:71], v[70:71], 0, v[44:45]
	global_load_dword v70, v[70:71], off offset:4
	v_mul_lo_u32 v71, v84, v82
	global_load_dword v82, v[58:59], off
	global_load_dword v84, v[58:59], off offset:36
	v_mov_b32_e32 v83, v11
	v_cvt_f32_i32_e32 v71, v71
	s_waitcnt vmcnt(2)
	v_dot4c_i32_i8_e32 v83, v86, v70
	v_mov_b32_e32 v86, v11
	v_dot4c_i32_i8_e32 v86, v87, v70
	v_mul_lo_u32 v70, v85, v90
	v_cvt_f32_i32_e32 v70, v70
	s_waitcnt vmcnt(1)
	v_cvt_f32_f16_e32 v82, v82
	s_waitcnt vmcnt(0)
	v_cvt_f32_f16_e32 v84, v84
	v_and_b32_e32 v90, 0x4040404, v80
	v_lshrrev_b32_e32 v80, 1, v80
	v_pk_fma_f32 v[70:71], v[82:83], v[70:71], 0 op_sel_hi:[0,1,0]
	v_mul_lo_u32 v82, v89, v83
	v_mul_lo_u32 v83, v88, v86
	v_cvt_f32_i32_e32 v83, v83
	v_cvt_f32_i32_e32 v82, v82
	v_and_b32_e32 v80, 0x4040404, v80
	v_pk_fma_f32 v[70:71], v[84:85], v[82:83], v[70:71] op_sel_hi:[0,1,1]
	v_lshl_add_u64 v[82:83], v[52:53], 0, v[22:23]
	global_load_ubyte v84, v[82:83], off offset:96
	v_lshl_add_u64 v[82:83], v[52:53], 0, v[26:27]
	global_load_ubyte v85, v[82:83], off offset:104
	;; [unrolled: 2-line block ×4, first 2 shown]
	s_waitcnt vmcnt(3)
	v_bfe_u32 v83, v84, v9, 4
	s_waitcnt vmcnt(2)
	v_lshrrev_b32_e32 v84, v21, v85
	v_lshlrev_b32_e32 v84, 4, v84
	v_and_or_b32 v83, v84, 48, v83
	s_waitcnt vmcnt(1)
	v_bfe_u32 v84, v86, v20, 4
	s_waitcnt vmcnt(0)
	v_lshrrev_b32_e32 v82, v24, v82
	v_lshlrev_b32_e32 v82, 4, v82
	v_and_or_b32 v82, v82, 48, v84
	v_lshrrev_b32_e32 v84, 4, v79
	v_and_b32_e32 v85, 0x3030303, v84
	v_bfe_u32 v84, v84, 24, 2
	v_and_b32_e32 v86, 0x4040404, v81
	v_sub_u16_sdwa v84, v84, v86 dst_sel:BYTE_1 dst_unused:UNUSED_PAD src0_sel:DWORD src1_sel:BYTE_3
	v_sub_u16_e32 v87, v85, v86
	v_sub_u16_sdwa v88, v85, v86 dst_sel:BYTE_1 dst_unused:UNUSED_PAD src0_sel:BYTE_1 src1_sel:BYTE_1
	v_sub_u16_sdwa v85, v85, v86 dst_sel:DWORD dst_unused:UNUSED_PAD src0_sel:WORD_1 src1_sel:WORD_1
	v_lshrrev_b32_e32 v86, 4, v43
	v_and_b32_e32 v89, 0x3030303, v86
	v_bfe_u32 v86, v86, 24, 2
	v_sub_u16_sdwa v86, v86, v90 dst_sel:BYTE_1 dst_unused:UNUSED_PAD src0_sel:DWORD src1_sel:BYTE_3
	v_sub_u16_e32 v91, v89, v90
	v_sub_u16_sdwa v92, v89, v90 dst_sel:BYTE_1 dst_unused:UNUSED_PAD src0_sel:BYTE_1 src1_sel:BYTE_1
	v_sub_u16_sdwa v89, v89, v90 dst_sel:DWORD dst_unused:UNUSED_PAD src0_sel:WORD_1 src1_sel:WORD_1
	v_or_b32_sdwa v84, v85, v84 dst_sel:WORD_1 dst_unused:UNUSED_PAD src0_sel:BYTE_0 src1_sel:DWORD
	v_or_b32_sdwa v85, v91, v92 dst_sel:DWORD dst_unused:UNUSED_PAD src0_sel:BYTE_0 src1_sel:DWORD
	v_or_b32_sdwa v86, v89, v86 dst_sel:WORD_1 dst_unused:UNUSED_PAD src0_sel:BYTE_0 src1_sel:DWORD
	v_or_b32_sdwa v87, v87, v88 dst_sel:DWORD dst_unused:UNUSED_PAD src0_sel:BYTE_0 src1_sel:DWORD
	v_or_b32_sdwa v86, v85, v86 dst_sel:DWORD dst_unused:UNUSED_PAD src0_sel:WORD_0 src1_sel:DWORD
	global_load_dword v85, v[48:49], off offset:76
	v_or_b32_sdwa v87, v87, v84 dst_sel:DWORD dst_unused:UNUSED_PAD src0_sel:WORD_0 src1_sel:DWORD
	v_mov_b32_e32 v84, v11
	v_subrev_u32_e32 v90, 32, v82
	v_mov_b32_e32 v88, v11
	v_subrev_u32_e32 v89, 32, v83
	s_waitcnt vmcnt(0)
	v_dot4c_i32_i8_e32 v84, v87, v85
	s_nop 2
	v_mul_lo_u32 v82, v90, v84
	global_load_dword v84, v[38:39], off offset:72
	v_dot4c_i32_i8_e32 v88, v86, v85
	v_cvt_f32_i32_e32 v82, v82
	s_waitcnt vmcnt(0)
	v_cvt_f32_f16_e32 v84, v84
	v_mul_lo_u32 v83, v89, v88
	v_cvt_f32_i32_e32 v83, v83
	v_pk_fma_f32 v[82:83], v[84:85], v[82:83], v[60:61] op_sel_hi:[0,1,1]
	v_lshl_add_u64 v[60:61], v[66:67], 0, s[16:17]
	v_lshl_add_u64 v[60:61], v[60:61], 0, v[44:45]
	global_load_dword v60, v[60:61], off offset:4
	v_mov_b32_e32 v61, v11
	v_mov_b32_e32 v84, v11
	s_waitcnt vmcnt(0)
	v_dot4c_i32_i8_e32 v61, v87, v60
	v_dot4c_i32_i8_e32 v84, v86, v60
	s_nop 1
	v_mul_lo_u32 v60, v90, v61
	v_cvt_f32_i32_e32 v60, v60
	v_mul_lo_u32 v61, v89, v84
	global_load_dword v84, v[66:67], off offset:72
	v_cvt_f32_i32_e32 v61, v61
	s_waitcnt vmcnt(0)
	v_cvt_f32_f16_e32 v84, v84
	v_pk_fma_f32 v[84:85], v[84:85], v[60:61], v[62:63] op_sel_hi:[0,1,1]
	v_lshl_add_u64 v[60:61], v[54:55], 0, s[16:17]
	v_lshl_add_u64 v[60:61], v[60:61], 0, v[44:45]
	global_load_dword v60, v[60:61], off offset:4
	v_mov_b32_e32 v61, v11
	v_mov_b32_e32 v62, v11
	s_waitcnt vmcnt(0)
	v_dot4c_i32_i8_e32 v61, v87, v60
	v_dot4c_i32_i8_e32 v62, v86, v60
	s_nop 1
	v_mul_lo_u32 v60, v90, v61
	v_cvt_f32_i32_e32 v60, v60
	v_mul_lo_u32 v61, v89, v62
	global_load_dword v62, v[54:55], off offset:72
	v_cvt_f32_i32_e32 v61, v61
	s_waitcnt vmcnt(0)
	v_cvt_f32_f16_e32 v62, v62
	;; [unrolled: 17-line block ×4, first 2 shown]
	v_pk_fma_f32 v[64:65], v[68:69], v[64:65], v[70:71] op_sel_hi:[0,1,1]
	global_load_dword v68, v[48:49], off offset:112
	v_lshl_add_u64 v[48:49], v[52:53], 0, v[30:31]
	global_load_ubyte v69, v[48:49], off offset:96
	v_lshl_add_u64 v[48:49], v[52:53], 0, v[34:35]
	global_load_ubyte v70, v[48:49], off offset:104
	;; [unrolled: 2-line block ×4, first 2 shown]
	s_waitcnt vmcnt(3)
	v_bfe_u32 v49, v69, v25, 4
	s_waitcnt vmcnt(2)
	v_lshrrev_b32_e32 v69, v29, v70
	v_lshlrev_b32_e32 v69, 4, v69
	v_and_or_b32 v49, v69, 48, v49
	s_waitcnt vmcnt(1)
	v_bfe_u32 v69, v71, v28, 4
	s_waitcnt vmcnt(0)
	v_lshrrev_b32_e32 v48, v32, v48
	v_lshlrev_b32_e32 v48, 4, v48
	v_and_or_b32 v48, v48, 48, v69
	v_lshrrev_b32_e32 v69, 6, v79
	v_lshrrev_b32_e32 v71, 1, v81
	;; [unrolled: 1-line block ×3, first 2 shown]
	v_and_b32_e32 v69, 0x3030303, v69
	v_and_b32_e32 v71, 0x4040404, v71
	v_sub_u16_sdwa v70, v70, v71 dst_sel:BYTE_1 dst_unused:UNUSED_PAD src0_sel:DWORD src1_sel:BYTE_3
	v_sub_u16_e32 v79, v69, v71
	v_sub_u16_sdwa v81, v69, v71 dst_sel:BYTE_1 dst_unused:UNUSED_PAD src0_sel:BYTE_1 src1_sel:BYTE_1
	v_sub_u16_sdwa v69, v69, v71 dst_sel:DWORD dst_unused:UNUSED_PAD src0_sel:WORD_1 src1_sel:WORD_1
	v_lshrrev_b32_e32 v71, 6, v43
	v_lshrrev_b32_e32 v43, 30, v43
	v_and_b32_e32 v71, 0x3030303, v71
	v_sub_u16_sdwa v43, v43, v80 dst_sel:BYTE_1 dst_unused:UNUSED_PAD src0_sel:DWORD src1_sel:BYTE_3
	v_sub_u16_e32 v86, v71, v80
	v_sub_u16_sdwa v87, v71, v80 dst_sel:BYTE_1 dst_unused:UNUSED_PAD src0_sel:BYTE_1 src1_sel:BYTE_1
	v_sub_u16_sdwa v71, v71, v80 dst_sel:DWORD dst_unused:UNUSED_PAD src0_sel:WORD_1 src1_sel:WORD_1
	v_or_b32_sdwa v79, v79, v81 dst_sel:DWORD dst_unused:UNUSED_PAD src0_sel:BYTE_0 src1_sel:DWORD
	v_or_b32_sdwa v69, v69, v70 dst_sel:WORD_1 dst_unused:UNUSED_PAD src0_sel:BYTE_0 src1_sel:DWORD
	v_or_b32_sdwa v70, v86, v87 dst_sel:DWORD dst_unused:UNUSED_PAD src0_sel:BYTE_0 src1_sel:DWORD
	v_or_b32_sdwa v43, v71, v43 dst_sel:WORD_1 dst_unused:UNUSED_PAD src0_sel:BYTE_0 src1_sel:DWORD
	v_or_b32_sdwa v79, v79, v69 dst_sel:DWORD dst_unused:UNUSED_PAD src0_sel:WORD_0 src1_sel:DWORD
	v_or_b32_sdwa v81, v70, v43 dst_sel:DWORD dst_unused:UNUSED_PAD src0_sel:WORD_0 src1_sel:DWORD
	v_mov_b32_e32 v69, v11
	v_mov_b32_e32 v70, v11
	v_dot4c_i32_i8_e32 v69, v79, v68
	v_dot4c_i32_i8_e32 v70, v81, v68
	v_subrev_u32_e32 v68, 32, v48
	v_subrev_u32_e32 v43, 32, v49
	v_mul_lo_u32 v48, v68, v69
	global_load_dword v69, v[38:39], off offset:108
	v_mul_lo_u32 v49, v43, v70
	v_cvt_f32_i32_e32 v49, v49
	v_cvt_f32_i32_e32 v48, v48
	v_lshl_add_u64 v[38:39], v[38:39], 0, s[24:25]
	s_waitcnt vmcnt(0)
	v_cvt_f32_f16_e32 v70, v69
	global_load_dword v69, v[66:67], off offset:108
	v_lshl_add_u64 v[66:67], v[66:67], 0, s[22:23]
	v_lshl_add_u64 v[66:67], v[66:67], 0, v[44:45]
	global_load_dword v66, v[66:67], off offset:4
	v_pk_fma_f32 v[48:49], v[70:71], v[48:49], v[82:83] op_sel_hi:[0,1,1]
	v_mov_b32_e32 v67, v11
	v_mov_b32_e32 v70, v11
	s_waitcnt vmcnt(0)
	v_dot4c_i32_i8_e32 v67, v79, v66
	v_dot4c_i32_i8_e32 v70, v81, v66
	s_nop 1
	v_mul_lo_u32 v66, v68, v67
	v_cvt_f32_i32_e32 v66, v66
	v_mul_lo_u32 v67, v43, v70
	v_cvt_f32_i32_e32 v67, v67
	v_cvt_f32_f16_e32 v70, v69
	v_mov_b32_e32 v69, v11
	v_pk_fma_f32 v[66:67], v[70:71], v[66:67], v[84:85] op_sel_hi:[0,1,1]
	v_lshl_add_u64 v[70:71], v[54:55], 0, s[22:23]
	v_lshl_add_u64 v[70:71], v[70:71], 0, v[44:45]
	global_load_dword v80, v[70:71], off offset:4
	v_lshl_add_u64 v[70:71], v[56:57], 0, s[22:23]
	v_lshl_add_u64 v[70:71], v[70:71], 0, v[44:45]
	global_load_dword v82, v[70:71], off offset:4
	;; [unrolled: 3-line block ×3, first 2 shown]
	v_mov_b32_e32 v71, v11
	v_mov_b32_e32 v70, v11
	s_waitcnt vmcnt(2)
	v_dot4c_i32_i8_e32 v71, v79, v80
	v_dot4c_i32_i8_e32 v69, v81, v80
	v_mov_b32_e32 v80, v11
	s_waitcnt vmcnt(1)
	v_dot4c_i32_i8_e32 v80, v79, v82
	v_dot4c_i32_i8_e32 v70, v81, v82
	v_mov_b32_e32 v82, v11
	s_waitcnt vmcnt(0)
	v_dot4c_i32_i8_e32 v82, v79, v45
	v_mov_b32_e32 v79, v11
	v_dot4c_i32_i8_e32 v79, v81, v45
	global_load_dword v83, v[54:55], off offset:108
	global_load_dword v81, v[56:57], off offset:108
	;; [unrolled: 1-line block ×3, first 2 shown]
	global_load_ushort v84, v[52:53], off offset:108
	global_load_ushort v85, v[50:51], off offset:108
	v_mul_lo_u32 v53, v68, v71
	v_mul_lo_u32 v55, v68, v80
	;; [unrolled: 1-line block ×6, first 2 shown]
	v_cvt_f32_i32_e32 v57, v56
	v_cvt_f32_i32_e32 v56, v53
	;; [unrolled: 1-line block ×6, first 2 shown]
	s_waitcnt vmcnt(4)
	v_cvt_f32_f16_e32 v52, v83
	s_waitcnt vmcnt(3)
	v_cvt_f32_f16_e32 v54, v81
	;; [unrolled: 2-line block ×5, first 2 shown]
	v_pk_fma_f32 v[52:53], v[52:53], v[56:57], v[60:61] op_sel_hi:[0,1,1]
	v_pk_fma_f32 v[54:55], v[54:55], v[58:59], v[62:63] op_sel_hi:[0,1,1]
	;; [unrolled: 1-line block ×3, first 2 shown]
	v_pk_fma_f32 v[4:5], v[48:49], v[50:51], v[4:5]
	v_pk_fma_f32 v[6:7], v[66:67], v[50:51], v[6:7]
	;; [unrolled: 1-line block ×5, first 2 shown]
	s_andn2_b64 exec, exec, s[12:13]
	s_cbranch_execnz .LBB116_2
; %bb.3:
	s_or_b64 exec, exec, s[12:13]
	scratch_store_dwordx4 off, v[4:7], off
	scratch_store_dwordx4 off, v[0:3], off offset:16
	scratch_store_dwordx2 off, v[40:41], off offset:32
.LBB116_4:
	s_or_b64 exec, exec, s[6:7]
	s_mov_b32 s5, 0
	v_cmp_eq_u32_e32 vcc, 0, v33
	s_waitcnt lgkmcnt(0)
	; wave barrier
	s_and_saveexec_b64 s[6:7], vcc
	s_cbranch_execz .LBB116_15
; %bb.5:
	scratch_load_dwordx2 v[2:3], off, off
	v_mbcnt_lo_u32_b32 v0, -1, 0
	v_mbcnt_hi_u32_b32 v9, -1, v0
	s_load_dwordx2 s[6:7], s[0:1], 0x38
	s_mul_i32 s0, s3, s14
	v_or_b32_e32 v1, s2, v8
	v_and_b32_e32 v0, 64, v9
	s_mul_i32 s4, s4, s18
	s_add_i32 s2, s0, s2
	v_cmp_gt_u32_e64 s[0:1], s10, v1
	v_xor_b32_e32 v1, 32, v9
	v_add_u32_e32 v14, 64, v0
	s_add_i32 s4, s2, s4
	v_cmp_lt_i32_e64 s[2:3], v1, v14
	v_cmp_gt_u32_e32 vcc, 2, v8
	s_nop 0
	v_cndmask_b32_e64 v0, v9, v1, s[2:3]
	v_lshlrev_b32_e32 v0, 2, v0
	v_xor_b32_e32 v1, 16, v9
	v_cmp_lt_i32_e64 s[2:3], v1, v14
	s_waitcnt vmcnt(0)
	ds_bpermute_b32 v4, v0, v2
	ds_bpermute_b32 v5, v0, v3
	v_cndmask_b32_e64 v1, v9, v1, s[2:3]
	v_lshlrev_b32_e32 v1, 2, v1
	s_waitcnt lgkmcnt(0)
	v_pk_add_f32 v[4:5], v[2:3], v[4:5]
	ds_bpermute_b32 v6, v1, v4
	ds_bpermute_b32 v7, v1, v5
	v_xor_b32_e32 v2, 8, v9
	v_cmp_lt_i32_e64 s[2:3], v2, v14
	v_xor_b32_e32 v3, 4, v9
	s_waitcnt lgkmcnt(0)
	v_pk_add_f32 v[4:5], v[4:5], v[6:7]
	v_cndmask_b32_e64 v2, v9, v2, s[2:3]
	v_lshlrev_b32_e32 v2, 2, v2
	ds_bpermute_b32 v6, v2, v4
	ds_bpermute_b32 v7, v2, v5
	v_cmp_lt_i32_e64 s[2:3], v3, v14
	s_waitcnt lgkmcnt(0)
	v_pk_add_f32 v[6:7], v[4:5], v[6:7]
	v_cndmask_b32_e64 v3, v9, v3, s[2:3]
	v_lshlrev_b32_e32 v3, 2, v3
	ds_bpermute_b32 v10, v3, v6
	ds_bpermute_b32 v11, v3, v7
	v_xor_b32_e32 v4, 2, v9
	v_cmp_lt_i32_e64 s[2:3], v4, v14
	v_xor_b32_e32 v5, 1, v9
	s_waitcnt lgkmcnt(0)
	v_pk_add_f32 v[10:11], v[6:7], v[10:11]
	v_cndmask_b32_e64 v4, v9, v4, s[2:3]
	v_lshlrev_b32_e32 v4, 2, v4
	ds_bpermute_b32 v12, v4, v10
	ds_bpermute_b32 v13, v4, v11
	v_cmp_lt_i32_e64 s[2:3], v5, v14
	s_waitcnt lgkmcnt(0)
	v_pk_add_f32 v[10:11], v[10:11], v[12:13]
	v_cndmask_b32_e64 v5, v9, v5, s[2:3]
	v_lshlrev_b32_e32 v6, 2, v5
	ds_bpermute_b32 v12, v6, v10
	ds_bpermute_b32 v13, v6, v11
	s_lshl_b64 s[2:3], s[4:5], 2
	s_add_u32 s2, s6, s2
	s_addc_u32 s3, s7, s3
	s_and_b64 s[0:1], vcc, s[0:1]
	s_waitcnt lgkmcnt(0)
	v_pk_add_f32 v[10:11], v[10:11], v[12:13]
	v_lshlrev_b32_e32 v5, 2, v8
	scratch_store_dwordx2 off, v[10:11], off
	s_and_saveexec_b64 s[4:5], s[0:1]
	s_cbranch_execz .LBB116_7
; %bb.6:
	scratch_load_dword v7, v5, off
	s_waitcnt vmcnt(0)
	global_store_dword v5, v7, s[2:3]
.LBB116_7:
	s_or_b64 exec, exec, s[4:5]
	scratch_load_dwordx2 v[10:11], off, off offset:8
	s_waitcnt vmcnt(0)
	ds_bpermute_b32 v12, v0, v10
	ds_bpermute_b32 v13, v0, v11
	s_waitcnt lgkmcnt(0)
	v_pk_add_f32 v[10:11], v[10:11], v[12:13]
	ds_bpermute_b32 v12, v1, v10
	ds_bpermute_b32 v13, v1, v11
	s_waitcnt lgkmcnt(0)
	v_pk_add_f32 v[10:11], v[10:11], v[12:13]
	;; [unrolled: 4-line block ×6, first 2 shown]
	scratch_store_dwordx2 off, v[10:11], off offset:8
	s_and_saveexec_b64 s[4:5], s[0:1]
	s_cbranch_execz .LBB116_9
; %bb.8:
	scratch_load_dword v7, v5, off offset:8
	v_add_u32_e32 v10, s10, v8
	v_mov_b32_e32 v11, 0
	v_lshl_add_u64 v[10:11], v[10:11], 2, s[2:3]
	s_waitcnt vmcnt(0)
	global_store_dword v[10:11], v7, off
.LBB116_9:
	s_or_b64 exec, exec, s[4:5]
	scratch_load_dwordx2 v[10:11], off, off offset:16
	s_waitcnt vmcnt(0)
	ds_bpermute_b32 v12, v0, v10
	ds_bpermute_b32 v13, v0, v11
	s_waitcnt lgkmcnt(0)
	v_pk_add_f32 v[10:11], v[10:11], v[12:13]
	ds_bpermute_b32 v12, v1, v10
	ds_bpermute_b32 v13, v1, v11
	s_waitcnt lgkmcnt(0)
	v_pk_add_f32 v[10:11], v[10:11], v[12:13]
	;; [unrolled: 4-line block ×6, first 2 shown]
	scratch_store_dwordx2 off, v[10:11], off offset:16
	s_and_saveexec_b64 s[4:5], s[0:1]
	s_cbranch_execz .LBB116_11
; %bb.10:
	scratch_load_dword v7, v5, off offset:16
	v_lshl_or_b32 v10, s10, 1, v8
	v_mov_b32_e32 v11, 0
	v_lshl_add_u64 v[10:11], v[10:11], 2, s[2:3]
	s_waitcnt vmcnt(0)
	global_store_dword v[10:11], v7, off
.LBB116_11:
	s_or_b64 exec, exec, s[4:5]
	scratch_load_dwordx2 v[10:11], off, off offset:24
	s_waitcnt vmcnt(0)
	ds_bpermute_b32 v12, v0, v10
	ds_bpermute_b32 v13, v0, v11
	s_waitcnt lgkmcnt(0)
	v_pk_add_f32 v[10:11], v[10:11], v[12:13]
	ds_bpermute_b32 v12, v1, v10
	ds_bpermute_b32 v13, v1, v11
	s_waitcnt lgkmcnt(0)
	v_pk_add_f32 v[10:11], v[10:11], v[12:13]
	ds_bpermute_b32 v12, v2, v10
	ds_bpermute_b32 v13, v2, v11
	s_waitcnt lgkmcnt(0)
	v_pk_add_f32 v[10:11], v[10:11], v[12:13]
	ds_bpermute_b32 v12, v3, v10
	ds_bpermute_b32 v13, v3, v11
	s_waitcnt lgkmcnt(0)
	v_pk_add_f32 v[10:11], v[10:11], v[12:13]
	ds_bpermute_b32 v12, v4, v10
	ds_bpermute_b32 v13, v4, v11
	s_waitcnt lgkmcnt(0)
	v_pk_add_f32 v[10:11], v[10:11], v[12:13]
	ds_bpermute_b32 v12, v6, v10
	ds_bpermute_b32 v13, v6, v11
	s_waitcnt lgkmcnt(0)
	v_pk_add_f32 v[10:11], v[10:11], v[12:13]
	scratch_store_dwordx2 off, v[10:11], off offset:24
	s_and_saveexec_b64 s[4:5], s[0:1]
	s_cbranch_execz .LBB116_13
; %bb.12:
	scratch_load_dword v7, v5, off offset:24
	v_mad_u64_u32 v[10:11], s[6:7], s10, 3, v[8:9]
	v_mov_b32_e32 v11, 0
	v_lshl_add_u64 v[10:11], v[10:11], 2, s[2:3]
	s_waitcnt vmcnt(0)
	global_store_dword v[10:11], v7, off
.LBB116_13:
	s_or_b64 exec, exec, s[4:5]
	scratch_load_dwordx2 v[10:11], off, off offset:32
	s_waitcnt vmcnt(0)
	ds_bpermute_b32 v12, v0, v10
	ds_bpermute_b32 v13, v0, v11
	s_waitcnt lgkmcnt(0)
	v_pk_add_f32 v[10:11], v[10:11], v[12:13]
	ds_bpermute_b32 v0, v1, v10
	ds_bpermute_b32 v1, v1, v11
	s_waitcnt lgkmcnt(0)
	v_pk_add_f32 v[0:1], v[10:11], v[0:1]
	;; [unrolled: 4-line block ×6, first 2 shown]
	scratch_store_dwordx2 off, v[0:1], off offset:32
	s_and_b64 exec, exec, s[0:1]
	s_cbranch_execz .LBB116_15
; %bb.14:
	scratch_load_dword v2, v5, off offset:32
	v_lshl_or_b32 v0, s10, 2, v8
	v_mov_b32_e32 v1, 0
	v_lshl_add_u64 v[0:1], v[0:1], 2, s[2:3]
	s_waitcnt vmcnt(0)
	global_store_dword v[0:1], v2, off
.LBB116_15:
	s_endpgm
	.section	.rodata,"a",@progbits
	.p2align	6, 0x0
	.amdhsa_kernel _ZL13mul_mat_vec_qIL9ggml_type11ELi5ELb0ELb0EEvPKvS2_PKi31ggml_cuda_mm_fusion_args_devicePfj15HIP_vector_typeIjLj3EEjjjS8_jjjS8_jjjj
		.amdhsa_group_segment_fixed_size 0
		.amdhsa_private_segment_fixed_size 48
		.amdhsa_kernarg_size 144
		.amdhsa_user_sgpr_count 2
		.amdhsa_user_sgpr_dispatch_ptr 0
		.amdhsa_user_sgpr_queue_ptr 0
		.amdhsa_user_sgpr_kernarg_segment_ptr 1
		.amdhsa_user_sgpr_dispatch_id 0
		.amdhsa_user_sgpr_kernarg_preload_length 0
		.amdhsa_user_sgpr_kernarg_preload_offset 0
		.amdhsa_user_sgpr_private_segment_size 0
		.amdhsa_uses_dynamic_stack 0
		.amdhsa_enable_private_segment 1
		.amdhsa_system_sgpr_workgroup_id_x 1
		.amdhsa_system_sgpr_workgroup_id_y 1
		.amdhsa_system_sgpr_workgroup_id_z 1
		.amdhsa_system_sgpr_workgroup_info 0
		.amdhsa_system_vgpr_workitem_id 1
		.amdhsa_next_free_vgpr 93
		.amdhsa_next_free_sgpr 30
		.amdhsa_accum_offset 96
		.amdhsa_reserve_vcc 1
		.amdhsa_float_round_mode_32 0
		.amdhsa_float_round_mode_16_64 0
		.amdhsa_float_denorm_mode_32 3
		.amdhsa_float_denorm_mode_16_64 3
		.amdhsa_dx10_clamp 1
		.amdhsa_ieee_mode 1
		.amdhsa_fp16_overflow 0
		.amdhsa_tg_split 0
		.amdhsa_exception_fp_ieee_invalid_op 0
		.amdhsa_exception_fp_denorm_src 0
		.amdhsa_exception_fp_ieee_div_zero 0
		.amdhsa_exception_fp_ieee_overflow 0
		.amdhsa_exception_fp_ieee_underflow 0
		.amdhsa_exception_fp_ieee_inexact 0
		.amdhsa_exception_int_div_zero 0
	.end_amdhsa_kernel
	.section	.text._ZL13mul_mat_vec_qIL9ggml_type11ELi5ELb0ELb0EEvPKvS2_PKi31ggml_cuda_mm_fusion_args_devicePfj15HIP_vector_typeIjLj3EEjjjS8_jjjS8_jjjj,"axG",@progbits,_ZL13mul_mat_vec_qIL9ggml_type11ELi5ELb0ELb0EEvPKvS2_PKi31ggml_cuda_mm_fusion_args_devicePfj15HIP_vector_typeIjLj3EEjjjS8_jjjS8_jjjj,comdat
.Lfunc_end116:
	.size	_ZL13mul_mat_vec_qIL9ggml_type11ELi5ELb0ELb0EEvPKvS2_PKi31ggml_cuda_mm_fusion_args_devicePfj15HIP_vector_typeIjLj3EEjjjS8_jjjS8_jjjj, .Lfunc_end116-_ZL13mul_mat_vec_qIL9ggml_type11ELi5ELb0ELb0EEvPKvS2_PKi31ggml_cuda_mm_fusion_args_devicePfj15HIP_vector_typeIjLj3EEjjjS8_jjjS8_jjjj
                                        ; -- End function
	.section	.AMDGPU.csdata,"",@progbits
; Kernel info:
; codeLenInByte = 5660
; NumSgprs: 36
; NumVgprs: 93
; NumAgprs: 0
; TotalNumVgprs: 93
; ScratchSize: 48
; MemoryBound: 0
; FloatMode: 240
; IeeeMode: 1
; LDSByteSize: 0 bytes/workgroup (compile time only)
; SGPRBlocks: 4
; VGPRBlocks: 11
; NumSGPRsForWavesPerEU: 36
; NumVGPRsForWavesPerEU: 93
; AccumOffset: 96
; Occupancy: 5
; WaveLimiterHint : 0
; COMPUTE_PGM_RSRC2:SCRATCH_EN: 1
; COMPUTE_PGM_RSRC2:USER_SGPR: 2
; COMPUTE_PGM_RSRC2:TRAP_HANDLER: 0
; COMPUTE_PGM_RSRC2:TGID_X_EN: 1
; COMPUTE_PGM_RSRC2:TGID_Y_EN: 1
; COMPUTE_PGM_RSRC2:TGID_Z_EN: 1
; COMPUTE_PGM_RSRC2:TIDIG_COMP_CNT: 1
; COMPUTE_PGM_RSRC3_GFX90A:ACCUM_OFFSET: 23
; COMPUTE_PGM_RSRC3_GFX90A:TG_SPLIT: 0
	.section	.text._ZL13mul_mat_vec_qIL9ggml_type11ELi6ELb0ELb0EEvPKvS2_PKi31ggml_cuda_mm_fusion_args_devicePfj15HIP_vector_typeIjLj3EEjjjS8_jjjS8_jjjj,"axG",@progbits,_ZL13mul_mat_vec_qIL9ggml_type11ELi6ELb0ELb0EEvPKvS2_PKi31ggml_cuda_mm_fusion_args_devicePfj15HIP_vector_typeIjLj3EEjjjS8_jjjS8_jjjj,comdat
	.globl	_ZL13mul_mat_vec_qIL9ggml_type11ELi6ELb0ELb0EEvPKvS2_PKi31ggml_cuda_mm_fusion_args_devicePfj15HIP_vector_typeIjLj3EEjjjS8_jjjS8_jjjj ; -- Begin function _ZL13mul_mat_vec_qIL9ggml_type11ELi6ELb0ELb0EEvPKvS2_PKi31ggml_cuda_mm_fusion_args_devicePfj15HIP_vector_typeIjLj3EEjjjS8_jjjS8_jjjj
	.p2align	8
	.type	_ZL13mul_mat_vec_qIL9ggml_type11ELi6ELb0ELb0EEvPKvS2_PKi31ggml_cuda_mm_fusion_args_devicePfj15HIP_vector_typeIjLj3EEjjjS8_jjjS8_jjjj,@function
_ZL13mul_mat_vec_qIL9ggml_type11ELi6ELb0ELb0EEvPKvS2_PKi31ggml_cuda_mm_fusion_args_devicePfj15HIP_vector_typeIjLj3EEjjjS8_jjjS8_jjjj: ; @_ZL13mul_mat_vec_qIL9ggml_type11ELi6ELb0ELb0EEvPKvS2_PKi31ggml_cuda_mm_fusion_args_devicePfj15HIP_vector_typeIjLj3EEjjjS8_jjjS8_jjjj
; %bb.0:
	v_bfe_u32 v37, v0, 10, 10
	v_and_b32_e32 v12, 0x3ff, v0
	s_mov_b32 s20, 0
	s_load_dword s5, s[0:1], 0x40
	s_load_dwordx4 s[8:11], s[0:1], 0x50
	s_load_dword s25, s[0:1], 0x60
	s_load_dwordx4 s[12:15], s[0:1], 0x68
	;; [unrolled: 2-line block ×3, first 2 shown]
	v_lshl_or_b32 v4, v37, 6, v12
	s_mov_b32 s21, s20
	s_waitcnt lgkmcnt(0)
	s_lshr_b32 s5, s5, 8
	s_mov_b32 s22, s20
	s_mov_b32 s23, s20
	v_mov_b64_e32 v[0:1], s[20:21]
	v_lshrrev_b32_e32 v60, 4, v4
	s_lshl_b32 s2, s2, 1
	v_mov_b64_e32 v[2:3], s[22:23]
	v_cmp_gt_u32_e32 vcc, s5, v60
	scratch_store_dwordx4 off, v[0:3], off offset:32
	scratch_store_dwordx4 off, v[0:3], off offset:16
	scratch_store_dwordx4 off, v[0:3], off
	s_and_saveexec_b64 s[6:7], vcc
	s_cbranch_execz .LBB117_4
; %bb.1:
	v_lshrrev_b32_e32 v0, 1, v12
	v_and_b32_e32 v1, 15, v12
	v_and_b32_e32 v61, 4, v0
	;; [unrolled: 1-line block ×3, first 2 shown]
	v_lshlrev_b32_e32 v2, 1, v1
	v_sub_u32_e32 v1, v1, v0
	v_bfe_u32 v3, v12, 2, 1
	v_add_u32_e32 v1, v1, v3
	v_lshrrev_b16_e32 v3, 12, v1
	v_and_b32_e32 v3, 7, v3
	v_add_u16_e32 v3, v1, v3
	v_and_b32_e32 v5, 0xf8, v3
	v_ashrrev_i16_e32 v3, 3, v3
	v_mov_b32_e32 v6, 2
	v_lshlrev_b32_sdwa v62, v6, sext(v3) dst_sel:DWORD dst_unused:UNUSED_PAD src0_sel:DWORD src1_sel:WORD_0
	v_lshrrev_b16_e32 v3, 6, v1
	v_and_b32_e32 v3, 3, v3
	v_sub_u16_e32 v5, v1, v5
	v_add_u16_e32 v3, v1, v3
	v_bfe_i32 v16, v5, 0, 8
	v_and_b32_e32 v5, 0xfc, v3
	v_ashrrev_i16_e32 v3, 2, v3
	v_mov_b32_e32 v7, 1
	v_sub_u16_e32 v5, v1, v5
	v_lshlrev_b32_sdwa v63, v7, sext(v3) dst_sel:DWORD dst_unused:UNUSED_PAD src0_sel:DWORD src1_sel:WORD_0
	v_add_u16_e32 v3, 2, v1
	v_bfe_i32 v18, v5, 0, 8
	v_lshrrev_b16_e32 v5, 7, v3
	v_mov_b32_e32 v8, 5
	v_lshrrev_b16_sdwa v9, v8, v5 dst_sel:DWORD dst_unused:UNUSED_PAD src0_sel:DWORD src1_sel:BYTE_0
	v_add_u16_e32 v9, v3, v9
	v_mov_b32_e32 v11, 3
	v_and_b32_e32 v10, 0xf8, v9
	v_ashrrev_i16_sdwa v9, v11, sext(v9) dst_sel:DWORD dst_unused:UNUSED_PAD src0_sel:DWORD src1_sel:BYTE_0
	v_lshlrev_b32_sdwa v64, v6, sext(v9) dst_sel:DWORD dst_unused:UNUSED_PAD src0_sel:DWORD src1_sel:WORD_0
	v_mov_b32_e32 v9, 6
	v_lshrrev_b16_sdwa v5, v9, v5 dst_sel:DWORD dst_unused:UNUSED_PAD src0_sel:DWORD src1_sel:BYTE_0
	v_sub_u16_e32 v10, v3, v10
	v_add_u16_e32 v5, v3, v5
	v_bfe_i32 v20, v10, 0, 8
	v_and_b32_e32 v10, 0xfc, v5
	v_sub_u16_e32 v3, v3, v10
	s_load_dwordx4 s[20:23], s[0:1], 0x0
	v_ashrrev_i16_sdwa v5, v6, sext(v5) dst_sel:DWORD dst_unused:UNUSED_PAD src0_sel:DWORD src1_sel:BYTE_0
	v_bfe_i32 v22, v3, 0, 8
	v_add_u16_e32 v3, 4, v1
	v_lshlrev_b32_sdwa v65, v7, sext(v5) dst_sel:DWORD dst_unused:UNUSED_PAD src0_sel:DWORD src1_sel:WORD_0
	v_lshrrev_b16_e32 v5, 7, v3
	v_lshrrev_b16_sdwa v10, v8, v5 dst_sel:DWORD dst_unused:UNUSED_PAD src0_sel:DWORD src1_sel:BYTE_0
	s_mul_i32 s17, s4, s17
	v_add_u16_e32 v10, v3, v10
	v_lshrrev_b16_sdwa v5, v9, v5 dst_sel:DWORD dst_unused:UNUSED_PAD src0_sel:DWORD src1_sel:BYTE_0
	s_mul_hi_u32 s19, s17, 36
	s_mul_i32 s17, s17, 36
	v_and_b32_e32 v13, 0xf8, v10
	v_ashrrev_i16_sdwa v10, v11, sext(v10) dst_sel:DWORD dst_unused:UNUSED_PAD src0_sel:DWORD src1_sel:BYTE_0
	v_add_u16_e32 v5, v3, v5
	s_mul_i32 s13, s3, s13
	s_waitcnt lgkmcnt(0)
	s_add_u32 s17, s22, s17
	v_lshlrev_b32_sdwa v24, v6, sext(v10) dst_sel:DWORD dst_unused:UNUSED_PAD src0_sel:DWORD src1_sel:WORD_0
	v_and_b32_e32 v10, 0xfc, v5
	s_addc_u32 s19, s23, s19
	s_mul_hi_u32 s22, s13, 36
	s_mul_i32 s13, s13, 36
	v_sub_u16_e32 v13, v3, v13
	v_sub_u16_e32 v3, v3, v10
	v_add_u16_e32 v1, 6, v1
	s_add_u32 s26, s17, s13
	s_mul_hi_u32 s11, s11, s3
	v_ashrrev_i16_sdwa v5, v6, sext(v5) dst_sel:DWORD dst_unused:UNUSED_PAD src0_sel:DWORD src1_sel:BYTE_0
	v_bfe_i32 v30, v3, 0, 8
	v_lshrrev_b16_e32 v3, 7, v1
	s_addc_u32 s27, s19, s22
	s_add_i32 s11, s3, s11
	v_lshlrev_b32_sdwa v28, v7, sext(v5) dst_sel:DWORD dst_unused:UNUSED_PAD src0_sel:DWORD src1_sel:WORD_0
	v_lshrrev_b16_sdwa v5, v8, v3 dst_sel:DWORD dst_unused:UNUSED_PAD src0_sel:DWORD src1_sel:BYTE_0
	s_lshr_b32 s11, s11, s25
	v_add_u16_e32 v5, v1, v5
	v_lshrrev_b16_sdwa v3, v9, v3 dst_sel:DWORD dst_unused:UNUSED_PAD src0_sel:DWORD src1_sel:BYTE_0
	s_mul_i32 s11, s11, s12
	s_mul_hi_u32 s12, s15, s4
	v_and_b32_e32 v8, 0xf8, v5
	v_ashrrev_i16_sdwa v5, v11, sext(v5) dst_sel:DWORD dst_unused:UNUSED_PAD src0_sel:DWORD src1_sel:BYTE_0
	v_add_u16_e32 v3, v1, v3
	s_add_i32 s12, s4, s12
	v_lshlrev_b32_sdwa v32, v6, sext(v5) dst_sel:DWORD dst_unused:UNUSED_PAD src0_sel:DWORD src1_sel:WORD_0
	v_and_b32_e32 v5, 0xfc, v3
	s_lshr_b32 s12, s12, s24
	v_sub_u16_e32 v8, v1, v8
	v_sub_u16_e32 v1, v1, v5
	v_ashrrev_i16_sdwa v3, v6, sext(v3) dst_sel:DWORD dst_unused:UNUSED_PAD src0_sel:DWORD src1_sel:BYTE_0
	s_mul_i32 s12, s12, s16
	v_lshlrev_b32_sdwa v36, v7, sext(v3) dst_sel:DWORD dst_unused:UNUSED_PAD src0_sel:DWORD src1_sel:WORD_0
	v_bfe_i32 v38, v1, 0, 8
	v_lshl_add_u32 v1, v37, 6, v12
	v_bfe_u32 v3, v12, 3, 1
	s_mul_i32 s13, s2, s8
	s_add_i32 s15, s12, s11
	v_lshrrev_b32_e32 v1, 4, v1
	v_mul_hi_u32_u24_e32 v7, 0x90, v3
	v_mul_u32_u24_e32 v6, 0x90, v3
	s_movk_i32 s12, 0x120
	s_add_i32 s11, s15, s13
	v_mad_u64_u32 v[6:7], s[12:13], v1, s12, v[6:7]
	s_add_i32 s12, s2, 1
	v_mov_b32_e32 v15, 0
	v_lshlrev_b32_e32 v4, 1, v0
	v_bfe_i32 v26, v13, 0, 8
	v_bfe_i32 v34, v8, 0, 8
	s_mul_i32 s8, s8, s12
	v_ashrrev_i32_e32 v17, 31, v16
	v_ashrrev_i32_e32 v19, 31, v18
	;; [unrolled: 1-line block ×8, first 2 shown]
	v_mov_b32_e32 v13, v24
	v_mov_b32_e32 v25, v28
	v_lshlrev_b32_e32 v40, 2, v0
	v_mov_b32_e32 v41, v15
	v_lshl_add_u64 v[42:43], s[26:27], 0, v[6:7]
	s_add_i32 s8, s15, s8
	s_lshl_b32 s15, s9, 1
	v_lshlrev_b32_e32 v66, 3, v60
	s_mul_i32 s19, s9, 3
	s_lshl_b32 s28, s9, 2
	s_mul_i32 s29, s9, 5
	s_mov_b64 s[12:13], 0
	s_movk_i32 s30, 0x6e
	v_lshlrev_b32_e32 v14, 1, v2
	v_lshlrev_b32_e32 v44, 1, v4
	;; [unrolled: 1-line block ×3, first 2 shown]
	s_mov_b64 s[16:17], 0x48
	s_mov_b64 s[22:23], 0x6c
	;; [unrolled: 1-line block ×3, first 2 shown]
	v_mov_b32_e32 v8, v15
	v_mov_b32_e32 v9, v15
	;; [unrolled: 1-line block ×14, first 2 shown]
	v_mad_u64_u32 v[48:49], s[26:27], v61, 36, s[26:27]
.LBB117_2:                              ; =>This Inner Loop Header: Depth=1
	v_lshl_add_u64 v[50:51], v[42:43], 0, v[40:41]
	v_add_u32_e32 v54, s11, v60
	v_add_u32_e32 v55, s8, v60
	v_mov_b64_e32 v[52:53], s[20:21]
	global_load_dword v70, v[42:43], off
	global_load_dword v58, v[42:43], off offset:36
	global_load_dword v68, v[42:43], off offset:72
	;; [unrolled: 1-line block ×7, first 2 shown]
	v_mad_i64_i32 v[50:51], s[26:27], v54, s30, v[52:53]
	v_mad_i64_i32 v[52:53], s[26:27], v55, s30, v[52:53]
	v_lshl_add_u64 v[98:99], v[52:53], 0, v[16:17]
	v_lshl_add_u64 v[102:103], v[52:53], 0, v[18:19]
	global_load_ubyte v100, v[98:99], off offset:96
	global_load_ubyte v101, v[102:103], off offset:104
	v_lshl_add_u64 v[106:107], v[50:51], 0, v[16:17]
	v_mov_b32_e32 v45, v15
	v_lshl_add_u64 v[108:109], v[50:51], 0, v[18:19]
	global_load_ubyte v102, v[106:107], off offset:96
	global_load_ubyte v103, v[108:109], off offset:104
	v_lshl_add_u64 v[104:105], v[50:51], 0, v[44:45]
	v_lshl_add_u64 v[110:111], v[50:51], 0, v[20:21]
	;; [unrolled: 1-line block ×13, first 2 shown]
	global_load_ubyte v98, v[110:111], off offset:96
	global_load_ubyte v99, v[112:113], off offset:104
	;; [unrolled: 1-line block ×3, first 2 shown]
	global_load_dword v108, v[104:105], off
	global_load_dword v83, v[116:117], off offset:32
	global_load_dword v109, v[118:119], off
	global_load_dword v81, v[120:121], off offset:32
	global_load_ubyte v89, v[122:123], off offset:96
	global_load_ubyte v90, v[124:125], off offset:104
	;; [unrolled: 1-line block ×4, first 2 shown]
                                        ; kill: killed $vgpr124_vgpr125
                                        ; kill: killed $vgpr104_vgpr105
                                        ; kill: killed $vgpr126_vgpr127
                                        ; kill: killed $vgpr118_vgpr119
                                        ; kill: killed $vgpr122_vgpr123
                                        ; kill: killed $vgpr114_vgpr115
                                        ; kill: killed $vgpr116_vgpr117
                                        ; kill: killed $vgpr112_vgpr113
                                        ; kill: killed $vgpr106_vgpr107
                                        ; kill: killed $vgpr110_vgpr111
                                        ; kill: killed $vgpr120_vgpr121
	global_load_ubyte v104, v[56:57], off offset:104
	global_load_ubyte v105, v[54:55], off offset:96
	s_nop 0
	global_load_ushort v106, v[52:53], off offset:108
	global_load_ushort v107, v[50:51], off offset:108
	v_mov_b32_e32 v69, v15
	v_add_u32_e32 v95, s19, v66
	v_mov_b32_e32 v59, v15
	v_add_u32_e32 v88, s15, v66
	v_mov_b32_e32 v72, v15
	v_mov_b32_e32 v73, v15
	v_add_u32_e32 v77, s9, v66
	v_mov_b32_e32 v47, v15
	v_mov_b32_e32 v75, v15
	;; [unrolled: 1-line block ×21, first 2 shown]
	v_add_u32_e32 v60, 4, v60
	v_cmp_le_u32_e32 vcc, s5, v60
	v_lshl_add_u64 v[42:43], v[42:43], 0, s[24:25]
	s_or_b64 s[12:13], vcc, s[12:13]
	s_waitcnt vmcnt(26)
	v_cvt_f32_f16_e32 v70, v70
	s_waitcnt vmcnt(25)
	v_cvt_f32_f16_e32 v58, v58
	;; [unrolled: 2-line block ×3, first 2 shown]
	s_waitcnt vmcnt(14)
	v_bfe_u32 v98, v98, v64, 4
	s_waitcnt vmcnt(13)
	v_lshrrev_b32_e32 v99, v65, v99
	v_lshlrev_b32_e32 v99, 4, v99
	s_waitcnt vmcnt(11)
	v_ashrrev_i32_e32 v56, v61, v108
	v_not_b32_e32 v110, v56
	s_waitcnt vmcnt(10)
	v_bfe_u32 v57, v83, 24, 2
	v_bfe_u32 v52, v100, v62, 4
	v_lshrrev_b32_e32 v53, v63, v101
	s_waitcnt vmcnt(9)
	v_ashrrev_i32_e32 v101, v61, v109
	v_lshlrev_b32_e32 v53, 4, v53
	v_not_b32_e32 v111, v101
	v_and_or_b32 v112, v53, 48, v52
	v_lshlrev_b32_e32 v52, 2, v110
	v_lshlrev_b32_e32 v53, 2, v111
	v_bfe_u32 v54, v102, v62, 4
	v_lshrrev_b32_e32 v55, v63, v103
	v_and_b32_e32 v100, 0x3030303, v83
	s_waitcnt vmcnt(8)
	v_bfe_u32 v102, v81, 24, 2
	v_and_b32_e32 v103, 0x3030303, v81
	v_and_b32_e32 v52, 0x4040404, v52
	;; [unrolled: 1-line block ×3, first 2 shown]
	v_lshlrev_b32_e32 v55, 4, v55
	s_waitcnt vmcnt(3)
	v_lshrrev_b32_e32 v104, v65, v104
	s_waitcnt vmcnt(2)
	v_bfe_u32 v105, v105, v64, 4
	v_lshlrev_b32_e32 v56, 4, v104
	v_and_or_b32 v105, v56, 48, v105
	v_and_or_b32 v114, v99, 48, v98
	v_sub_u16_sdwa v56, v57, v52 dst_sel:BYTE_1 dst_unused:UNUSED_PAD src0_sel:DWORD src1_sel:BYTE_3
	v_sub_u16_e32 v57, v100, v52
	v_sub_u16_sdwa v98, v100, v52 dst_sel:BYTE_1 dst_unused:UNUSED_PAD src0_sel:BYTE_1 src1_sel:BYTE_1
	v_sub_u16_sdwa v52, v100, v52 dst_sel:DWORD dst_unused:UNUSED_PAD src0_sel:WORD_1 src1_sel:WORD_1
	v_sub_u16_sdwa v99, v102, v53 dst_sel:BYTE_1 dst_unused:UNUSED_PAD src0_sel:DWORD src1_sel:BYTE_3
	v_sub_u16_e32 v100, v103, v53
	v_sub_u16_sdwa v102, v103, v53 dst_sel:BYTE_1 dst_unused:UNUSED_PAD src0_sel:BYTE_1 src1_sel:BYTE_1
	v_sub_u16_sdwa v53, v103, v53 dst_sel:DWORD dst_unused:UNUSED_PAD src0_sel:WORD_1 src1_sel:WORD_1
	v_lshrrev_b32_e32 v108, 2, v83
	v_lshrrev_b32_e32 v109, 2, v81
	v_and_or_b32 v113, v55, 48, v54
	v_lshlrev_b32_e32 v54, 1, v110
	v_lshlrev_b32_e32 v55, 1, v111
	v_or_b32_sdwa v57, v57, v98 dst_sel:DWORD dst_unused:UNUSED_PAD src0_sel:BYTE_0 src1_sel:DWORD
	v_or_b32_sdwa v52, v52, v56 dst_sel:WORD_1 dst_unused:UNUSED_PAD src0_sel:BYTE_0 src1_sel:DWORD
	v_or_b32_sdwa v56, v100, v102 dst_sel:DWORD dst_unused:UNUSED_PAD src0_sel:BYTE_0 src1_sel:DWORD
	v_or_b32_sdwa v98, v53, v99 dst_sel:WORD_1 dst_unused:UNUSED_PAD src0_sel:BYTE_0 src1_sel:DWORD
	v_and_b32_e32 v101, 0x3030303, v108
	v_bfe_u32 v104, v108, 24, 2
	v_and_b32_e32 v108, 0x3030303, v109
	v_bfe_u32 v109, v109, 24, 2
	v_and_b32_e32 v54, 0x4040404, v54
	v_and_b32_e32 v55, 0x4040404, v55
	v_or_b32_sdwa v122, v56, v98 dst_sel:DWORD dst_unused:UNUSED_PAD src0_sel:WORD_0 src1_sel:DWORD
	v_sub_u16_sdwa v103, v104, v54 dst_sel:BYTE_1 dst_unused:UNUSED_PAD src0_sel:DWORD src1_sel:BYTE_3
	v_sub_u16_e32 v104, v101, v54
	v_sub_u16_sdwa v115, v101, v54 dst_sel:BYTE_1 dst_unused:UNUSED_PAD src0_sel:BYTE_1 src1_sel:BYTE_1
	v_sub_u16_sdwa v54, v101, v54 dst_sel:DWORD dst_unused:UNUSED_PAD src0_sel:WORD_1 src1_sel:WORD_1
	v_sub_u16_sdwa v101, v109, v55 dst_sel:BYTE_1 dst_unused:UNUSED_PAD src0_sel:DWORD src1_sel:BYTE_3
	v_sub_u16_e32 v109, v108, v55
	v_sub_u16_sdwa v116, v108, v55 dst_sel:BYTE_1 dst_unused:UNUSED_PAD src0_sel:BYTE_1 src1_sel:BYTE_1
	v_sub_u16_sdwa v55, v108, v55 dst_sel:DWORD dst_unused:UNUSED_PAD src0_sel:WORD_1 src1_sel:WORD_1
	v_or_b32_sdwa v121, v57, v52 dst_sel:DWORD dst_unused:UNUSED_PAD src0_sel:WORD_0 src1_sel:DWORD
	v_mad_u64_u32 v[56:57], s[26:27], v95, 36, v[48:49]
	v_subrev_u32_e32 v95, 32, v112
	v_dot4c_i32_i8_e32 v69, v122, v97
	v_or_b32_sdwa v99, v104, v115 dst_sel:DWORD dst_unused:UNUSED_PAD src0_sel:BYTE_0 src1_sel:DWORD
	v_or_b32_sdwa v100, v54, v103 dst_sel:WORD_1 dst_unused:UNUSED_PAD src0_sel:BYTE_0 src1_sel:DWORD
	v_or_b32_sdwa v109, v109, v116 dst_sel:DWORD dst_unused:UNUSED_PAD src0_sel:BYTE_0 src1_sel:DWORD
	v_or_b32_sdwa v116, v55, v101 dst_sel:WORD_1 dst_unused:UNUSED_PAD src0_sel:BYTE_0 src1_sel:DWORD
	v_mul_lo_u32 v69, v95, v69
	v_mad_u64_u32 v[54:55], s[26:27], v88, 36, v[48:49]
	v_or_b32_sdwa v88, v99, v100 dst_sel:DWORD dst_unused:UNUSED_PAD src0_sel:WORD_0 src1_sel:DWORD
	v_subrev_u32_e32 v112, 32, v113
	v_dot4c_i32_i8_e32 v59, v121, v97
	v_cvt_f32_i32_e32 v99, v69
	v_or_b32_sdwa v69, v109, v116 dst_sel:DWORD dst_unused:UNUSED_PAD src0_sel:WORD_0 src1_sel:DWORD
	v_subrev_u32_e32 v105, 32, v105
	v_mul_lo_u32 v59, v112, v59
	v_subrev_u32_e32 v109, 32, v114
	v_dot4c_i32_i8_e32 v72, v88, v96
	v_dot4c_i32_i8_e32 v73, v69, v96
	v_cvt_f32_i32_e32 v98, v59
	v_mad_u64_u32 v[52:53], s[26:27], v77, 36, v[48:49]
	v_mul_lo_u32 v59, v109, v72
	v_mul_lo_u32 v72, v105, v73
	v_cvt_f32_i32_e32 v73, v72
	v_cvt_f32_i32_e32 v72, v59
	v_pk_fma_f32 v[98:99], v[70:71], v[98:99], 0 op_sel_hi:[0,1,0]
	v_lshl_add_u64 v[100:101], v[52:53], 0, v[46:47]
	global_load_dword v70, v[52:53], off
	v_pk_fma_f32 v[72:73], v[58:59], v[72:73], v[98:99] op_sel_hi:[0,1,1]
	global_load_dword v98, v[52:53], off offset:36
	global_load_dword v77, v[100:101], off offset:4
	v_lshl_add_u64 v[58:59], v[52:53], 0, 36
	v_lshl_add_u64 v[58:59], v[58:59], 0, v[46:47]
	global_load_dword v99, v[58:59], off offset:4
	global_load_dword v100, v[52:53], off offset:108
	v_lshl_add_u64 v[96:97], v[52:53], 0, s[16:17]
	v_lshl_add_u64 v[58:59], v[96:97], 0, v[46:47]
	;; [unrolled: 4-line block ×3, first 2 shown]
	v_add_u32_e32 v108, s28, v66
	v_mov_b32_e32 v102, v15
	v_add_u32_e32 v104, s29, v66
	v_mov_b32_e32 v103, v15
	v_mov_b32_e32 v115, v15
	v_bfe_u32 v45, v45, v29, 4
	v_add_u32_e32 v66, 32, v66
	s_waitcnt vmcnt(6)
	v_cvt_f32_f16_e32 v70, v70
	s_waitcnt vmcnt(4)
	v_dot4c_i32_i8_e32 v75, v121, v77
	v_dot4c_i32_i8_e32 v76, v122, v77
	s_nop 1
	v_mul_lo_u32 v58, v112, v75
	v_cvt_f32_i32_e32 v58, v58
	s_waitcnt vmcnt(3)
	v_dot4c_i32_i8_e32 v78, v88, v99
	v_mul_lo_u32 v59, v95, v76
	v_cvt_f32_i32_e32 v59, v59
	v_dot4c_i32_i8_e32 v79, v69, v99
	global_load_dword v75, v[52:53], off offset:4
	global_load_dword v101, v[54:55], off
	v_mul_lo_u32 v52, v109, v78
	v_mul_lo_u32 v53, v105, v79
	v_pk_fma_f32 v[58:59], v[70:71], v[58:59], 0 op_sel_hi:[0,1,0]
	v_cvt_f32_i32_e32 v53, v53
	v_cvt_f32_i32_e32 v52, v52
	v_cvt_f32_f16_e32 v70, v98
	v_lshl_add_u64 v[76:77], v[54:55], 0, v[46:47]
	global_load_dword v78, v[54:55], off offset:36
	v_pk_fma_f32 v[52:53], v[70:71], v[52:53], v[58:59] op_sel_hi:[0,1,1]
	global_load_dword v70, v[76:77], off offset:4
	v_lshl_add_u64 v[58:59], v[54:55], 0, 36
	v_lshl_add_u64 v[58:59], v[58:59], 0, v[46:47]
	global_load_dword v79, v[58:59], off offset:4
	global_load_dword v98, v[54:55], off offset:108
	v_lshl_add_u64 v[76:77], v[54:55], 0, s[16:17]
	v_lshl_add_u64 v[58:59], v[76:77], 0, v[46:47]
	global_load_dword v99, v[58:59], off offset:4
	global_load_dword v113, v[54:55], off offset:72
	v_lshl_add_u64 v[54:55], v[54:55], 0, s[22:23]
	v_lshl_add_u64 v[54:55], v[54:55], 0, v[46:47]
	;; [unrolled: 1-line block ×3, first 2 shown]
	s_waitcnt vmcnt(4)
	v_dot4c_i32_i8_e32 v82, v121, v70
	v_dot4c_i32_i8_e32 v84, v122, v70
	s_nop 1
	v_mul_lo_u32 v58, v112, v82
	v_cvt_f32_i32_e32 v58, v58
	v_cvt_f32_f16_e32 v70, v101
	v_mul_lo_u32 v59, v95, v84
	v_cvt_f32_i32_e32 v59, v59
	s_waitcnt vmcnt(3)
	v_dot4c_i32_i8_e32 v85, v88, v79
	v_dot4c_i32_i8_e32 v86, v69, v79
	global_load_dword v82, v[54:55], off offset:4
	global_load_dword v84, v[56:57], off
	v_mul_lo_u32 v54, v109, v85
	v_mul_lo_u32 v55, v105, v86
	v_pk_fma_f32 v[58:59], v[70:71], v[58:59], 0 op_sel_hi:[0,1,0]
	v_cvt_f32_i32_e32 v55, v55
	v_cvt_f32_i32_e32 v54, v54
	v_cvt_f32_f16_e32 v70, v78
	global_load_dword v85, v[56:57], off offset:36
	v_pk_fma_f32 v[54:55], v[70:71], v[54:55], v[58:59] op_sel_hi:[0,1,1]
	global_load_dword v70, v[76:77], off offset:4
	v_lshl_add_u64 v[58:59], v[56:57], 0, 36
	v_lshl_add_u64 v[58:59], v[58:59], 0, v[46:47]
	global_load_dword v78, v[58:59], off offset:4
	global_load_dword v101, v[56:57], off offset:108
	v_lshl_add_u64 v[76:77], v[56:57], 0, s[16:17]
	v_lshl_add_u64 v[58:59], v[76:77], 0, v[46:47]
	global_load_dword v86, v[58:59], off offset:4
	;; [unrolled: 4-line block ×3, first 2 shown]
	v_mad_u64_u32 v[58:59], s[26:27], v108, 36, v[48:49]
	v_lshl_add_u64 v[76:77], v[58:59], 0, v[46:47]
	s_waitcnt vmcnt(5)
	v_dot4c_i32_i8_e32 v91, v121, v70
	v_dot4c_i32_i8_e32 v92, v122, v70
	s_nop 1
	v_mul_lo_u32 v56, v112, v91
	v_cvt_f32_i32_e32 v56, v56
	v_cvt_f32_f16_e32 v70, v84
	v_mul_lo_u32 v57, v95, v92
	v_cvt_f32_i32_e32 v57, v57
	s_waitcnt vmcnt(4)
	v_dot4c_i32_i8_e32 v93, v88, v78
	v_dot4c_i32_i8_e32 v94, v69, v78
	v_pk_fma_f32 v[56:57], v[70:71], v[56:57], 0 op_sel_hi:[0,1,0]
	s_nop 0
	v_mul_lo_u32 v70, v109, v93
	v_mul_lo_u32 v78, v105, v94
	v_cvt_f32_i32_e32 v79, v78
	v_cvt_f32_i32_e32 v78, v70
	v_cvt_f32_f16_e32 v70, v85
	v_pk_fma_f32 v[56:57], v[70:71], v[78:79], v[56:57] op_sel_hi:[0,1,1]
	global_load_dword v70, v[58:59], off
	global_load_dword v84, v[58:59], off offset:36
	global_load_dword v85, v[76:77], off offset:4
	v_lshl_add_u64 v[78:79], v[58:59], 0, 36
	v_lshl_add_u64 v[76:77], v[78:79], 0, v[46:47]
	global_load_dword v91, v[58:59], off offset:108
	global_load_dword v92, v[76:77], off offset:4
	;; [unrolled: 1-line block ×3, first 2 shown]
	v_lshl_add_u64 v[78:79], v[58:59], 0, s[16:17]
	v_lshl_add_u64 v[58:59], v[58:59], 0, s[22:23]
	;; [unrolled: 1-line block ×4, first 2 shown]
	global_load_dword v94, v[78:79], off offset:4
	v_mad_u64_u32 v[78:79], s[26:27], v104, 36, v[48:49]
	global_load_dword v104, v[58:59], off offset:4
	s_waitcnt vmcnt(7)
	v_cvt_f32_f16_e32 v70, v70
	s_waitcnt vmcnt(6)
	v_cvt_f32_f16_e32 v58, v84
	s_waitcnt vmcnt(5)
	v_dot4c_i32_i8_e32 v117, v121, v85
	v_dot4c_i32_i8_e32 v118, v122, v85
	s_waitcnt vmcnt(3)
	v_dot4c_i32_i8_e32 v102, v88, v92
	v_dot4c_i32_i8_e32 v119, v69, v92
	v_mul_lo_u32 v76, v112, v117
	v_mul_lo_u32 v77, v95, v118
	v_cvt_f32_i32_e32 v77, v77
	v_cvt_f32_i32_e32 v76, v76
	v_mul_lo_u32 v59, v109, v102
	v_cvt_f32_i32_e32 v84, v59
	v_mov_b32_e32 v117, v15
	v_pk_fma_f32 v[76:77], v[70:71], v[76:77], 0 op_sel_hi:[0,1,0]
	v_mul_lo_u32 v70, v105, v119
	v_cvt_f32_i32_e32 v85, v70
	v_pk_fma_f32 v[58:59], v[58:59], v[84:85], v[76:77] op_sel_hi:[0,1,1]
	v_lshl_add_u64 v[76:77], v[78:79], 0, v[46:47]
	v_lshl_add_u64 v[84:85], v[78:79], 0, 36
	global_load_dword v70, v[76:77], off offset:4
	v_lshl_add_u64 v[76:77], v[50:51], 0, v[30:31]
	v_lshl_add_u64 v[84:85], v[84:85], 0, v[46:47]
	global_load_ubyte v92, v[76:77], off offset:104
	global_load_dword v102, v[84:85], off offset:4
	v_lshl_add_u64 v[76:77], v[78:79], 0, s[16:17]
	v_lshl_add_u64 v[76:77], v[76:77], 0, v[46:47]
	global_load_dword v84, v[76:77], off offset:4
	global_load_dword v108, v[78:79], off offset:108
	v_lshl_add_u64 v[76:77], v[78:79], 0, s[22:23]
	v_lshl_add_u64 v[76:77], v[76:77], 0, v[46:47]
	v_mov_b32_e32 v85, v15
	global_load_dword v47, v[76:77], off offset:4
	v_lshl_add_u64 v[76:77], v[50:51], 0, v[34:35]
	v_lshl_add_u64 v[50:51], v[50:51], 0, v[38:39]
	s_waitcnt vmcnt(5)
	v_dot4c_i32_i8_e32 v103, v121, v70
	v_dot4c_i32_i8_e32 v115, v122, v70
	v_mov_b32_e32 v121, v15
	s_waitcnt vmcnt(3)
	v_dot4c_i32_i8_e32 v120, v88, v102
	v_dot4c_i32_i8_e32 v85, v69, v102
	global_load_ubyte v102, v[76:77], off offset:96
	global_load_dword v69, v[78:79], off
	global_load_ubyte v118, v[50:51], off offset:104
	s_nop 0
	global_load_dword v76, v[78:79], off offset:36
	global_load_dword v119, v[78:79], off offset:72
	v_mul_lo_u32 v50, v112, v103
	v_mul_lo_u32 v51, v95, v115
	v_cvt_f32_i32_e32 v51, v51
	v_cvt_f32_i32_e32 v50, v50
	v_lshrrev_b32_e32 v78, v28, v92
	v_bfe_u32 v77, v87, v24, 4
	v_lshlrev_b32_e32 v78, 4, v78
	v_and_or_b32 v78, v78, 48, v77
	v_lshrrev_b32_e32 v87, 4, v83
	v_mov_b32_e32 v88, v15
	v_mov_b32_e32 v103, v15
	;; [unrolled: 1-line block ×5, first 2 shown]
	s_waitcnt vmcnt(3)
	v_cvt_f32_f16_e32 v70, v69
	v_bfe_u32 v69, v89, v13, 4
	v_and_b32_e32 v89, 0x3030303, v87
	v_bfe_u32 v87, v87, 24, 2
	v_pk_fma_f32 v[50:51], v[70:71], v[50:51], 0 op_sel_hi:[0,1,0]
	s_waitcnt vmcnt(1)
	v_cvt_f32_f16_e32 v70, v76
	v_lshrrev_b32_e32 v76, v25, v90
	v_lshlrev_b32_e32 v76, 4, v76
	v_and_or_b32 v69, v76, 48, v69
	v_lshrrev_b32_e32 v76, 4, v81
	v_mul_lo_u32 v90, v109, v120
	v_and_b32_e32 v92, 0x3030303, v76
	v_bfe_u32 v95, v76, 24, 2
	v_mul_lo_u32 v76, v105, v85
	v_cvt_f32_i32_e32 v77, v76
	v_cvt_f32_i32_e32 v76, v90
	v_and_b32_e32 v85, 0x4040404, v110
	v_subrev_u32_e32 v115, 32, v69
	v_subrev_u32_e32 v120, 32, v78
	v_pk_fma_f32 v[50:51], v[70:71], v[76:77], v[50:51] op_sel_hi:[0,1,1]
	v_and_b32_e32 v70, 0x4040404, v111
	v_sub_u16_sdwa v76, v87, v85 dst_sel:BYTE_1 dst_unused:UNUSED_PAD src0_sel:DWORD src1_sel:BYTE_3
	v_sub_u16_e32 v77, v89, v85
	v_sub_u16_sdwa v87, v89, v85 dst_sel:BYTE_1 dst_unused:UNUSED_PAD src0_sel:BYTE_1 src1_sel:BYTE_1
	v_sub_u16_sdwa v85, v89, v85 dst_sel:DWORD dst_unused:UNUSED_PAD src0_sel:WORD_1 src1_sel:WORD_1
	v_sub_u16_sdwa v89, v95, v70 dst_sel:BYTE_1 dst_unused:UNUSED_PAD src0_sel:DWORD src1_sel:BYTE_3
	v_sub_u16_e32 v90, v92, v70
	v_sub_u16_sdwa v95, v92, v70 dst_sel:BYTE_1 dst_unused:UNUSED_PAD src0_sel:BYTE_1 src1_sel:BYTE_1
	v_sub_u16_sdwa v70, v92, v70 dst_sel:DWORD dst_unused:UNUSED_PAD src0_sel:WORD_1 src1_sel:WORD_1
	v_or_b32_sdwa v77, v77, v87 dst_sel:DWORD dst_unused:UNUSED_PAD src0_sel:BYTE_0 src1_sel:DWORD
	v_or_b32_sdwa v76, v85, v76 dst_sel:WORD_1 dst_unused:UNUSED_PAD src0_sel:BYTE_0 src1_sel:DWORD
	v_or_b32_sdwa v85, v90, v95 dst_sel:DWORD dst_unused:UNUSED_PAD src0_sel:BYTE_0 src1_sel:DWORD
	v_or_b32_sdwa v70, v70, v89 dst_sel:WORD_1 dst_unused:UNUSED_PAD src0_sel:BYTE_0 src1_sel:DWORD
	v_or_b32_sdwa v90, v77, v76 dst_sel:DWORD dst_unused:UNUSED_PAD src0_sel:WORD_0 src1_sel:DWORD
	v_or_b32_sdwa v70, v85, v70 dst_sel:DWORD dst_unused:UNUSED_PAD src0_sel:WORD_0 src1_sel:DWORD
	v_dot4c_i32_i8_e32 v117, v90, v80
	v_dot4c_i32_i8_e32 v88, v70, v80
	v_mov_b32_e32 v105, v15
	v_mov_b32_e32 v95, v15
	v_mul_lo_u32 v69, v120, v117
	v_mul_lo_u32 v76, v115, v88
	v_cvt_f32_i32_e32 v77, v76
	v_cvt_f32_i32_e32 v76, v69
	v_dot4c_i32_i8_e32 v105, v90, v86
	v_dot4c_i32_i8_e32 v95, v70, v86
	v_lshrrev_b32_e32 v85, 6, v81
	v_pk_fma_f32 v[68:69], v[68:69], v[76:77], v[72:73] op_sel_hi:[0,1,1]
	v_lshrrev_b32_e32 v72, 6, v83
	v_lshrrev_b32_e32 v77, 1, v110
	v_lshrrev_b32_e32 v86, 1, v111
	v_mov_b32_e32 v87, v15
	v_mov_b32_e32 v109, v15
	;; [unrolled: 1-line block ×3, first 2 shown]
	v_lshrrev_b32_e32 v76, 30, v83
	v_and_b32_e32 v72, 0x3030303, v72
	v_and_b32_e32 v77, 0x4040404, v77
	v_lshrrev_b32_e32 v81, 30, v81
	v_and_b32_e32 v85, 0x3030303, v85
	v_and_b32_e32 v86, 0x4040404, v86
	v_sub_u16_sdwa v76, v76, v77 dst_sel:BYTE_1 dst_unused:UNUSED_PAD src0_sel:DWORD src1_sel:BYTE_3
	v_sub_u16_e32 v78, v72, v77
	v_sub_u16_sdwa v80, v72, v77 dst_sel:BYTE_1 dst_unused:UNUSED_PAD src0_sel:BYTE_1 src1_sel:BYTE_1
	v_sub_u16_sdwa v72, v72, v77 dst_sel:DWORD dst_unused:UNUSED_PAD src0_sel:WORD_1 src1_sel:WORD_1
	v_dot4c_i32_i8_e32 v103, v70, v96
	v_dot4c_i32_i8_e32 v87, v70, v99
	;; [unrolled: 1-line block ×4, first 2 shown]
	v_sub_u16_sdwa v81, v81, v86 dst_sel:BYTE_1 dst_unused:UNUSED_PAD src0_sel:DWORD src1_sel:BYTE_3
	v_dot4c_i32_i8_e32 v73, v70, v84
	v_sub_u16_e32 v70, v85, v86
	v_sub_u16_sdwa v84, v85, v86 dst_sel:BYTE_1 dst_unused:UNUSED_PAD src0_sel:BYTE_1 src1_sel:BYTE_1
	v_sub_u16_sdwa v85, v85, v86 dst_sel:DWORD dst_unused:UNUSED_PAD src0_sel:WORD_1 src1_sel:WORD_1
	v_or_b32_sdwa v78, v78, v80 dst_sel:DWORD dst_unused:UNUSED_PAD src0_sel:BYTE_0 src1_sel:DWORD
	v_or_b32_sdwa v72, v72, v76 dst_sel:WORD_1 dst_unused:UNUSED_PAD src0_sel:BYTE_0 src1_sel:DWORD
	v_or_b32_sdwa v70, v70, v84 dst_sel:DWORD dst_unused:UNUSED_PAD src0_sel:BYTE_0 src1_sel:DWORD
	v_or_b32_sdwa v76, v85, v81 dst_sel:WORD_1 dst_unused:UNUSED_PAD src0_sel:BYTE_0 src1_sel:DWORD
	v_mov_b32_e32 v110, v15
	v_mov_b32_e32 v117, v15
	v_or_b32_sdwa v84, v78, v72 dst_sel:DWORD dst_unused:UNUSED_PAD src0_sel:WORD_0 src1_sel:DWORD
	v_or_b32_sdwa v85, v70, v76 dst_sel:DWORD dst_unused:UNUSED_PAD src0_sel:WORD_0 src1_sel:DWORD
	v_cvt_f32_f16_e32 v70, v67
	v_lshrrev_b32_e32 v67, v33, v74
	v_mov_b32_e32 v77, v15
	v_mov_b32_e32 v83, v15
	v_dot4c_i32_i8_e32 v110, v84, v75
	v_dot4c_i32_i8_e32 v117, v85, v75
	;; [unrolled: 1-line block ×3, first 2 shown]
	v_lshrrev_b32_e32 v75, v36, v118
	v_dot4c_i32_i8_e32 v126, v85, v47
	v_lshlrev_b32_e32 v47, 4, v67
	v_mov_b32_e32 v92, v15
	v_mov_b32_e32 v89, v15
	v_dot4c_i32_i8_e32 v77, v84, v71
	v_dot4c_i32_i8_e32 v83, v85, v71
	v_bfe_u32 v71, v102, v32, 4
	v_and_or_b32 v45, v47, 48, v45
	v_lshlrev_b32_e32 v47, 4, v75
	v_dot4c_i32_i8_e32 v79, v90, v96
	v_dot4c_i32_i8_e32 v92, v90, v99
	;; [unrolled: 1-line block ×3, first 2 shown]
	v_mov_b32_e32 v111, v15
	v_mov_b32_e32 v81, v15
	v_and_or_b32 v47, v47, 48, v71
	v_dot4c_i32_i8_e32 v121, v84, v82
	v_dot4c_i32_i8_e32 v111, v85, v82
	;; [unrolled: 1-line block ×6, first 2 shown]
	v_cvt_f32_f16_e32 v80, v93
	v_cvt_f32_f16_e32 v74, v100
	;; [unrolled: 1-line block ×3, first 2 shown]
	v_mul_lo_u32 v67, v120, v79
	v_mul_lo_u32 v71, v120, v92
	;; [unrolled: 1-line block ×5, first 2 shown]
	v_subrev_u32_e32 v45, 32, v45
	v_subrev_u32_e32 v47, 32, v47
	v_mul_lo_u32 v91, v115, v103
	v_mul_lo_u32 v87, v115, v87
	;; [unrolled: 1-line block ×5, first 2 shown]
	v_cvt_f32_f16_e32 v72, v97
	v_cvt_f32_f16_e32 v76, v113
	;; [unrolled: 1-line block ×3, first 2 shown]
	s_waitcnt vmcnt(0)
	v_cvt_f32_f16_e32 v82, v119
	v_cvt_f32_f16_e32 v86, v98
	;; [unrolled: 1-line block ×3, first 2 shown]
	v_cvt_f32_i32_e32 v95, v91
	v_cvt_f32_i32_e32 v94, v67
	;; [unrolled: 1-line block ×10, first 2 shown]
	v_mul_lo_u32 v67, v47, v77
	v_mul_lo_u32 v71, v45, v83
	;; [unrolled: 1-line block ×12, first 2 shown]
	v_cvt_f32_f16_e32 v85, v106
	v_cvt_f32_f16_e32 v84, v107
	;; [unrolled: 1-line block ×3, first 2 shown]
	v_cvt_f32_i32_e32 v105, v71
	v_cvt_f32_i32_e32 v104, v67
	v_cvt_f32_i32_e32 v107, v75
	v_cvt_f32_i32_e32 v106, v73
	v_cvt_f32_i32_e32 v109, v79
	v_cvt_f32_i32_e32 v108, v77
	v_cvt_f32_i32_e32 v111, v87
	v_cvt_f32_i32_e32 v110, v83
	v_cvt_f32_i32_e32 v113, v81
	v_cvt_f32_i32_e32 v112, v89
	v_cvt_f32_i32_e32 v115, v45
	v_cvt_f32_i32_e32 v114, v47
	v_pk_fma_f32 v[52:53], v[72:73], v[94:95], v[52:53] op_sel_hi:[0,1,1]
	v_pk_fma_f32 v[54:55], v[76:77], v[96:97], v[54:55] op_sel_hi:[0,1,1]
	;; [unrolled: 1-line block ×11, first 2 shown]
	v_pk_fma_f32 v[8:9], v[68:69], v[84:85], v[8:9]
	v_pk_fma_f32 v[10:11], v[52:53], v[84:85], v[10:11]
	;; [unrolled: 1-line block ×6, first 2 shown]
	s_andn2_b64 exec, exec, s[12:13]
	s_cbranch_execnz .LBB117_2
; %bb.3:
	s_or_b64 exec, exec, s[12:13]
	scratch_store_dwordx4 off, v[8:11], off
	scratch_store_dwordx4 off, v[4:7], off offset:16
	scratch_store_dwordx4 off, v[0:3], off offset:32
.LBB117_4:
	s_or_b64 exec, exec, s[6:7]
	s_mov_b32 s5, 0
	v_cmp_eq_u32_e32 vcc, 0, v37
	s_waitcnt lgkmcnt(0)
	; wave barrier
	s_and_saveexec_b64 s[6:7], vcc
	s_cbranch_execz .LBB117_17
; %bb.5:
	scratch_load_dwordx2 v[2:3], off, off
	v_mbcnt_lo_u32_b32 v0, -1, 0
	v_mbcnt_hi_u32_b32 v13, -1, v0
	s_load_dwordx2 s[6:7], s[0:1], 0x38
	s_mul_i32 s0, s3, s14
	v_or_b32_e32 v1, s2, v12
	v_and_b32_e32 v0, 64, v13
	s_mul_i32 s4, s4, s18
	s_add_i32 s2, s0, s2
	v_cmp_gt_u32_e64 s[0:1], s10, v1
	v_xor_b32_e32 v1, 32, v13
	v_add_u32_e32 v14, 64, v0
	s_add_i32 s4, s2, s4
	v_cmp_lt_i32_e64 s[2:3], v1, v14
	v_cmp_gt_u32_e32 vcc, 2, v12
	s_nop 0
	v_cndmask_b32_e64 v0, v13, v1, s[2:3]
	v_lshlrev_b32_e32 v0, 2, v0
	v_xor_b32_e32 v1, 16, v13
	v_cmp_lt_i32_e64 s[2:3], v1, v14
	s_waitcnt vmcnt(0)
	ds_bpermute_b32 v4, v0, v2
	ds_bpermute_b32 v5, v0, v3
	v_cndmask_b32_e64 v1, v13, v1, s[2:3]
	v_lshlrev_b32_e32 v1, 2, v1
	s_waitcnt lgkmcnt(0)
	v_pk_add_f32 v[4:5], v[2:3], v[4:5]
	ds_bpermute_b32 v6, v1, v4
	ds_bpermute_b32 v7, v1, v5
	v_xor_b32_e32 v2, 8, v13
	v_cmp_lt_i32_e64 s[2:3], v2, v14
	v_xor_b32_e32 v3, 4, v13
	s_waitcnt lgkmcnt(0)
	v_pk_add_f32 v[4:5], v[4:5], v[6:7]
	v_cndmask_b32_e64 v2, v13, v2, s[2:3]
	v_lshlrev_b32_e32 v2, 2, v2
	ds_bpermute_b32 v6, v2, v4
	ds_bpermute_b32 v7, v2, v5
	v_cmp_lt_i32_e64 s[2:3], v3, v14
	s_waitcnt lgkmcnt(0)
	v_pk_add_f32 v[6:7], v[4:5], v[6:7]
	v_cndmask_b32_e64 v3, v13, v3, s[2:3]
	v_lshlrev_b32_e32 v3, 2, v3
	ds_bpermute_b32 v8, v3, v6
	ds_bpermute_b32 v9, v3, v7
	v_xor_b32_e32 v4, 2, v13
	v_cmp_lt_i32_e64 s[2:3], v4, v14
	v_xor_b32_e32 v5, 1, v13
	s_waitcnt lgkmcnt(0)
	v_pk_add_f32 v[8:9], v[6:7], v[8:9]
	v_cndmask_b32_e64 v4, v13, v4, s[2:3]
	v_lshlrev_b32_e32 v4, 2, v4
	ds_bpermute_b32 v10, v4, v8
	ds_bpermute_b32 v11, v4, v9
	v_cmp_lt_i32_e64 s[2:3], v5, v14
	s_waitcnt lgkmcnt(0)
	v_pk_add_f32 v[8:9], v[8:9], v[10:11]
	v_cndmask_b32_e64 v5, v13, v5, s[2:3]
	v_lshlrev_b32_e32 v6, 2, v5
	ds_bpermute_b32 v10, v6, v8
	ds_bpermute_b32 v11, v6, v9
	s_lshl_b64 s[2:3], s[4:5], 2
	s_add_u32 s2, s6, s2
	s_addc_u32 s3, s7, s3
	s_and_b64 s[0:1], vcc, s[0:1]
	s_waitcnt lgkmcnt(0)
	v_pk_add_f32 v[8:9], v[8:9], v[10:11]
	v_lshlrev_b32_e32 v5, 2, v12
	scratch_store_dwordx2 off, v[8:9], off
	s_and_saveexec_b64 s[4:5], s[0:1]
	s_cbranch_execz .LBB117_7
; %bb.6:
	scratch_load_dword v7, v5, off
	s_waitcnt vmcnt(0)
	global_store_dword v5, v7, s[2:3]
.LBB117_7:
	s_or_b64 exec, exec, s[4:5]
	scratch_load_dwordx2 v[8:9], off, off offset:8
	s_waitcnt vmcnt(0)
	ds_bpermute_b32 v10, v0, v8
	ds_bpermute_b32 v11, v0, v9
	s_waitcnt lgkmcnt(0)
	v_pk_add_f32 v[8:9], v[8:9], v[10:11]
	ds_bpermute_b32 v10, v1, v8
	ds_bpermute_b32 v11, v1, v9
	s_waitcnt lgkmcnt(0)
	v_pk_add_f32 v[8:9], v[8:9], v[10:11]
	;; [unrolled: 4-line block ×6, first 2 shown]
	scratch_store_dwordx2 off, v[8:9], off offset:8
	s_and_saveexec_b64 s[4:5], s[0:1]
	s_cbranch_execz .LBB117_9
; %bb.8:
	scratch_load_dword v7, v5, off offset:8
	v_add_u32_e32 v8, s10, v12
	v_mov_b32_e32 v9, 0
	v_lshl_add_u64 v[8:9], v[8:9], 2, s[2:3]
	s_waitcnt vmcnt(0)
	global_store_dword v[8:9], v7, off
.LBB117_9:
	s_or_b64 exec, exec, s[4:5]
	scratch_load_dwordx2 v[8:9], off, off offset:16
	s_waitcnt vmcnt(0)
	ds_bpermute_b32 v10, v0, v8
	ds_bpermute_b32 v11, v0, v9
	s_waitcnt lgkmcnt(0)
	v_pk_add_f32 v[8:9], v[8:9], v[10:11]
	ds_bpermute_b32 v10, v1, v8
	ds_bpermute_b32 v11, v1, v9
	s_waitcnt lgkmcnt(0)
	v_pk_add_f32 v[8:9], v[8:9], v[10:11]
	;; [unrolled: 4-line block ×6, first 2 shown]
	scratch_store_dwordx2 off, v[8:9], off offset:16
	s_and_saveexec_b64 s[4:5], s[0:1]
	s_cbranch_execz .LBB117_11
; %bb.10:
	scratch_load_dword v7, v5, off offset:16
	v_lshl_or_b32 v8, s10, 1, v12
	v_mov_b32_e32 v9, 0
	v_lshl_add_u64 v[8:9], v[8:9], 2, s[2:3]
	s_waitcnt vmcnt(0)
	global_store_dword v[8:9], v7, off
.LBB117_11:
	s_or_b64 exec, exec, s[4:5]
	scratch_load_dwordx2 v[8:9], off, off offset:24
	s_waitcnt vmcnt(0)
	ds_bpermute_b32 v10, v0, v8
	ds_bpermute_b32 v11, v0, v9
	s_waitcnt lgkmcnt(0)
	v_pk_add_f32 v[8:9], v[8:9], v[10:11]
	ds_bpermute_b32 v10, v1, v8
	ds_bpermute_b32 v11, v1, v9
	s_waitcnt lgkmcnt(0)
	v_pk_add_f32 v[8:9], v[8:9], v[10:11]
	;; [unrolled: 4-line block ×6, first 2 shown]
	scratch_store_dwordx2 off, v[8:9], off offset:24
	s_and_saveexec_b64 s[4:5], s[0:1]
	s_cbranch_execz .LBB117_13
; %bb.12:
	scratch_load_dword v7, v5, off offset:24
	v_mad_u64_u32 v[8:9], s[6:7], s10, 3, v[12:13]
	v_mov_b32_e32 v9, 0
	v_lshl_add_u64 v[8:9], v[8:9], 2, s[2:3]
	s_waitcnt vmcnt(0)
	global_store_dword v[8:9], v7, off
.LBB117_13:
	s_or_b64 exec, exec, s[4:5]
	scratch_load_dwordx2 v[8:9], off, off offset:32
	s_waitcnt vmcnt(0)
	ds_bpermute_b32 v10, v0, v8
	ds_bpermute_b32 v11, v0, v9
	s_waitcnt lgkmcnt(0)
	v_pk_add_f32 v[8:9], v[8:9], v[10:11]
	ds_bpermute_b32 v10, v1, v8
	ds_bpermute_b32 v11, v1, v9
	s_waitcnt lgkmcnt(0)
	v_pk_add_f32 v[8:9], v[8:9], v[10:11]
	;; [unrolled: 4-line block ×6, first 2 shown]
	scratch_store_dwordx2 off, v[8:9], off offset:32
	s_and_saveexec_b64 s[4:5], s[0:1]
	s_cbranch_execz .LBB117_15
; %bb.14:
	scratch_load_dword v7, v5, off offset:32
	v_lshl_or_b32 v8, s10, 2, v12
	v_mov_b32_e32 v9, 0
	v_lshl_add_u64 v[8:9], v[8:9], 2, s[2:3]
	s_waitcnt vmcnt(0)
	global_store_dword v[8:9], v7, off
.LBB117_15:
	s_or_b64 exec, exec, s[4:5]
	scratch_load_dwordx2 v[8:9], off, off offset:40
	s_waitcnt vmcnt(0)
	ds_bpermute_b32 v10, v0, v8
	ds_bpermute_b32 v11, v0, v9
	s_waitcnt lgkmcnt(0)
	v_pk_add_f32 v[8:9], v[8:9], v[10:11]
	ds_bpermute_b32 v0, v1, v8
	ds_bpermute_b32 v1, v1, v9
	s_waitcnt lgkmcnt(0)
	v_pk_add_f32 v[0:1], v[8:9], v[0:1]
	;; [unrolled: 4-line block ×6, first 2 shown]
	scratch_store_dwordx2 off, v[0:1], off offset:40
	s_and_b64 exec, exec, s[0:1]
	s_cbranch_execz .LBB117_17
; %bb.16:
	scratch_load_dword v2, v5, off offset:40
	v_mad_u64_u32 v[0:1], s[0:1], s10, 5, v[12:13]
	v_mov_b32_e32 v1, 0
	v_lshl_add_u64 v[0:1], v[0:1], 2, s[2:3]
	s_waitcnt vmcnt(0)
	global_store_dword v[0:1], v2, off
.LBB117_17:
	s_endpgm
	.section	.rodata,"a",@progbits
	.p2align	6, 0x0
	.amdhsa_kernel _ZL13mul_mat_vec_qIL9ggml_type11ELi6ELb0ELb0EEvPKvS2_PKi31ggml_cuda_mm_fusion_args_devicePfj15HIP_vector_typeIjLj3EEjjjS8_jjjS8_jjjj
		.amdhsa_group_segment_fixed_size 0
		.amdhsa_private_segment_fixed_size 64
		.amdhsa_kernarg_size 144
		.amdhsa_user_sgpr_count 2
		.amdhsa_user_sgpr_dispatch_ptr 0
		.amdhsa_user_sgpr_queue_ptr 0
		.amdhsa_user_sgpr_kernarg_segment_ptr 1
		.amdhsa_user_sgpr_dispatch_id 0
		.amdhsa_user_sgpr_kernarg_preload_length 0
		.amdhsa_user_sgpr_kernarg_preload_offset 0
		.amdhsa_user_sgpr_private_segment_size 0
		.amdhsa_uses_dynamic_stack 0
		.amdhsa_enable_private_segment 1
		.amdhsa_system_sgpr_workgroup_id_x 1
		.amdhsa_system_sgpr_workgroup_id_y 1
		.amdhsa_system_sgpr_workgroup_id_z 1
		.amdhsa_system_sgpr_workgroup_info 0
		.amdhsa_system_vgpr_workitem_id 1
		.amdhsa_next_free_vgpr 128
		.amdhsa_next_free_sgpr 31
		.amdhsa_accum_offset 128
		.amdhsa_reserve_vcc 1
		.amdhsa_float_round_mode_32 0
		.amdhsa_float_round_mode_16_64 0
		.amdhsa_float_denorm_mode_32 3
		.amdhsa_float_denorm_mode_16_64 3
		.amdhsa_dx10_clamp 1
		.amdhsa_ieee_mode 1
		.amdhsa_fp16_overflow 0
		.amdhsa_tg_split 0
		.amdhsa_exception_fp_ieee_invalid_op 0
		.amdhsa_exception_fp_denorm_src 0
		.amdhsa_exception_fp_ieee_div_zero 0
		.amdhsa_exception_fp_ieee_overflow 0
		.amdhsa_exception_fp_ieee_underflow 0
		.amdhsa_exception_fp_ieee_inexact 0
		.amdhsa_exception_int_div_zero 0
	.end_amdhsa_kernel
	.section	.text._ZL13mul_mat_vec_qIL9ggml_type11ELi6ELb0ELb0EEvPKvS2_PKi31ggml_cuda_mm_fusion_args_devicePfj15HIP_vector_typeIjLj3EEjjjS8_jjjS8_jjjj,"axG",@progbits,_ZL13mul_mat_vec_qIL9ggml_type11ELi6ELb0ELb0EEvPKvS2_PKi31ggml_cuda_mm_fusion_args_devicePfj15HIP_vector_typeIjLj3EEjjjS8_jjjS8_jjjj,comdat
.Lfunc_end117:
	.size	_ZL13mul_mat_vec_qIL9ggml_type11ELi6ELb0ELb0EEvPKvS2_PKi31ggml_cuda_mm_fusion_args_devicePfj15HIP_vector_typeIjLj3EEjjjS8_jjjS8_jjjj, .Lfunc_end117-_ZL13mul_mat_vec_qIL9ggml_type11ELi6ELb0ELb0EEvPKvS2_PKi31ggml_cuda_mm_fusion_args_devicePfj15HIP_vector_typeIjLj3EEjjjS8_jjjS8_jjjj
                                        ; -- End function
	.section	.AMDGPU.csdata,"",@progbits
; Kernel info:
; codeLenInByte = 6112
; NumSgprs: 37
; NumVgprs: 128
; NumAgprs: 0
; TotalNumVgprs: 128
; ScratchSize: 64
; MemoryBound: 0
; FloatMode: 240
; IeeeMode: 1
; LDSByteSize: 0 bytes/workgroup (compile time only)
; SGPRBlocks: 4
; VGPRBlocks: 15
; NumSGPRsForWavesPerEU: 37
; NumVGPRsForWavesPerEU: 128
; AccumOffset: 128
; Occupancy: 4
; WaveLimiterHint : 0
; COMPUTE_PGM_RSRC2:SCRATCH_EN: 1
; COMPUTE_PGM_RSRC2:USER_SGPR: 2
; COMPUTE_PGM_RSRC2:TRAP_HANDLER: 0
; COMPUTE_PGM_RSRC2:TGID_X_EN: 1
; COMPUTE_PGM_RSRC2:TGID_Y_EN: 1
; COMPUTE_PGM_RSRC2:TGID_Z_EN: 1
; COMPUTE_PGM_RSRC2:TIDIG_COMP_CNT: 1
; COMPUTE_PGM_RSRC3_GFX90A:ACCUM_OFFSET: 31
; COMPUTE_PGM_RSRC3_GFX90A:TG_SPLIT: 0
	.section	.text._ZL13mul_mat_vec_qIL9ggml_type11ELi7ELb0ELb0EEvPKvS2_PKi31ggml_cuda_mm_fusion_args_devicePfj15HIP_vector_typeIjLj3EEjjjS8_jjjS8_jjjj,"axG",@progbits,_ZL13mul_mat_vec_qIL9ggml_type11ELi7ELb0ELb0EEvPKvS2_PKi31ggml_cuda_mm_fusion_args_devicePfj15HIP_vector_typeIjLj3EEjjjS8_jjjS8_jjjj,comdat
	.globl	_ZL13mul_mat_vec_qIL9ggml_type11ELi7ELb0ELb0EEvPKvS2_PKi31ggml_cuda_mm_fusion_args_devicePfj15HIP_vector_typeIjLj3EEjjjS8_jjjS8_jjjj ; -- Begin function _ZL13mul_mat_vec_qIL9ggml_type11ELi7ELb0ELb0EEvPKvS2_PKi31ggml_cuda_mm_fusion_args_devicePfj15HIP_vector_typeIjLj3EEjjjS8_jjjS8_jjjj
	.p2align	8
	.type	_ZL13mul_mat_vec_qIL9ggml_type11ELi7ELb0ELb0EEvPKvS2_PKi31ggml_cuda_mm_fusion_args_devicePfj15HIP_vector_typeIjLj3EEjjjS8_jjjS8_jjjj,@function
_ZL13mul_mat_vec_qIL9ggml_type11ELi7ELb0ELb0EEvPKvS2_PKi31ggml_cuda_mm_fusion_args_devicePfj15HIP_vector_typeIjLj3EEjjjS8_jjjS8_jjjj: ; @_ZL13mul_mat_vec_qIL9ggml_type11ELi7ELb0ELb0EEvPKvS2_PKi31ggml_cuda_mm_fusion_args_devicePfj15HIP_vector_typeIjLj3EEjjjS8_jjjS8_jjjj
; %bb.0:
	v_bfe_u32 v33, v0, 10, 10
	v_and_b32_e32 v8, 0x3ff, v0
	s_mov_b32 s20, 0
	s_load_dword s5, s[0:1], 0x40
	s_load_dwordx4 s[8:11], s[0:1], 0x50
	s_load_dword s25, s[0:1], 0x60
	s_load_dwordx4 s[12:15], s[0:1], 0x68
	;; [unrolled: 2-line block ×3, first 2 shown]
	v_lshl_or_b32 v4, v33, 6, v8
	s_mov_b32 s21, s20
	s_waitcnt lgkmcnt(0)
	s_lshr_b32 s5, s5, 8
	v_mov_b32_e32 v11, 0
	s_mov_b32 s22, s20
	s_mov_b32 s23, s20
	v_mov_b64_e32 v[0:1], s[20:21]
	v_lshrrev_b32_e32 v94, 4, v4
	s_lshl_b32 s2, s2, 1
	v_mov_b32_e32 v10, v11
	v_mov_b64_e32 v[2:3], s[22:23]
	v_cmp_gt_u32_e32 vcc, s5, v94
	scratch_store_dwordx2 off, v[10:11], off offset:48
	scratch_store_dwordx4 off, v[0:3], off offset:32
	scratch_store_dwordx4 off, v[0:3], off offset:16
	scratch_store_dwordx4 off, v[0:3], off
	s_and_saveexec_b64 s[6:7], vcc
	s_cbranch_execz .LBB118_3
; %bb.1:
	v_lshrrev_b32_e32 v0, 1, v8
	v_and_b32_e32 v1, 15, v8
	v_and_b32_e32 v95, 4, v0
	;; [unrolled: 1-line block ×3, first 2 shown]
	v_lshlrev_b32_e32 v2, 1, v1
	v_sub_u32_e32 v1, v1, v0
	v_bfe_u32 v3, v8, 2, 1
	v_add_u32_e32 v1, v1, v3
	v_lshrrev_b16_e32 v3, 12, v1
	v_and_b32_e32 v3, 7, v3
	v_add_u16_e32 v3, v1, v3
	v_and_b32_e32 v5, 0xf8, v3
	v_ashrrev_i16_e32 v3, 3, v3
	v_mov_b32_e32 v6, 2
	v_lshlrev_b32_sdwa v96, v6, sext(v3) dst_sel:DWORD dst_unused:UNUSED_PAD src0_sel:DWORD src1_sel:WORD_0
	v_lshrrev_b16_e32 v3, 6, v1
	v_and_b32_e32 v3, 3, v3
	v_sub_u16_e32 v5, v1, v5
	v_add_u16_e32 v3, v1, v3
	v_bfe_i32 v12, v5, 0, 8
	v_and_b32_e32 v5, 0xfc, v3
	v_ashrrev_i16_e32 v3, 2, v3
	v_mov_b32_e32 v7, 1
	v_sub_u16_e32 v5, v1, v5
	v_lshlrev_b32_sdwa v97, v7, sext(v3) dst_sel:DWORD dst_unused:UNUSED_PAD src0_sel:DWORD src1_sel:WORD_0
	v_add_u16_e32 v3, 2, v1
	v_bfe_i32 v14, v5, 0, 8
	v_lshrrev_b16_e32 v5, 7, v3
	v_mov_b32_e32 v9, 5
	v_lshrrev_b16_sdwa v10, v9, v5 dst_sel:DWORD dst_unused:UNUSED_PAD src0_sel:DWORD src1_sel:BYTE_0
	v_add_u16_e32 v10, v3, v10
	v_mov_b32_e32 v21, 3
	v_and_b32_e32 v16, 0xf8, v10
	v_ashrrev_i16_sdwa v10, v21, sext(v10) dst_sel:DWORD dst_unused:UNUSED_PAD src0_sel:DWORD src1_sel:BYTE_0
	v_lshlrev_b32_sdwa v98, v6, sext(v10) dst_sel:DWORD dst_unused:UNUSED_PAD src0_sel:DWORD src1_sel:WORD_0
	v_mov_b32_e32 v10, 6
	v_lshrrev_b16_sdwa v5, v10, v5 dst_sel:DWORD dst_unused:UNUSED_PAD src0_sel:DWORD src1_sel:BYTE_0
	v_add_u16_e32 v5, v3, v5
	v_and_b32_e32 v18, 0xfc, v5
	s_load_dwordx4 s[20:23], s[0:1], 0x0
	v_sub_u16_e32 v16, v3, v16
	v_sub_u16_e32 v3, v3, v18
	v_ashrrev_i16_sdwa v5, v6, sext(v5) dst_sel:DWORD dst_unused:UNUSED_PAD src0_sel:DWORD src1_sel:BYTE_0
	v_bfe_i32 v18, v3, 0, 8
	v_add_u16_e32 v3, 4, v1
	v_lshlrev_b32_sdwa v99, v7, sext(v5) dst_sel:DWORD dst_unused:UNUSED_PAD src0_sel:DWORD src1_sel:WORD_0
	v_lshrrev_b16_e32 v5, 7, v3
	s_mul_i32 s17, s4, s17
	v_lshrrev_b16_sdwa v20, v9, v5 dst_sel:DWORD dst_unused:UNUSED_PAD src0_sel:DWORD src1_sel:BYTE_0
	v_lshrrev_b16_sdwa v5, v10, v5 dst_sel:DWORD dst_unused:UNUSED_PAD src0_sel:DWORD src1_sel:BYTE_0
	s_mul_hi_u32 s19, s17, 36
	s_mul_i32 s17, s17, 36
	v_add_u16_e32 v20, v3, v20
	v_add_u16_e32 v5, v3, v5
	s_mul_i32 s13, s3, s13
	s_waitcnt lgkmcnt(0)
	s_add_u32 s17, s22, s17
	v_and_b32_e32 v22, 0xf8, v20
	v_and_b32_e32 v24, 0xfc, v5
	s_addc_u32 s19, s23, s19
	s_mul_hi_u32 s23, s13, 36
	s_mul_i32 s13, s13, 36
	v_sub_u16_e32 v22, v3, v22
	v_sub_u16_e32 v3, v3, v24
	v_add_u16_e32 v1, 6, v1
	s_add_u32 s22, s17, s13
	s_mul_hi_u32 s11, s11, s3
	v_ashrrev_i16_sdwa v5, v6, sext(v5) dst_sel:DWORD dst_unused:UNUSED_PAD src0_sel:DWORD src1_sel:BYTE_0
	v_bfe_i32 v26, v3, 0, 8
	v_lshrrev_b16_e32 v3, 7, v1
	s_addc_u32 s23, s19, s23
	s_add_i32 s11, s3, s11
	v_lshlrev_b32_sdwa v24, v7, sext(v5) dst_sel:DWORD dst_unused:UNUSED_PAD src0_sel:DWORD src1_sel:WORD_0
	v_lshrrev_b16_sdwa v5, v9, v3 dst_sel:DWORD dst_unused:UNUSED_PAD src0_sel:DWORD src1_sel:BYTE_0
	s_lshr_b32 s11, s11, s25
	v_add_u16_e32 v5, v1, v5
	v_lshrrev_b16_sdwa v3, v10, v3 dst_sel:DWORD dst_unused:UNUSED_PAD src0_sel:DWORD src1_sel:BYTE_0
	s_mul_i32 s11, s11, s12
	s_mul_hi_u32 s12, s15, s4
	v_and_b32_e32 v9, 0xf8, v5
	v_ashrrev_i16_sdwa v5, v21, sext(v5) dst_sel:DWORD dst_unused:UNUSED_PAD src0_sel:DWORD src1_sel:BYTE_0
	v_add_u16_e32 v3, v1, v3
	s_add_i32 s12, s4, s12
	v_lshlrev_b32_sdwa v28, v6, sext(v5) dst_sel:DWORD dst_unused:UNUSED_PAD src0_sel:DWORD src1_sel:WORD_0
	v_and_b32_e32 v5, 0xfc, v3
	s_lshr_b32 s12, s12, s24
	v_sub_u16_e32 v9, v1, v9
	v_sub_u16_e32 v1, v1, v5
	v_ashrrev_i16_sdwa v3, v6, sext(v3) dst_sel:DWORD dst_unused:UNUSED_PAD src0_sel:DWORD src1_sel:BYTE_0
	s_mul_i32 s15, s12, s16
	v_ashrrev_i16_sdwa v20, v21, sext(v20) dst_sel:DWORD dst_unused:UNUSED_PAD src0_sel:DWORD src1_sel:BYTE_0
	v_lshlrev_b32_sdwa v32, v7, sext(v3) dst_sel:DWORD dst_unused:UNUSED_PAD src0_sel:DWORD src1_sel:WORD_0
	v_bfe_i32 v34, v1, 0, 8
	v_mad_u64_u32 v[36:37], s[12:13], v95, 36, s[22:23]
	v_lshl_add_u32 v1, v33, 6, v8
	v_bfe_u32 v3, v8, 3, 1
	v_lshlrev_b32_sdwa v20, v6, sext(v20) dst_sel:DWORD dst_unused:UNUSED_PAD src0_sel:DWORD src1_sel:WORD_0
	v_lshrrev_b32_e32 v1, 4, v1
	v_mul_hi_u32_u24_e32 v7, 0x90, v3
	v_mul_u32_u24_e32 v6, 0x90, v3
	s_movk_i32 s12, 0x120
	v_mad_u64_u32 v[6:7], s[12:13], v1, s12, v[6:7]
	s_add_i32 s12, s2, 1
	v_lshlrev_b32_e32 v4, 1, v0
	v_bfe_i32 v16, v16, 0, 8
	v_bfe_i32 v22, v22, 0, 8
	;; [unrolled: 1-line block ×3, first 2 shown]
	s_mul_i32 s16, s2, s8
	s_add_i32 s15, s15, s11
	s_mul_i32 s8, s8, s12
	v_ashrrev_i32_e32 v13, 31, v12
	v_ashrrev_i32_e32 v15, 31, v14
	;; [unrolled: 1-line block ×8, first 2 shown]
	v_mov_b32_e32 v9, v20
	v_mov_b32_e32 v21, v24
	;; [unrolled: 1-line block ×4, first 2 shown]
	s_add_i32 s11, s15, s16
	v_lshlrev_b32_e32 v38, 2, v0
	v_mov_b32_e32 v39, v11
	v_lshl_add_u64 v[40:41], s[22:23], 0, v[6:7]
	s_add_i32 s8, s15, s8
	s_lshl_b32 s15, s9, 1
	v_lshlrev_b32_e32 v100, 3, v94
	s_mul_i32 s19, s9, 3
	s_lshl_b32 s26, s9, 2
	s_mul_i32 s27, s9, 5
	s_mul_i32 s28, s9, 6
	s_mov_b64 s[12:13], 0
	s_movk_i32 s29, 0x6e
	v_lshlrev_b32_e32 v10, 1, v2
	v_lshlrev_b32_e32 v42, 1, v4
	;; [unrolled: 1-line block ×3, first 2 shown]
	s_mov_b64 s[16:17], 0x48
	s_mov_b64 s[22:23], 0x6c
	s_mov_b32 s30, 0x1000504
	s_mov_b64 s[24:25], 0x480
.LBB118_2:                              ; =>This Inner Loop Header: Depth=1
	v_add_u32_e32 v2, s11, v94
	v_mov_b64_e32 v[0:1], s[20:21]
	v_add_u32_e32 v3, s8, v94
	v_add_u32_e32 v6, s15, v100
	v_mad_i64_i32 v[4:5], s[34:35], v2, s29, v[0:1]
	v_mov_b32_e32 v43, v11
	v_mov_b32_e32 v45, v11
	v_mad_i64_i32 v[2:3], s[34:35], v3, s29, v[0:1]
	v_mad_u64_u32 v[58:59], s[34:35], v6, 36, v[36:37]
	v_lshl_add_u64 v[84:85], v[4:5], 0, v[10:11]
	v_lshl_add_u64 v[0:1], v[58:59], 0, v[44:45]
	;; [unrolled: 1-line block ×13, first 2 shown]
	global_load_ushort v105, v[84:85], off offset:34
	global_load_ushort v104, v[82:83], off offset:34
	global_load_ubyte v6, v[74:75], off offset:96
	global_load_ubyte v43, v[76:77], off offset:104
	;; [unrolled: 1-line block ×4, first 2 shown]
	global_load_dword v60, v[88:89], off
	global_load_dword v61, v[86:87], off
	global_load_ubyte v62, v[70:71], off offset:104
	global_load_ubyte v63, v[56:57], off offset:96
	;; [unrolled: 1-line block ×4, first 2 shown]
	global_load_ushort v66, v[84:85], off offset:32
	global_load_ushort v67, v[82:83], off offset:32
	global_load_dword v90, v[0:1], off offset:4
	v_lshl_add_u64 v[52:53], v[58:59], 0, 36
	v_lshl_add_u64 v[0:1], v[52:53], 0, v[44:45]
	global_load_dword v91, v[0:1], off offset:4
	v_mov_b32_e32 v47, v11
	v_mov_b32_e32 v48, v11
	v_add_u32_e32 v51, s19, v100
	v_mov_b32_e32 v7, v11
	v_mov_b32_e32 v46, v11
	;; [unrolled: 1-line block ×5, first 2 shown]
	v_add_u32_e32 v94, 4, v94
	v_cmp_le_u32_e32 vcc, s5, v94
	s_or_b64 s[12:13], vcc, s[12:13]
	s_waitcnt vmcnt(15)
	v_lshlrev_b32_e32 v0, 16, v105
	s_waitcnt vmcnt(14)
	v_lshlrev_b32_e32 v1, 16, v104
	s_waitcnt vmcnt(13)
	v_bfe_u32 v6, v6, v96, 4
	s_waitcnt vmcnt(12)
	v_lshrrev_b32_e32 v43, v97, v43
	s_waitcnt vmcnt(11)
	v_bfe_u32 v52, v54, v96, 4
	s_waitcnt vmcnt(10)
	v_lshrrev_b32_e32 v53, v97, v55
	s_waitcnt vmcnt(9)
	v_ashrrev_i32_e32 v54, v95, v60
	s_waitcnt vmcnt(8)
	v_ashrrev_i32_e32 v55, v95, v61
	v_not_b32_e32 v109, v54
	v_not_b32_e32 v107, v55
	s_waitcnt vmcnt(7)
	v_lshrrev_b32_e32 v60, v99, v62
	s_waitcnt vmcnt(5)
	v_lshrrev_b32_e32 v62, v99, v64
	s_waitcnt vmcnt(3)
	v_or_b32_e32 v108, v0, v66
	v_lshlrev_b32_e32 v0, 4, v43
	s_waitcnt vmcnt(2)
	v_or_b32_e32 v106, v1, v67
	v_lshlrev_b32_e32 v1, 4, v53
	v_and_or_b32 v0, v0, 48, v6
	v_lshlrev_b32_e32 v6, 2, v109
	v_lshlrev_b32_e32 v55, 2, v107
	;; [unrolled: 1-line block ×4, first 2 shown]
	v_and_or_b32 v1, v1, 48, v52
	v_bfe_u32 v52, v108, 24, 2
	v_and_b32_e32 v54, 0x3030303, v108
	v_bfe_u32 v60, v106, 24, 2
	v_and_b32_e32 v62, 0x3030303, v106
	v_and_b32_e32 v6, 0x4040404, v6
	;; [unrolled: 1-line block ×3, first 2 shown]
	v_sub_u16_sdwa v52, v52, v6 dst_sel:BYTE_1 dst_unused:UNUSED_PAD src0_sel:DWORD src1_sel:BYTE_3
	v_sub_u16_e32 v92, v54, v6
	v_sub_u16_sdwa v93, v54, v6 dst_sel:BYTE_1 dst_unused:UNUSED_PAD src0_sel:BYTE_1 src1_sel:BYTE_1
	v_sub_u16_sdwa v6, v54, v6 dst_sel:DWORD dst_unused:UNUSED_PAD src0_sel:WORD_1 src1_sel:WORD_1
	v_sub_u16_sdwa v54, v60, v55 dst_sel:BYTE_1 dst_unused:UNUSED_PAD src0_sel:DWORD src1_sel:BYTE_3
	v_sub_u16_e32 v60, v62, v55
	v_sub_u16_sdwa v101, v62, v55 dst_sel:BYTE_1 dst_unused:UNUSED_PAD src0_sel:BYTE_1 src1_sel:BYTE_1
	v_sub_u16_sdwa v55, v62, v55 dst_sel:DWORD dst_unused:UNUSED_PAD src0_sel:WORD_1 src1_sel:WORD_1
	v_or_b32_sdwa v54, v55, v54 dst_sel:WORD_1 dst_unused:UNUSED_PAD src0_sel:BYTE_0 src1_sel:DWORD
	global_load_dword v55, v[58:59], off
	v_bfe_u32 v61, v63, v98, 4
	v_bfe_u32 v63, v65, v98, 4
	v_or_b32_sdwa v92, v92, v93 dst_sel:DWORD dst_unused:UNUSED_PAD src0_sel:BYTE_0 src1_sel:DWORD
	v_or_b32_sdwa v6, v6, v52 dst_sel:WORD_1 dst_unused:UNUSED_PAD src0_sel:BYTE_0 src1_sel:DWORD
	v_or_b32_sdwa v101, v60, v101 dst_sel:DWORD dst_unused:UNUSED_PAD src0_sel:BYTE_0 src1_sel:DWORD
	v_and_or_b32 v43, v43, 48, v61
	v_and_or_b32 v64, v53, 48, v63
	v_lshrrev_b32_e32 v53, 2, v108
	v_lshlrev_b32_e32 v61, 1, v109
	v_lshrrev_b32_e32 v63, 2, v106
	v_lshlrev_b32_e32 v65, 1, v107
	v_or_b32_sdwa v92, v92, v6 dst_sel:DWORD dst_unused:UNUSED_PAD src0_sel:WORD_0 src1_sel:DWORD
	v_or_b32_sdwa v101, v101, v54 dst_sel:DWORD dst_unused:UNUSED_PAD src0_sel:WORD_0 src1_sel:DWORD
	v_and_b32_e32 v66, 0x3030303, v53
	v_bfe_u32 v53, v53, 24, 2
	v_and_b32_e32 v61, 0x4040404, v61
	v_and_b32_e32 v67, 0x3030303, v63
	;; [unrolled: 1-line block ×3, first 2 shown]
	v_subrev_u32_e32 v112, 32, v0
	v_subrev_u32_e32 v113, 32, v1
	s_waitcnt vmcnt(2)
	v_dot4c_i32_i8_e32 v47, v92, v90
	v_dot4c_i32_i8_e32 v48, v101, v90
	v_sub_u16_sdwa v53, v53, v61 dst_sel:BYTE_1 dst_unused:UNUSED_PAD src0_sel:DWORD src1_sel:BYTE_3
	v_sub_u16_e32 v62, v66, v61
	v_sub_u16_sdwa v102, v66, v61 dst_sel:BYTE_1 dst_unused:UNUSED_PAD src0_sel:BYTE_1 src1_sel:BYTE_1
	v_sub_u16_sdwa v66, v66, v61 dst_sel:DWORD dst_unused:UNUSED_PAD src0_sel:WORD_1 src1_sel:WORD_1
	v_sub_u16_e32 v110, v67, v65
	v_sub_u16_sdwa v111, v67, v65 dst_sel:BYTE_1 dst_unused:UNUSED_PAD src0_sel:BYTE_1 src1_sel:BYTE_1
	v_mad_u64_u32 v[60:61], s[34:35], v51, 36, v[36:37]
	v_mul_lo_u32 v0, v113, v47
	v_mul_lo_u32 v1, v112, v48
	v_or_b32_sdwa v51, v62, v102 dst_sel:DWORD dst_unused:UNUSED_PAD src0_sel:BYTE_0 src1_sel:DWORD
	v_or_b32_sdwa v102, v110, v111 dst_sel:DWORD dst_unused:UNUSED_PAD src0_sel:BYTE_0 src1_sel:DWORD
	global_load_dword v110, v[58:59], off offset:36
	global_load_dword v48, v[60:61], off
	v_cvt_f32_i32_e32 v1, v1
	v_cvt_f32_i32_e32 v0, v0
	v_bfe_u32 v63, v63, 24, 2
	v_sub_u16_sdwa v103, v63, v65 dst_sel:BYTE_1 dst_unused:UNUSED_PAD src0_sel:DWORD src1_sel:BYTE_3
	v_sub_u16_sdwa v65, v67, v65 dst_sel:DWORD dst_unused:UNUSED_PAD src0_sel:WORD_1 src1_sel:WORD_1
	v_add_u32_e32 v52, s26, v100
	v_or_b32_sdwa v66, v66, v53 dst_sel:WORD_1 dst_unused:UNUSED_PAD src0_sel:BYTE_0 src1_sel:DWORD
	v_mad_u64_u32 v[62:63], s[34:35], v52, 36, v[36:37]
	v_lshl_add_u64 v[52:53], v[60:61], 0, v[44:45]
	v_or_b32_sdwa v51, v51, v66 dst_sel:DWORD dst_unused:UNUSED_PAD src0_sel:WORD_0 src1_sel:DWORD
	v_subrev_u32_e32 v43, 32, v43
	v_subrev_u32_e32 v64, 32, v64
	v_mov_b32_e32 v67, v11
	v_mov_b32_e32 v93, v11
	v_and_b32_e32 v117, 0x4040404, v107
	s_waitcnt vmcnt(2)
	v_cvt_f32_f16_e32 v6, v55
	v_lshl_add_u64 v[54:55], v[60:61], 0, 36
	v_pk_fma_f32 v[0:1], v[6:7], v[0:1], 0 op_sel_hi:[0,1,0]
	v_or_b32_sdwa v6, v65, v103 dst_sel:WORD_1 dst_unused:UNUSED_PAD src0_sel:BYTE_0 src1_sel:DWORD
	global_load_dword v65, v[60:61], off offset:36
	v_or_b32_sdwa v66, v102, v6 dst_sel:DWORD dst_unused:UNUSED_PAD src0_sel:WORD_0 src1_sel:DWORD
	v_dot4c_i32_i8_e32 v7, v51, v91
	v_dot4c_i32_i8_e32 v46, v66, v91
	global_load_dword v90, v[52:53], off offset:4
	global_load_ushort v91, v[84:85], off offset:32
	global_load_dword v102, v[88:89], off
	v_lshl_add_u64 v[52:53], v[54:55], 0, v[44:45]
	global_load_ushort v111, v[84:85], off offset:34
	v_mul_lo_u32 v7, v64, v7
	v_mul_lo_u32 v46, v43, v46
	v_cvt_f32_i32_e32 v47, v46
	v_cvt_f32_i32_e32 v46, v7
	s_waitcnt vmcnt(6)
	v_cvt_f32_f16_e32 v6, v110
	s_waitcnt vmcnt(5)
	v_cvt_f32_f16_e32 v48, v48
	v_pk_fma_f32 v[0:1], v[6:7], v[46:47], v[0:1] op_sel_hi:[0,1,1]
	v_lshl_add_u64 v[6:7], v[62:63], 0, v[44:45]
	v_lshl_add_u64 v[46:47], v[62:63], 0, 36
	v_lshl_add_u64 v[46:47], v[46:47], 0, v[44:45]
	s_waitcnt vmcnt(3)
	v_dot4c_i32_i8_e32 v50, v92, v90
	v_dot4c_i32_i8_e32 v49, v101, v90
	global_load_ushort v110, v[82:83], off offset:34
	global_load_ushort v90, v[82:83], off offset:32
	global_load_dword v54, v[52:53], off offset:4
	global_load_ubyte v55, v[74:75], off offset:96
	v_mov_b32_e32 v101, v11
	s_waitcnt vmcnt(1)
	v_dot4c_i32_i8_e32 v67, v51, v54
	global_load_ubyte v51, v[76:77], off offset:104
	v_dot4c_i32_i8_e32 v93, v66, v54
	global_load_ubyte v52, v[56:57], off offset:96
	global_load_ubyte v53, v[78:79], off offset:96
	global_load_dword v54, v[6:7], off offset:4
	global_load_dword v66, v[86:87], off
	v_mul_lo_u32 v6, v113, v50
	v_mul_lo_u32 v7, v112, v49
	v_cvt_f32_i32_e32 v7, v7
	v_cvt_f32_i32_e32 v6, v6
	global_load_ubyte v50, v[70:71], off offset:104
	v_mul_lo_u32 v43, v43, v93
	v_pk_fma_f32 v[6:7], v[48:49], v[6:7], 0 op_sel_hi:[0,1,0]
	global_load_ubyte v48, v[80:81], off offset:104
	global_load_ubyte v49, v[68:69], off offset:104
	global_load_dword v92, v[46:47], off offset:4
	v_lshlrev_b32_e32 v46, 16, v111
	global_load_ubyte v47, v[72:73], off offset:96
	v_or_b32_e32 v113, v46, v91
	v_lshlrev_b32_e32 v46, 16, v110
	v_or_b32_e32 v112, v46, v90
	s_waitcnt vmcnt(10)
	v_bfe_u32 v46, v55, v96, 4
	v_ashrrev_i32_e32 v55, v95, v102
	v_not_b32_e32 v115, v55
	s_waitcnt vmcnt(8)
	v_bfe_u32 v52, v52, v98, 4
	v_lshrrev_b32_e32 v51, v97, v51
	s_waitcnt vmcnt(7)
	v_bfe_u32 v53, v53, v96, 4
	v_lshlrev_b32_e32 v51, 4, v51
	v_and_or_b32 v51, v51, 48, v46
	v_cvt_f32_f16_e32 v46, v65
	s_waitcnt vmcnt(5)
	v_ashrrev_i32_e32 v65, v95, v66
	v_not_b32_e32 v114, v65
	s_waitcnt vmcnt(4)
	v_lshrrev_b32_e32 v50, v99, v50
	v_lshlrev_b32_e32 v50, 4, v50
	v_lshlrev_b32_e32 v65, 2, v115
	v_and_or_b32 v50, v50, 48, v52
	s_waitcnt vmcnt(3)
	v_lshrrev_b32_e32 v48, v97, v48
	v_lshlrev_b32_e32 v48, 4, v48
	s_waitcnt vmcnt(2)
	v_lshrrev_b32_e32 v49, v99, v49
	v_and_or_b32 v53, v48, 48, v53
	v_mul_lo_u32 v48, v64, v67
	v_lshlrev_b32_e32 v55, 4, v49
	v_cvt_f32_i32_e32 v49, v43
	v_cvt_f32_i32_e32 v48, v48
	s_waitcnt vmcnt(0)
	v_bfe_u32 v47, v47, v98, 4
	v_bfe_u32 v64, v113, 24, 2
	v_and_b32_e32 v43, 0x3030303, v113
	v_pk_fma_f32 v[6:7], v[46:47], v[48:49], v[6:7] op_sel_hi:[0,1,1]
	v_lshlrev_b32_e32 v46, 2, v114
	v_bfe_u32 v48, v112, 24, 2
	v_and_b32_e32 v49, 0x3030303, v112
	v_and_or_b32 v52, v55, 48, v47
	v_and_b32_e32 v47, 0x4040404, v65
	v_and_b32_e32 v46, 0x4040404, v46
	v_sub_u16_sdwa v55, v64, v47 dst_sel:BYTE_1 dst_unused:UNUSED_PAD src0_sel:DWORD src1_sel:BYTE_3
	v_sub_u16_e32 v64, v43, v47
	v_sub_u16_sdwa v65, v43, v47 dst_sel:BYTE_1 dst_unused:UNUSED_PAD src0_sel:BYTE_1 src1_sel:BYTE_1
	v_sub_u16_sdwa v43, v43, v47 dst_sel:DWORD dst_unused:UNUSED_PAD src0_sel:WORD_1 src1_sel:WORD_1
	v_sub_u16_sdwa v47, v48, v46 dst_sel:BYTE_1 dst_unused:UNUSED_PAD src0_sel:DWORD src1_sel:BYTE_3
	v_sub_u16_e32 v48, v49, v46
	v_sub_u16_sdwa v66, v49, v46 dst_sel:BYTE_1 dst_unused:UNUSED_PAD src0_sel:BYTE_1 src1_sel:BYTE_1
	v_sub_u16_sdwa v49, v49, v46 dst_sel:DWORD dst_unused:UNUSED_PAD src0_sel:WORD_1 src1_sel:WORD_1
	global_load_dword v46, v[62:63], off
	v_or_b32_sdwa v64, v64, v65 dst_sel:DWORD dst_unused:UNUSED_PAD src0_sel:BYTE_0 src1_sel:DWORD
	v_or_b32_sdwa v43, v43, v55 dst_sel:WORD_1 dst_unused:UNUSED_PAD src0_sel:BYTE_0 src1_sel:DWORD
	v_or_b32_sdwa v48, v48, v66 dst_sel:DWORD dst_unused:UNUSED_PAD src0_sel:BYTE_0 src1_sel:DWORD
	v_or_b32_sdwa v47, v49, v47 dst_sel:WORD_1 dst_unused:UNUSED_PAD src0_sel:BYTE_0 src1_sel:DWORD
	v_mov_b32_e32 v67, v11
	v_or_b32_sdwa v43, v64, v43 dst_sel:DWORD dst_unused:UNUSED_PAD src0_sel:WORD_0 src1_sel:DWORD
	v_or_b32_sdwa v90, v48, v47 dst_sel:DWORD dst_unused:UNUSED_PAD src0_sel:WORD_0 src1_sel:DWORD
	v_subrev_u32_e32 v51, 32, v51
	v_subrev_u32_e32 v91, 32, v53
	v_dot4c_i32_i8_e32 v116, v43, v54
	v_dot4c_i32_i8_e32 v67, v90, v54
	v_lshrrev_b32_e32 v55, 2, v113
	v_lshlrev_b32_e32 v65, 1, v115
	v_mul_lo_u32 v47, v91, v116
	v_mul_lo_u32 v48, v51, v67
	v_cvt_f32_i32_e32 v49, v48
	v_cvt_f32_i32_e32 v48, v47
	v_lshrrev_b32_e32 v64, 2, v112
	v_lshlrev_b32_e32 v66, 1, v114
	v_and_b32_e32 v53, 0x3030303, v55
	v_bfe_u32 v47, v55, 24, 2
	v_and_b32_e32 v54, 0x4040404, v65
	v_sub_u16_sdwa v55, v47, v54 dst_sel:BYTE_1 dst_unused:UNUSED_PAD src0_sel:DWORD src1_sel:BYTE_3
	v_and_b32_e32 v65, 0x4040404, v66
	v_subrev_u32_e32 v102, 32, v50
	v_subrev_u32_e32 v103, 32, v52
	s_waitcnt vmcnt(0)
	v_cvt_f32_f16_e32 v46, v46
	v_pk_fma_f32 v[46:47], v[46:47], v[48:49], 0 op_sel_hi:[0,1,0]
	v_sub_u16_e32 v48, v53, v54
	v_sub_u16_sdwa v49, v53, v54 dst_sel:BYTE_1 dst_unused:UNUSED_PAD src0_sel:BYTE_1 src1_sel:BYTE_1
	v_sub_u16_sdwa v53, v53, v54 dst_sel:DWORD dst_unused:UNUSED_PAD src0_sel:WORD_1 src1_sel:WORD_1
	v_and_b32_e32 v54, 0x3030303, v64
	v_bfe_u32 v64, v64, 24, 2
	v_sub_u16_sdwa v64, v64, v65 dst_sel:BYTE_1 dst_unused:UNUSED_PAD src0_sel:DWORD src1_sel:BYTE_3
	v_sub_u16_e32 v66, v54, v65
	v_sub_u16_sdwa v67, v54, v65 dst_sel:BYTE_1 dst_unused:UNUSED_PAD src0_sel:BYTE_1 src1_sel:BYTE_1
	v_sub_u16_sdwa v54, v54, v65 dst_sel:DWORD dst_unused:UNUSED_PAD src0_sel:WORD_1 src1_sel:WORD_1
	v_or_b32_sdwa v48, v48, v49 dst_sel:DWORD dst_unused:UNUSED_PAD src0_sel:BYTE_0 src1_sel:DWORD
	v_or_b32_sdwa v49, v53, v55 dst_sel:WORD_1 dst_unused:UNUSED_PAD src0_sel:BYTE_0 src1_sel:DWORD
	v_or_b32_sdwa v55, v66, v67 dst_sel:DWORD dst_unused:UNUSED_PAD src0_sel:BYTE_0 src1_sel:DWORD
	v_or_b32_sdwa v54, v54, v64 dst_sel:WORD_1 dst_unused:UNUSED_PAD src0_sel:BYTE_0 src1_sel:DWORD
	v_mov_b32_e32 v53, v11
	v_or_b32_sdwa v54, v55, v54 dst_sel:DWORD dst_unused:UNUSED_PAD src0_sel:WORD_0 src1_sel:DWORD
	global_load_dword v55, v[62:63], off offset:36
	v_mov_b32_e32 v65, v11
	v_or_b32_sdwa v93, v48, v49 dst_sel:DWORD dst_unused:UNUSED_PAD src0_sel:WORD_0 src1_sel:DWORD
	v_dot4c_i32_i8_e32 v53, v93, v92
	v_dot4c_i32_i8_e32 v65, v54, v92
	v_add_u32_e32 v64, s27, v100
	v_mad_u64_u32 v[66:67], s[34:35], v64, 36, v[36:37]
	v_mul_lo_u32 v48, v103, v53
	v_mul_lo_u32 v49, v102, v65
	v_cvt_f32_i32_e32 v49, v49
	v_cvt_f32_i32_e32 v48, v48
	v_lshl_add_u64 v[64:65], v[2:3], 0, v[22:23]
	s_waitcnt vmcnt(0)
	v_cvt_f32_f16_e32 v50, v55
	v_mov_b32_e32 v55, v11
	v_pk_fma_f32 v[46:47], v[50:51], v[48:49], v[46:47] op_sel_hi:[0,1,1]
	v_lshl_add_u64 v[48:49], v[66:67], 0, v[44:45]
	global_load_dword v48, v[48:49], off offset:4
	v_mov_b32_e32 v50, v11
	s_waitcnt vmcnt(0)
	v_dot4c_i32_i8_e32 v101, v43, v48
	v_dot4c_i32_i8_e32 v50, v90, v48
	v_lshl_add_u64 v[48:49], v[66:67], 0, 36
	v_lshl_add_u64 v[48:49], v[48:49], 0, v[44:45]
	global_load_dword v52, v[48:49], off offset:4
	global_load_dword v90, v[66:67], off
	global_load_dword v92, v[66:67], off offset:36
	v_mov_b32_e32 v43, v11
	v_mul_lo_u32 v48, v91, v101
	v_mul_lo_u32 v49, v51, v50
	v_cvt_f32_i32_e32 v49, v49
	v_cvt_f32_i32_e32 v48, v48
	v_and_b32_e32 v101, 0x4040404, v109
	s_waitcnt vmcnt(2)
	v_dot4c_i32_i8_e32 v55, v93, v52
	v_dot4c_i32_i8_e32 v43, v54, v52
	s_nop 1
	v_mul_lo_u32 v54, v103, v55
	s_waitcnt vmcnt(1)
	v_cvt_f32_f16_e32 v50, v90
	v_cvt_f32_i32_e32 v54, v54
	v_mul_lo_u32 v43, v102, v43
	v_cvt_f32_i32_e32 v55, v43
	s_waitcnt vmcnt(0)
	v_cvt_f32_f16_e32 v90, v92
	v_lshl_add_u64 v[52:53], v[58:59], 0, s[16:17]
	v_pk_fma_f32 v[50:51], v[50:51], v[48:49], 0 op_sel_hi:[0,1,0]
	v_lshl_add_u64 v[48:49], v[2:3], 0, v[26:27]
	v_pk_fma_f32 v[54:55], v[90:91], v[54:55], v[50:51] op_sel_hi:[0,1,1]
	v_lshl_add_u64 v[50:51], v[4:5], 0, v[22:23]
	v_lshl_add_u64 v[52:53], v[52:53], 0, v[44:45]
	global_load_ubyte v43, v[64:65], off offset:96
	global_load_ubyte v90, v[48:49], off offset:104
	global_load_dword v91, v[52:53], off offset:4
	global_load_ubyte v92, v[50:51], off offset:96
	s_waitcnt vmcnt(3)
	v_bfe_u32 v43, v43, v9, 4
	s_waitcnt vmcnt(2)
	v_lshrrev_b32_e32 v52, v21, v90
	v_lshlrev_b32_e32 v52, 4, v52
	v_and_or_b32 v43, v52, 48, v43
	v_lshl_add_u64 v[52:53], v[4:5], 0, v[26:27]
	s_waitcnt vmcnt(0)
	v_bfe_u32 v90, v92, v20, 4
	global_load_ubyte v92, v[52:53], off offset:104
	v_subrev_u32_e32 v43, 32, v43
	s_waitcnt vmcnt(0)
	v_lshrrev_b32_e32 v92, v24, v92
	v_lshlrev_b32_e32 v92, 4, v92
	v_and_or_b32 v90, v92, 48, v90
	v_lshrrev_b32_e32 v92, 4, v108
	v_and_b32_e32 v93, 0x3030303, v92
	v_bfe_u32 v92, v92, 24, 2
	v_sub_u16_sdwa v92, v92, v101 dst_sel:BYTE_1 dst_unused:UNUSED_PAD src0_sel:DWORD src1_sel:BYTE_3
	v_sub_u16_e32 v102, v93, v101
	v_sub_u16_sdwa v103, v93, v101 dst_sel:BYTE_1 dst_unused:UNUSED_PAD src0_sel:BYTE_1 src1_sel:BYTE_1
	v_sub_u16_sdwa v93, v93, v101 dst_sel:DWORD dst_unused:UNUSED_PAD src0_sel:WORD_1 src1_sel:WORD_1
	v_or_b32_sdwa v102, v102, v103 dst_sel:DWORD dst_unused:UNUSED_PAD src0_sel:BYTE_0 src1_sel:DWORD
	v_or_b32_sdwa v92, v93, v92 dst_sel:WORD_1 dst_unused:UNUSED_PAD src0_sel:BYTE_0 src1_sel:DWORD
	v_subrev_u32_e32 v103, 32, v90
	v_or_b32_sdwa v102, v102, v92 dst_sel:DWORD dst_unused:UNUSED_PAD src0_sel:WORD_0 src1_sel:DWORD
	v_mov_b32_e32 v92, v11
	v_dot4c_i32_i8_e32 v92, v102, v91
	v_lshrrev_b32_e32 v101, 4, v106
	v_and_b32_e32 v116, 0x3030303, v101
	v_bfe_u32 v101, v101, 24, 2
	v_mul_lo_u32 v90, v103, v92
	global_load_dword v92, v[58:59], off offset:72
	v_sub_u16_sdwa v101, v101, v117 dst_sel:BYTE_1 dst_unused:UNUSED_PAD src0_sel:DWORD src1_sel:BYTE_3
	v_sub_u16_e32 v118, v116, v117
	v_sub_u16_sdwa v119, v116, v117 dst_sel:BYTE_1 dst_unused:UNUSED_PAD src0_sel:BYTE_1 src1_sel:BYTE_1
	v_sub_u16_sdwa v116, v116, v117 dst_sel:DWORD dst_unused:UNUSED_PAD src0_sel:WORD_1 src1_sel:WORD_1
	v_or_b32_sdwa v93, v118, v119 dst_sel:DWORD dst_unused:UNUSED_PAD src0_sel:BYTE_0 src1_sel:DWORD
	v_or_b32_sdwa v101, v116, v101 dst_sel:WORD_1 dst_unused:UNUSED_PAD src0_sel:BYTE_0 src1_sel:DWORD
	v_cvt_f32_i32_e32 v90, v90
	v_or_b32_sdwa v101, v93, v101 dst_sel:DWORD dst_unused:UNUSED_PAD src0_sel:WORD_0 src1_sel:DWORD
	v_mov_b32_e32 v93, v11
	v_dot4c_i32_i8_e32 v93, v101, v91
	v_and_b32_e32 v117, 0x4040404, v114
	s_waitcnt vmcnt(0)
	v_cvt_f32_f16_e32 v92, v92
	v_mul_lo_u32 v91, v43, v93
	v_cvt_f32_i32_e32 v91, v91
	v_pk_fma_f32 v[92:93], v[92:93], v[90:91], v[0:1] op_sel_hi:[0,1,1]
	v_lshl_add_u64 v[0:1], v[60:61], 0, s[16:17]
	v_lshl_add_u64 v[0:1], v[0:1], 0, v[44:45]
	global_load_dword v0, v[0:1], off offset:4
	v_mov_b32_e32 v1, v11
	v_mov_b32_e32 v90, v11
	s_waitcnt vmcnt(0)
	v_dot4c_i32_i8_e32 v1, v102, v0
	v_dot4c_i32_i8_e32 v90, v101, v0
	s_nop 1
	v_mul_lo_u32 v0, v103, v1
	v_cvt_f32_i32_e32 v0, v0
	v_and_b32_e32 v101, 0x4040404, v115
	v_mul_lo_u32 v1, v43, v90
	global_load_dword v43, v[60:61], off offset:72
	v_cvt_f32_i32_e32 v1, v1
	s_waitcnt vmcnt(0)
	v_cvt_f32_f16_e32 v90, v43
	v_pk_fma_f32 v[0:1], v[90:91], v[0:1], v[6:7] op_sel_hi:[0,1,1]
	v_lshl_add_u64 v[6:7], v[62:63], 0, s[16:17]
	v_lshl_add_u64 v[6:7], v[6:7], 0, v[44:45]
	global_load_dword v43, v[6:7], off offset:4
	global_load_ubyte v90, v[64:65], off offset:96
	s_waitcnt vmcnt(0)
	v_bfe_u32 v6, v90, v9, 4
	global_load_ubyte v7, v[48:49], off offset:104
	global_load_ubyte v90, v[52:53], off offset:104
	s_waitcnt vmcnt(1)
	v_lshrrev_b32_e32 v7, v21, v7
	v_lshlrev_b32_e32 v7, 4, v7
	v_and_or_b32 v6, v7, 48, v6
	global_load_ubyte v7, v[50:51], off offset:96
	s_waitcnt vmcnt(1)
	v_lshrrev_b32_e32 v90, v24, v90
	v_lshlrev_b32_e32 v90, 4, v90
	s_waitcnt vmcnt(0)
	v_bfe_u32 v7, v7, v20, 4
	v_and_or_b32 v7, v90, 48, v7
	v_lshrrev_b32_e32 v90, 4, v113
	v_and_b32_e32 v91, 0x3030303, v90
	v_bfe_u32 v90, v90, 24, 2
	v_sub_u16_sdwa v90, v90, v101 dst_sel:BYTE_1 dst_unused:UNUSED_PAD src0_sel:DWORD src1_sel:BYTE_3
	v_sub_u16_e32 v102, v91, v101
	v_sub_u16_sdwa v103, v91, v101 dst_sel:BYTE_1 dst_unused:UNUSED_PAD src0_sel:BYTE_1 src1_sel:BYTE_1
	v_sub_u16_sdwa v91, v91, v101 dst_sel:DWORD dst_unused:UNUSED_PAD src0_sel:WORD_1 src1_sel:WORD_1
	v_lshrrev_b32_e32 v101, 4, v112
	v_and_b32_e32 v116, 0x3030303, v101
	v_bfe_u32 v101, v101, 24, 2
	v_sub_u16_sdwa v101, v101, v117 dst_sel:BYTE_1 dst_unused:UNUSED_PAD src0_sel:DWORD src1_sel:BYTE_3
	v_sub_u16_e32 v118, v116, v117
	v_sub_u16_sdwa v119, v116, v117 dst_sel:BYTE_1 dst_unused:UNUSED_PAD src0_sel:BYTE_1 src1_sel:BYTE_1
	v_sub_u16_sdwa v116, v116, v117 dst_sel:DWORD dst_unused:UNUSED_PAD src0_sel:WORD_1 src1_sel:WORD_1
	v_or_b32_sdwa v102, v102, v103 dst_sel:DWORD dst_unused:UNUSED_PAD src0_sel:BYTE_0 src1_sel:DWORD
	v_or_b32_sdwa v90, v91, v90 dst_sel:WORD_1 dst_unused:UNUSED_PAD src0_sel:BYTE_0 src1_sel:DWORD
	v_or_b32_sdwa v91, v118, v119 dst_sel:DWORD dst_unused:UNUSED_PAD src0_sel:BYTE_0 src1_sel:DWORD
	v_or_b32_sdwa v101, v116, v101 dst_sel:WORD_1 dst_unused:UNUSED_PAD src0_sel:BYTE_0 src1_sel:DWORD
	v_or_b32_sdwa v102, v102, v90 dst_sel:DWORD dst_unused:UNUSED_PAD src0_sel:WORD_0 src1_sel:DWORD
	v_mov_b32_e32 v90, v11
	v_or_b32_sdwa v91, v91, v101 dst_sel:DWORD dst_unused:UNUSED_PAD src0_sel:WORD_0 src1_sel:DWORD
	v_dot4c_i32_i8_e32 v90, v102, v43
	v_mov_b32_e32 v101, v11
	v_subrev_u32_e32 v103, 32, v7
	v_dot4c_i32_i8_e32 v101, v91, v43
	v_subrev_u32_e32 v43, 32, v6
	v_mul_lo_u32 v6, v103, v90
	global_load_dword v90, v[62:63], off offset:72
	v_mul_lo_u32 v7, v43, v101
	v_cvt_f32_i32_e32 v7, v7
	v_cvt_f32_i32_e32 v6, v6
	s_waitcnt vmcnt(0)
	v_cvt_f32_f16_e32 v90, v90
	v_pk_fma_f32 v[6:7], v[90:91], v[6:7], v[46:47] op_sel_hi:[0,1,1]
	v_lshl_add_u64 v[46:47], v[66:67], 0, s[16:17]
	v_lshl_add_u64 v[46:47], v[46:47], 0, v[44:45]
	global_load_dword v46, v[46:47], off offset:4
	v_mov_b32_e32 v90, v11
	v_mov_b32_e32 v47, v11
	s_waitcnt vmcnt(0)
	v_dot4c_i32_i8_e32 v90, v91, v46
	v_dot4c_i32_i8_e32 v47, v102, v46
	s_nop 1
	v_mul_lo_u32 v43, v43, v90
	v_mul_lo_u32 v46, v103, v47
	v_cvt_f32_i32_e32 v47, v43
	global_load_dword v43, v[66:67], off offset:72
	v_cvt_f32_i32_e32 v46, v46
	s_waitcnt vmcnt(0)
	v_cvt_f32_f16_e32 v90, v43
	v_add_u32_e32 v43, s9, v100
	v_pk_fma_f32 v[46:47], v[90:91], v[46:47], v[54:55] op_sel_hi:[0,1,1]
	v_mad_u64_u32 v[90:91], s[34:35], v43, 36, v[36:37]
	v_lshl_add_u64 v[54:55], v[90:91], 0, v[44:45]
	global_load_dword v43, v[54:55], off offset:4
	global_load_ushort v116, v[88:89], off
	global_load_ushort v101, v[88:89], off offset:2
	global_load_ushort v120, v[84:85], off offset:34
	;; [unrolled: 1-line block ×3, first 2 shown]
	s_waitcnt vmcnt(2)
	v_lshl_or_b32 v54, v101, 16, v116
	v_ashrrev_i32_e32 v54, v95, v54
	s_waitcnt vmcnt(1)
	v_lshlrev_b32_e32 v55, 16, v120
	v_not_b32_e32 v121, v54
	s_waitcnt vmcnt(0)
	v_or_b32_e32 v122, v55, v117
	v_lshlrev_b32_e32 v54, 2, v121
	v_and_b32_e32 v54, 0x4040404, v54
	v_bfe_u32 v55, v122, 24, 2
	v_and_b32_e32 v101, 0x3030303, v122
	v_sub_u16_sdwa v55, v55, v54 dst_sel:BYTE_1 dst_unused:UNUSED_PAD src0_sel:DWORD src1_sel:BYTE_3
	v_sub_u16_e32 v102, v101, v54
	v_sub_u16_sdwa v103, v101, v54 dst_sel:BYTE_1 dst_unused:UNUSED_PAD src0_sel:BYTE_1 src1_sel:BYTE_1
	v_sub_u16_sdwa v54, v101, v54 dst_sel:DWORD dst_unused:UNUSED_PAD src0_sel:WORD_1 src1_sel:WORD_1
	global_load_ushort v118, v[86:87], off
	global_load_ushort v101, v[86:87], off offset:2
	global_load_ushort v123, v[82:83], off offset:34
	global_load_ushort v119, v[82:83], off offset:32
	v_or_b32_sdwa v102, v102, v103 dst_sel:DWORD dst_unused:UNUSED_PAD src0_sel:BYTE_0 src1_sel:DWORD
	v_or_b32_sdwa v54, v54, v55 dst_sel:WORD_1 dst_unused:UNUSED_PAD src0_sel:BYTE_0 src1_sel:DWORD
	v_mov_b32_e32 v103, v11
	v_or_b32_sdwa v54, v102, v54 dst_sel:DWORD dst_unused:UNUSED_PAD src0_sel:WORD_0 src1_sel:DWORD
	v_dot4c_i32_i8_e32 v103, v54, v43
	s_waitcnt vmcnt(2)
	v_lshl_or_b32 v101, v101, 16, v118
	v_ashrrev_i32_e32 v101, v95, v101
	s_waitcnt vmcnt(1)
	v_lshlrev_b32_e32 v124, 16, v123
	s_waitcnt vmcnt(0)
	v_or_b32_e32 v125, v124, v119
	v_not_b32_e32 v124, v101
	v_lshlrev_b32_e32 v101, 2, v124
	v_and_b32_e32 v101, 0x4040404, v101
	v_bfe_u32 v126, v125, 24, 2
	v_and_b32_e32 v127, 0x3030303, v125
	v_sub_u16_sdwa v126, v126, v101 dst_sel:BYTE_1 dst_unused:UNUSED_PAD src0_sel:DWORD src1_sel:BYTE_3
	v_sub_u16_e32 v128, v127, v101
	v_sub_u16_sdwa v129, v127, v101 dst_sel:BYTE_1 dst_unused:UNUSED_PAD src0_sel:BYTE_1 src1_sel:BYTE_1
	v_sub_u16_sdwa v101, v127, v101 dst_sel:DWORD dst_unused:UNUSED_PAD src0_sel:WORD_1 src1_sel:WORD_1
	v_or_b32_sdwa v55, v128, v129 dst_sel:DWORD dst_unused:UNUSED_PAD src0_sel:BYTE_0 src1_sel:DWORD
	v_or_b32_sdwa v101, v101, v126 dst_sel:WORD_1 dst_unused:UNUSED_PAD src0_sel:BYTE_0 src1_sel:DWORD
	v_mov_b32_e32 v126, v11
	v_or_b32_sdwa v55, v55, v101 dst_sel:DWORD dst_unused:UNUSED_PAD src0_sel:WORD_0 src1_sel:DWORD
	v_dot4c_i32_i8_e32 v126, v55, v43
	v_lshl_add_u64 v[54:55], v[90:91], 0, 36
	v_lshl_add_u64 v[54:55], v[54:55], 0, v[44:45]
	global_load_dword v43, v[54:55], off offset:4
	v_lshrrev_b32_e32 v54, 2, v122
	v_lshlrev_b32_e32 v101, 1, v121
	v_and_b32_e32 v55, 0x3030303, v54
	v_bfe_u32 v54, v54, 24, 2
	v_and_b32_e32 v101, 0x4040404, v101
	v_sub_u16_sdwa v54, v54, v101 dst_sel:BYTE_1 dst_unused:UNUSED_PAD src0_sel:DWORD src1_sel:BYTE_3
	v_sub_u16_e32 v102, v55, v101
	v_sub_u16_sdwa v127, v55, v101 dst_sel:BYTE_1 dst_unused:UNUSED_PAD src0_sel:BYTE_1 src1_sel:BYTE_1
	v_sub_u16_sdwa v55, v55, v101 dst_sel:DWORD dst_unused:UNUSED_PAD src0_sel:WORD_1 src1_sel:WORD_1
	v_lshrrev_b32_e32 v101, 2, v125
	v_lshlrev_b32_e32 v129, 1, v124
	v_and_b32_e32 v128, 0x3030303, v101
	v_bfe_u32 v101, v101, 24, 2
	v_and_b32_e32 v129, 0x4040404, v129
	v_sub_u16_sdwa v101, v101, v129 dst_sel:BYTE_1 dst_unused:UNUSED_PAD src0_sel:DWORD src1_sel:BYTE_3
	v_sub_u16_e32 v130, v128, v129
	v_sub_u16_sdwa v131, v128, v129 dst_sel:BYTE_1 dst_unused:UNUSED_PAD src0_sel:BYTE_1 src1_sel:BYTE_1
	v_sub_u16_sdwa v128, v128, v129 dst_sel:DWORD dst_unused:UNUSED_PAD src0_sel:WORD_1 src1_sel:WORD_1
	v_or_b32_sdwa v102, v102, v127 dst_sel:DWORD dst_unused:UNUSED_PAD src0_sel:BYTE_0 src1_sel:DWORD
	v_or_b32_sdwa v54, v55, v54 dst_sel:WORD_1 dst_unused:UNUSED_PAD src0_sel:BYTE_0 src1_sel:DWORD
	v_or_b32_sdwa v55, v130, v131 dst_sel:DWORD dst_unused:UNUSED_PAD src0_sel:BYTE_0 src1_sel:DWORD
	v_or_b32_sdwa v101, v128, v101 dst_sel:WORD_1 dst_unused:UNUSED_PAD src0_sel:BYTE_0 src1_sel:DWORD
	v_or_b32_sdwa v54, v102, v54 dst_sel:DWORD dst_unused:UNUSED_PAD src0_sel:WORD_0 src1_sel:DWORD
	v_or_b32_sdwa v55, v55, v101 dst_sel:DWORD dst_unused:UNUSED_PAD src0_sel:WORD_0 src1_sel:DWORD
	v_mov_b32_e32 v127, v11
	v_mov_b32_e32 v128, v11
	s_waitcnt vmcnt(0)
	v_dot4c_i32_i8_e32 v127, v54, v43
	v_dot4c_i32_i8_e32 v128, v55, v43
	global_load_ubyte v43, v[74:75], off offset:96
	global_load_ubyte v54, v[76:77], off offset:104
	;; [unrolled: 1-line block ×3, first 2 shown]
	s_waitcnt vmcnt(2)
	v_bfe_u32 v43, v43, v96, 4
	s_waitcnt vmcnt(1)
	v_lshrrev_b32_e32 v54, v97, v54
	v_lshlrev_b32_e32 v54, 4, v54
	v_and_or_b32 v43, v54, 48, v43
	global_load_ubyte v54, v[78:79], off offset:96
	s_waitcnt vmcnt(1)
	v_lshrrev_b32_e32 v55, v97, v55
	v_lshlrev_b32_e32 v55, 4, v55
	v_subrev_u32_e32 v101, 32, v43
	s_waitcnt vmcnt(0)
	v_bfe_u32 v54, v54, v96, 4
	v_and_or_b32 v54, v55, 48, v54
	v_subrev_u32_e32 v102, 32, v54
	v_mul_lo_u32 v43, v102, v103
	v_mul_lo_u32 v54, v101, v126
	v_cvt_f32_i32_e32 v55, v54
	v_cvt_f32_i32_e32 v54, v43
	global_load_dword v43, v[90:91], off
	global_load_ubyte v103, v[56:57], off offset:96
	s_waitcnt vmcnt(1)
	v_cvt_f32_f16_e32 v126, v43
	global_load_ubyte v43, v[70:71], off offset:104
	s_waitcnt vmcnt(1)
	v_bfe_u32 v103, v103, v98, 4
	v_pk_fma_f32 v[54:55], v[126:127], v[54:55], 0 op_sel_hi:[0,1,0]
	global_load_ubyte v126, v[72:73], off offset:96
	s_waitcnt vmcnt(1)
	v_lshrrev_b32_e32 v43, v99, v43
	v_lshlrev_b32_e32 v43, 4, v43
	v_and_or_b32 v43, v43, 48, v103
	global_load_ubyte v103, v[68:69], off offset:104
	s_waitcnt vmcnt(1)
	v_bfe_u32 v126, v126, v98, 4
	v_subrev_u32_e32 v43, 32, v43
	s_waitcnt vmcnt(0)
	v_lshrrev_b32_e32 v103, v99, v103
	v_lshlrev_b32_e32 v103, 4, v103
	v_and_or_b32 v103, v103, 48, v126
	v_subrev_u32_e32 v103, 32, v103
	v_mul_lo_u32 v126, v103, v127
	v_mul_lo_u32 v127, v43, v128
	global_load_dword v128, v[90:91], off offset:36
	v_cvt_f32_i32_e32 v127, v127
	v_cvt_f32_i32_e32 v126, v126
	s_waitcnt vmcnt(0)
	v_cvt_f32_f16_e32 v128, v128
	v_pk_fma_f32 v[54:55], v[128:129], v[126:127], v[54:55] op_sel_hi:[0,1,1]
	global_load_dword v130, v[88:89], off
	s_nop 0
	global_load_ushort v88, v[88:89], off offset:2
	s_nop 0
	global_load_ushort v89, v[84:85], off offset:34
	global_load_dword v129, v[84:85], off offset:32
                                        ; kill: killed $vgpr84_vgpr85
	global_load_dword v131, v[86:87], off
	global_load_ushort v126, v[86:87], off offset:2
                                        ; kill: killed $vgpr86_vgpr87
	s_nop 0
	global_load_ushort v86, v[82:83], off offset:34
	global_load_dword v128, v[82:83], off offset:32
	v_add_u32_e32 v82, s28, v100
	v_mad_u64_u32 v[82:83], s[34:35], v82, 36, v[36:37]
	v_lshl_add_u64 v[84:85], v[82:83], 0, v[44:45]
	global_load_dword v84, v[84:85], off offset:4
	v_add_u32_e32 v100, 32, v100
	s_waitcnt vmcnt(7)
	v_perm_b32 v85, v130, v88, s30
	v_ashrrev_i32_e32 v85, v95, v85
	v_not_b32_e32 v88, v85
	s_waitcnt vmcnt(5)
	v_perm_b32 v89, v129, v89, s30
	v_lshlrev_b32_e32 v85, 2, v88
	v_and_b32_e32 v85, 0x4040404, v85
	v_bfe_u32 v87, v89, 24, 2
	v_and_b32_e32 v127, 0x3030303, v89
	s_waitcnt vmcnt(3)
	v_perm_b32 v126, v131, v126, s30
	v_sub_u16_sdwa v87, v87, v85 dst_sel:BYTE_1 dst_unused:UNUSED_PAD src0_sel:DWORD src1_sel:BYTE_3
	v_sub_u16_e32 v132, v127, v85
	v_sub_u16_sdwa v133, v127, v85 dst_sel:BYTE_1 dst_unused:UNUSED_PAD src0_sel:BYTE_1 src1_sel:BYTE_1
	v_sub_u16_sdwa v85, v127, v85 dst_sel:DWORD dst_unused:UNUSED_PAD src0_sel:WORD_1 src1_sel:WORD_1
	s_waitcnt vmcnt(1)
	v_perm_b32 v127, v128, v86, s30
	v_ashrrev_i32_e32 v86, v95, v126
	v_not_b32_e32 v126, v86
	v_lshlrev_b32_e32 v86, 2, v126
	v_and_b32_e32 v86, 0x4040404, v86
	v_bfe_u32 v134, v127, 24, 2
	v_and_b32_e32 v135, 0x3030303, v127
	v_sub_u16_sdwa v134, v134, v86 dst_sel:BYTE_1 dst_unused:UNUSED_PAD src0_sel:DWORD src1_sel:BYTE_3
	v_sub_u16_e32 v136, v135, v86
	v_sub_u16_sdwa v137, v135, v86 dst_sel:BYTE_1 dst_unused:UNUSED_PAD src0_sel:BYTE_1 src1_sel:BYTE_1
	v_sub_u16_sdwa v86, v135, v86 dst_sel:DWORD dst_unused:UNUSED_PAD src0_sel:WORD_1 src1_sel:WORD_1
	v_or_b32_sdwa v132, v132, v133 dst_sel:DWORD dst_unused:UNUSED_PAD src0_sel:BYTE_0 src1_sel:DWORD
	v_or_b32_sdwa v85, v85, v87 dst_sel:WORD_1 dst_unused:UNUSED_PAD src0_sel:BYTE_0 src1_sel:DWORD
	v_or_b32_sdwa v87, v136, v137 dst_sel:DWORD dst_unused:UNUSED_PAD src0_sel:BYTE_0 src1_sel:DWORD
	v_or_b32_sdwa v86, v86, v134 dst_sel:WORD_1 dst_unused:UNUSED_PAD src0_sel:BYTE_0 src1_sel:DWORD
	v_or_b32_sdwa v85, v132, v85 dst_sel:DWORD dst_unused:UNUSED_PAD src0_sel:WORD_0 src1_sel:DWORD
	v_or_b32_sdwa v86, v87, v86 dst_sel:DWORD dst_unused:UNUSED_PAD src0_sel:WORD_0 src1_sel:DWORD
	v_mov_b32_e32 v87, v11
	v_mov_b32_e32 v132, v11
	s_waitcnt vmcnt(0)
	v_dot4c_i32_i8_e32 v87, v85, v84
	v_dot4c_i32_i8_e32 v132, v86, v84
	v_lshl_add_u64 v[84:85], v[82:83], 0, 36
	v_lshl_add_u64 v[84:85], v[84:85], 0, v[44:45]
	global_load_dword v84, v[84:85], off offset:4
	s_nop 0
	global_load_ubyte v74, v[74:75], off offset:96
	s_nop 0
	global_load_ubyte v75, v[76:77], off offset:104
	;; [unrolled: 2-line block ×3, first 2 shown]
	global_load_ubyte v77, v[80:81], off offset:104
	v_lshrrev_b32_e32 v85, 2, v89
	v_lshlrev_b32_e32 v133, 1, v88
	v_and_b32_e32 v86, 0x3030303, v85
	v_bfe_u32 v85, v85, 24, 2
	v_and_b32_e32 v133, 0x4040404, v133
	v_sub_u16_sdwa v85, v85, v133 dst_sel:BYTE_1 dst_unused:UNUSED_PAD src0_sel:DWORD src1_sel:BYTE_3
	v_sub_u16_e32 v134, v86, v133
	v_sub_u16_sdwa v135, v86, v133 dst_sel:BYTE_1 dst_unused:UNUSED_PAD src0_sel:BYTE_1 src1_sel:BYTE_1
	v_sub_u16_sdwa v86, v86, v133 dst_sel:DWORD dst_unused:UNUSED_PAD src0_sel:WORD_1 src1_sel:WORD_1
	v_lshrrev_b32_e32 v133, 2, v127
	v_lshlrev_b32_e32 v137, 1, v126
	v_and_b32_e32 v136, 0x3030303, v133
	v_bfe_u32 v133, v133, 24, 2
	v_and_b32_e32 v137, 0x4040404, v137
	v_sub_u16_sdwa v133, v133, v137 dst_sel:BYTE_1 dst_unused:UNUSED_PAD src0_sel:DWORD src1_sel:BYTE_3
	v_sub_u16_e32 v138, v136, v137
	v_sub_u16_sdwa v139, v136, v137 dst_sel:BYTE_1 dst_unused:UNUSED_PAD src0_sel:BYTE_1 src1_sel:BYTE_1
	v_sub_u16_sdwa v136, v136, v137 dst_sel:DWORD dst_unused:UNUSED_PAD src0_sel:WORD_1 src1_sel:WORD_1
	v_or_b32_sdwa v134, v134, v135 dst_sel:DWORD dst_unused:UNUSED_PAD src0_sel:BYTE_0 src1_sel:DWORD
	v_or_b32_sdwa v85, v86, v85 dst_sel:WORD_1 dst_unused:UNUSED_PAD src0_sel:BYTE_0 src1_sel:DWORD
	v_or_b32_sdwa v86, v138, v139 dst_sel:DWORD dst_unused:UNUSED_PAD src0_sel:BYTE_0 src1_sel:DWORD
	v_or_b32_sdwa v133, v136, v133 dst_sel:WORD_1 dst_unused:UNUSED_PAD src0_sel:BYTE_0 src1_sel:DWORD
	v_or_b32_sdwa v85, v134, v85 dst_sel:DWORD dst_unused:UNUSED_PAD src0_sel:WORD_0 src1_sel:DWORD
	v_or_b32_sdwa v86, v86, v133 dst_sel:DWORD dst_unused:UNUSED_PAD src0_sel:WORD_0 src1_sel:DWORD
	v_mov_b32_e32 v133, v11
	v_lshrrev_b32_e32 v80, 1, v109
	v_and_b32_e32 v80, 0x4040404, v80
	s_waitcnt vmcnt(3)
	v_bfe_u32 v74, v74, v96, 4
	s_waitcnt vmcnt(2)
	v_lshrrev_b32_e32 v75, v97, v75
	v_lshlrev_b32_e32 v75, 4, v75
	v_and_or_b32 v74, v75, 48, v74
	s_waitcnt vmcnt(1)
	v_bfe_u32 v75, v76, v96, 4
	s_waitcnt vmcnt(0)
	v_lshrrev_b32_e32 v76, v97, v77
	v_lshlrev_b32_e32 v76, 4, v76
	v_and_or_b32 v75, v76, 48, v75
	v_subrev_u32_e32 v75, 32, v75
	v_subrev_u32_e32 v74, 32, v74
	v_mul_lo_u32 v76, v75, v87
	v_mul_lo_u32 v74, v74, v132
	v_cvt_f32_i32_e32 v75, v74
	v_cvt_f32_i32_e32 v74, v76
	global_load_dword v76, v[82:83], off
	v_dot4c_i32_i8_e32 v133, v85, v84
	v_mov_b32_e32 v85, v11
	v_dot4c_i32_i8_e32 v85, v86, v84
	v_lshrrev_b32_e32 v86, 1, v107
	v_and_b32_e32 v86, 0x4040404, v86
	v_and_b32_e32 v107, 0x4040404, v124
	s_waitcnt vmcnt(0)
	v_cvt_f32_f16_e32 v76, v76
	v_pk_fma_f32 v[74:75], v[76:77], v[74:75], 0 op_sel_hi:[0,1,0]
	global_load_ubyte v76, v[70:71], off offset:104
	global_load_ubyte v77, v[56:57], off offset:96
	;; [unrolled: 1-line block ×4, first 2 shown]
	s_waitcnt vmcnt(3)
	v_lshrrev_b32_e32 v56, v99, v76
	s_waitcnt vmcnt(2)
	v_bfe_u32 v57, v77, v98, 4
	v_lshlrev_b32_e32 v56, 4, v56
	v_and_or_b32 v56, v56, 48, v57
	s_waitcnt vmcnt(1)
	v_lshrrev_b32_e32 v57, v99, v78
	s_waitcnt vmcnt(0)
	v_bfe_u32 v68, v79, v98, 4
	v_lshlrev_b32_e32 v57, 4, v57
	v_and_or_b32 v57, v57, 48, v68
	v_subrev_u32_e32 v57, 32, v57
	v_subrev_u32_e32 v56, 32, v56
	v_mul_lo_u32 v68, v57, v133
	v_mul_lo_u32 v56, v56, v85
	v_cvt_f32_i32_e32 v57, v56
	v_cvt_f32_i32_e32 v56, v68
	global_load_dword v68, v[82:83], off offset:36
	global_load_dword v78, v[58:59], off offset:108
	v_lshl_add_u64 v[58:59], v[58:59], 0, s[22:23]
	v_lshl_add_u64 v[58:59], v[58:59], 0, v[44:45]
	global_load_dword v58, v[58:59], off offset:4
	v_lshrrev_b32_e32 v79, 6, v108
	v_and_b32_e32 v79, 0x3030303, v79
	v_lshrrev_b32_e32 v85, 6, v106
	v_sub_u16_e32 v81, v79, v80
	v_sub_u16_sdwa v84, v79, v80 dst_sel:BYTE_1 dst_unused:UNUSED_PAD src0_sel:BYTE_1 src1_sel:BYTE_1
	v_sub_u16_sdwa v79, v79, v80 dst_sel:DWORD dst_unused:UNUSED_PAD src0_sel:WORD_1 src1_sel:WORD_1
	v_and_b32_e32 v85, 0x3030303, v85
	v_sub_u16_e32 v87, v85, v86
	v_or_b32_sdwa v81, v81, v84 dst_sel:DWORD dst_unused:UNUSED_PAD src0_sel:BYTE_0 src1_sel:DWORD
	s_waitcnt vmcnt(2)
	v_cvt_f32_f16_e32 v68, v68
	s_waitcnt vmcnt(1)
	v_cvt_f32_f16_e32 v78, v78
	v_pk_fma_f32 v[56:57], v[68:69], v[56:57], v[74:75] op_sel_hi:[0,1,1]
	v_lshl_add_u64 v[74:75], v[2:3], 0, v[30:31]
	v_lshl_add_u64 v[68:69], v[2:3], 0, v[34:35]
	global_load_ubyte v59, v[74:75], off offset:96
	global_load_ubyte v70, v[68:69], off offset:104
	s_waitcnt vmcnt(1)
	v_bfe_u32 v59, v59, v25, 4
	s_waitcnt vmcnt(0)
	v_lshrrev_b32_e32 v70, v29, v70
	v_lshlrev_b32_e32 v70, 4, v70
	v_and_or_b32 v59, v70, 48, v59
	v_lshl_add_u64 v[70:71], v[4:5], 0, v[30:31]
	global_load_ubyte v72, v[70:71], off offset:96
	s_waitcnt vmcnt(0)
	v_bfe_u32 v76, v72, v28, 4
	v_lshl_add_u64 v[72:73], v[4:5], 0, v[34:35]
	global_load_ubyte v77, v[72:73], off offset:104
	s_waitcnt vmcnt(0)
	v_lshrrev_b32_e32 v77, v32, v77
	v_lshlrev_b32_e32 v77, 4, v77
	v_and_or_b32 v77, v77, 48, v76
	v_bfe_u32 v76, v105, 14, 2
	v_sub_u16_sdwa v76, v76, v80 dst_sel:BYTE_1 dst_unused:UNUSED_PAD src0_sel:DWORD src1_sel:BYTE_3
	v_bfe_u32 v80, v104, 14, 2
	v_sub_u16_sdwa v80, v80, v86 dst_sel:BYTE_1 dst_unused:UNUSED_PAD src0_sel:DWORD src1_sel:BYTE_3
	v_sub_u16_sdwa v104, v85, v86 dst_sel:BYTE_1 dst_unused:UNUSED_PAD src0_sel:BYTE_1 src1_sel:BYTE_1
	v_sub_u16_sdwa v85, v85, v86 dst_sel:DWORD dst_unused:UNUSED_PAD src0_sel:WORD_1 src1_sel:WORD_1
	v_or_b32_sdwa v76, v79, v76 dst_sel:WORD_1 dst_unused:UNUSED_PAD src0_sel:BYTE_0 src1_sel:DWORD
	v_or_b32_sdwa v79, v87, v104 dst_sel:DWORD dst_unused:UNUSED_PAD src0_sel:BYTE_0 src1_sel:DWORD
	v_or_b32_sdwa v80, v85, v80 dst_sel:WORD_1 dst_unused:UNUSED_PAD src0_sel:BYTE_0 src1_sel:DWORD
	v_or_b32_sdwa v81, v81, v76 dst_sel:DWORD dst_unused:UNUSED_PAD src0_sel:WORD_0 src1_sel:DWORD
	v_or_b32_sdwa v84, v79, v80 dst_sel:DWORD dst_unused:UNUSED_PAD src0_sel:WORD_0 src1_sel:DWORD
	v_mov_b32_e32 v79, v11
	v_mov_b32_e32 v80, v11
	v_dot4c_i32_i8_e32 v79, v81, v58
	v_dot4c_i32_i8_e32 v80, v84, v58
	v_subrev_u32_e32 v76, 32, v59
	v_subrev_u32_e32 v77, 32, v77
	v_mul_lo_u32 v58, v77, v79
	v_mul_lo_u32 v59, v76, v80
	v_cvt_f32_i32_e32 v59, v59
	v_cvt_f32_i32_e32 v58, v58
	v_mov_b32_e32 v80, v11
	v_lshrrev_b32_e32 v86, 1, v115
	v_and_b32_e32 v86, 0x4040404, v86
	v_pk_fma_f32 v[58:59], v[78:79], v[58:59], v[92:93] op_sel_hi:[0,1,1]
	v_lshl_add_u64 v[78:79], v[60:61], 0, s[22:23]
	v_lshl_add_u64 v[78:79], v[78:79], 0, v[44:45]
	global_load_dword v78, v[78:79], off offset:4
	v_lshrrev_b32_e32 v93, 6, v112
	v_lshrrev_b32_e32 v104, 1, v114
	v_and_b32_e32 v93, 0x3030303, v93
	v_and_b32_e32 v104, 0x4040404, v104
	v_sub_u16_e32 v105, v93, v104
	v_sub_u16_sdwa v106, v93, v104 dst_sel:BYTE_1 dst_unused:UNUSED_PAD src0_sel:BYTE_1 src1_sel:BYTE_1
	v_sub_u16_sdwa v93, v93, v104 dst_sel:DWORD dst_unused:UNUSED_PAD src0_sel:WORD_1 src1_sel:WORD_1
	v_and_b32_e32 v115, 0xffff0000, v129
	s_waitcnt vmcnt(0)
	v_dot4c_i32_i8_e32 v80, v81, v78
	v_mov_b32_e32 v81, v11
	v_dot4c_i32_i8_e32 v81, v84, v78
	v_lshl_add_u64 v[78:79], v[62:63], 0, s[22:23]
	v_lshl_add_u64 v[78:79], v[78:79], 0, v[44:45]
	global_load_dword v85, v[78:79], off offset:4
	v_lshl_add_u64 v[78:79], v[66:67], 0, s[22:23]
	v_lshl_add_u64 v[78:79], v[78:79], 0, v[44:45]
	global_load_dword v78, v[78:79], off offset:4
	v_lshrrev_b32_e32 v84, 6, v113
	v_bfe_u32 v79, v111, 14, 2
	v_and_b32_e32 v84, 0x3030303, v84
	v_sub_u16_sdwa v79, v79, v86 dst_sel:BYTE_1 dst_unused:UNUSED_PAD src0_sel:DWORD src1_sel:BYTE_3
	v_sub_u16_e32 v87, v84, v86
	v_sub_u16_sdwa v92, v84, v86 dst_sel:BYTE_1 dst_unused:UNUSED_PAD src0_sel:BYTE_1 src1_sel:BYTE_1
	v_sub_u16_sdwa v84, v84, v86 dst_sel:DWORD dst_unused:UNUSED_PAD src0_sel:WORD_1 src1_sel:WORD_1
	v_bfe_u32 v86, v110, 14, 2
	v_sub_u16_sdwa v86, v86, v104 dst_sel:BYTE_1 dst_unused:UNUSED_PAD src0_sel:DWORD src1_sel:BYTE_3
	v_or_b32_sdwa v87, v87, v92 dst_sel:DWORD dst_unused:UNUSED_PAD src0_sel:BYTE_0 src1_sel:DWORD
	v_or_b32_sdwa v79, v84, v79 dst_sel:WORD_1 dst_unused:UNUSED_PAD src0_sel:BYTE_0 src1_sel:DWORD
	v_or_b32_sdwa v84, v105, v106 dst_sel:DWORD dst_unused:UNUSED_PAD src0_sel:BYTE_0 src1_sel:DWORD
	v_or_b32_sdwa v86, v93, v86 dst_sel:WORD_1 dst_unused:UNUSED_PAD src0_sel:BYTE_0 src1_sel:DWORD
	v_or_b32_sdwa v79, v87, v79 dst_sel:DWORD dst_unused:UNUSED_PAD src0_sel:WORD_0 src1_sel:DWORD
	v_or_b32_sdwa v92, v84, v86 dst_sel:DWORD dst_unused:UNUSED_PAD src0_sel:WORD_0 src1_sel:DWORD
	v_mov_b32_e32 v86, v11
	v_mov_b32_e32 v84, v11
	;; [unrolled: 1-line block ×3, first 2 shown]
	v_and_b32_e32 v93, 0x4040404, v121
	v_lshrrev_b32_e32 v113, 1, v124
	v_and_b32_e32 v113, 0x4040404, v113
	s_waitcnt vmcnt(1)
	v_dot4c_i32_i8_e32 v86, v79, v85
	v_dot4c_i32_i8_e32 v84, v92, v85
	v_mov_b32_e32 v85, v11
	s_waitcnt vmcnt(0)
	v_dot4c_i32_i8_e32 v87, v79, v78
	v_dot4c_i32_i8_e32 v85, v92, v78
	v_lshl_add_u64 v[78:79], v[90:91], 0, s[16:17]
	v_lshl_add_u64 v[78:79], v[78:79], 0, v[44:45]
	global_load_dword v78, v[78:79], off offset:4
	v_lshrrev_b32_e32 v79, 4, v122
	v_and_b32_e32 v92, 0x3030303, v79
	v_bfe_u32 v79, v79, 24, 2
	v_sub_u16_sdwa v79, v79, v93 dst_sel:BYTE_1 dst_unused:UNUSED_PAD src0_sel:DWORD src1_sel:BYTE_3
	v_sub_u16_e32 v104, v92, v93
	v_sub_u16_sdwa v105, v92, v93 dst_sel:BYTE_1 dst_unused:UNUSED_PAD src0_sel:BYTE_1 src1_sel:BYTE_1
	v_sub_u16_sdwa v92, v92, v93 dst_sel:DWORD dst_unused:UNUSED_PAD src0_sel:WORD_1 src1_sel:WORD_1
	v_lshrrev_b32_e32 v93, 4, v125
	v_and_b32_e32 v106, 0x3030303, v93
	v_bfe_u32 v93, v93, 24, 2
	v_sub_u16_sdwa v93, v93, v107 dst_sel:BYTE_1 dst_unused:UNUSED_PAD src0_sel:DWORD src1_sel:BYTE_3
	v_sub_u16_e32 v108, v106, v107
	v_sub_u16_sdwa v109, v106, v107 dst_sel:BYTE_1 dst_unused:UNUSED_PAD src0_sel:BYTE_1 src1_sel:BYTE_1
	v_sub_u16_sdwa v106, v106, v107 dst_sel:DWORD dst_unused:UNUSED_PAD src0_sel:WORD_1 src1_sel:WORD_1
	v_or_b32_sdwa v104, v104, v105 dst_sel:DWORD dst_unused:UNUSED_PAD src0_sel:BYTE_0 src1_sel:DWORD
	v_or_b32_sdwa v79, v92, v79 dst_sel:WORD_1 dst_unused:UNUSED_PAD src0_sel:BYTE_0 src1_sel:DWORD
	v_or_b32_sdwa v92, v108, v109 dst_sel:DWORD dst_unused:UNUSED_PAD src0_sel:BYTE_0 src1_sel:DWORD
	v_or_b32_sdwa v93, v106, v93 dst_sel:WORD_1 dst_unused:UNUSED_PAD src0_sel:BYTE_0 src1_sel:DWORD
	v_or_b32_sdwa v79, v104, v79 dst_sel:DWORD dst_unused:UNUSED_PAD src0_sel:WORD_0 src1_sel:DWORD
	v_or_b32_sdwa v104, v92, v93 dst_sel:DWORD dst_unused:UNUSED_PAD src0_sel:WORD_0 src1_sel:DWORD
	v_mov_b32_e32 v92, v11
	v_mov_b32_e32 v93, v11
	v_and_b32_e32 v105, 0x4040404, v88
	v_and_b32_e32 v109, 0x4040404, v126
	v_lshrrev_b32_e32 v88, 1, v88
	v_and_b32_e32 v88, 0x4040404, v88
	s_waitcnt vmcnt(0)
	v_dot4c_i32_i8_e32 v92, v79, v78
	v_dot4c_i32_i8_e32 v93, v104, v78
	v_lshl_add_u64 v[78:79], v[82:83], 0, s[16:17]
	v_lshl_add_u64 v[78:79], v[78:79], 0, v[44:45]
	global_load_dword v78, v[78:79], off offset:4
	v_lshrrev_b32_e32 v79, 4, v89
	v_and_b32_e32 v104, 0x3030303, v79
	v_bfe_u32 v79, v79, 24, 2
	v_sub_u16_sdwa v79, v79, v105 dst_sel:BYTE_1 dst_unused:UNUSED_PAD src0_sel:DWORD src1_sel:BYTE_3
	v_sub_u16_e32 v106, v104, v105
	v_sub_u16_sdwa v107, v104, v105 dst_sel:BYTE_1 dst_unused:UNUSED_PAD src0_sel:BYTE_1 src1_sel:BYTE_1
	v_sub_u16_sdwa v104, v104, v105 dst_sel:DWORD dst_unused:UNUSED_PAD src0_sel:WORD_1 src1_sel:WORD_1
	v_lshrrev_b32_e32 v105, 4, v127
	v_and_b32_e32 v108, 0x3030303, v105
	v_bfe_u32 v105, v105, 24, 2
	v_sub_u16_sdwa v105, v105, v109 dst_sel:BYTE_1 dst_unused:UNUSED_PAD src0_sel:DWORD src1_sel:BYTE_3
	v_sub_u16_e32 v110, v108, v109
	v_sub_u16_sdwa v111, v108, v109 dst_sel:BYTE_1 dst_unused:UNUSED_PAD src0_sel:BYTE_1 src1_sel:BYTE_1
	v_sub_u16_sdwa v108, v108, v109 dst_sel:DWORD dst_unused:UNUSED_PAD src0_sel:WORD_1 src1_sel:WORD_1
	v_or_b32_sdwa v106, v106, v107 dst_sel:DWORD dst_unused:UNUSED_PAD src0_sel:BYTE_0 src1_sel:DWORD
	v_or_b32_sdwa v79, v104, v79 dst_sel:WORD_1 dst_unused:UNUSED_PAD src0_sel:BYTE_0 src1_sel:DWORD
	v_or_b32_sdwa v104, v110, v111 dst_sel:DWORD dst_unused:UNUSED_PAD src0_sel:BYTE_0 src1_sel:DWORD
	v_or_b32_sdwa v105, v108, v105 dst_sel:WORD_1 dst_unused:UNUSED_PAD src0_sel:BYTE_0 src1_sel:DWORD
	v_or_b32_sdwa v79, v106, v79 dst_sel:DWORD dst_unused:UNUSED_PAD src0_sel:WORD_0 src1_sel:DWORD
	v_or_b32_sdwa v104, v104, v105 dst_sel:DWORD dst_unused:UNUSED_PAD src0_sel:WORD_0 src1_sel:DWORD
	v_mov_b32_e32 v107, v11
	v_mov_b32_e32 v105, v11
	s_waitcnt vmcnt(0)
	v_dot4c_i32_i8_e32 v107, v79, v78
	v_dot4c_i32_i8_e32 v105, v104, v78
	v_and_b32_e32 v78, 0xffff0000, v130
	v_or_b32_e32 v78, v78, v116
	v_and_b32_e32 v79, 0xffff0000, v131
	v_or_b32_e32 v79, v79, v118
	v_or_b32_e32 v116, v115, v117
	v_ashrrev_i32_e32 v78, v95, v78
	v_and_b32_e32 v118, 0xffff0000, v128
	v_not_b32_e32 v114, v78
	v_lshrrev_b32_e32 v78, 4, v116
	v_or_b32_e32 v119, v118, v119
	v_ashrrev_i32_e32 v79, v95, v79
	v_and_b32_e32 v104, 0x3030303, v78
	v_bfe_u32 v78, v78, 24, 2
	v_and_b32_e32 v106, 0x4040404, v114
	v_not_b32_e32 v117, v79
	v_lshrrev_b32_e32 v79, 4, v119
	v_sub_u16_sdwa v78, v78, v106 dst_sel:BYTE_1 dst_unused:UNUSED_PAD src0_sel:DWORD src1_sel:BYTE_3
	v_sub_u16_e32 v108, v104, v106
	v_sub_u16_sdwa v109, v104, v106 dst_sel:BYTE_1 dst_unused:UNUSED_PAD src0_sel:BYTE_1 src1_sel:BYTE_1
	v_sub_u16_sdwa v104, v104, v106 dst_sel:DWORD dst_unused:UNUSED_PAD src0_sel:WORD_1 src1_sel:WORD_1
	v_and_b32_e32 v106, 0x3030303, v79
	v_bfe_u32 v79, v79, 24, 2
	v_and_b32_e32 v110, 0x4040404, v117
	v_sub_u16_sdwa v79, v79, v110 dst_sel:BYTE_1 dst_unused:UNUSED_PAD src0_sel:DWORD src1_sel:BYTE_3
	v_sub_u16_e32 v111, v106, v110
	v_sub_u16_sdwa v112, v106, v110 dst_sel:BYTE_1 dst_unused:UNUSED_PAD src0_sel:BYTE_1 src1_sel:BYTE_1
	v_sub_u16_sdwa v106, v106, v110 dst_sel:DWORD dst_unused:UNUSED_PAD src0_sel:WORD_1 src1_sel:WORD_1
	v_or_b32_sdwa v78, v104, v78 dst_sel:WORD_1 dst_unused:UNUSED_PAD src0_sel:BYTE_0 src1_sel:DWORD
	v_or_b32_sdwa v104, v111, v112 dst_sel:DWORD dst_unused:UNUSED_PAD src0_sel:BYTE_0 src1_sel:DWORD
	v_or_b32_sdwa v79, v106, v79 dst_sel:WORD_1 dst_unused:UNUSED_PAD src0_sel:BYTE_0 src1_sel:DWORD
	v_lshl_add_u64 v[128:129], v[40:41], 0, v[38:39]
	v_or_b32_sdwa v79, v104, v79 dst_sel:DWORD dst_unused:UNUSED_PAD src0_sel:WORD_0 src1_sel:DWORD
	global_load_dword v104, v[128:129], off offset:76
	v_or_b32_sdwa v108, v108, v109 dst_sel:DWORD dst_unused:UNUSED_PAD src0_sel:BYTE_0 src1_sel:DWORD
	v_or_b32_sdwa v78, v108, v78 dst_sel:DWORD dst_unused:UNUSED_PAD src0_sel:WORD_0 src1_sel:DWORD
	v_mov_b32_e32 v110, v11
	v_mov_b32_e32 v106, v11
	v_lshrrev_b32_e32 v108, 1, v121
	v_and_b32_e32 v108, 0x4040404, v108
	v_lshrrev_b32_e32 v112, 6, v125
	v_and_b32_e32 v112, 0x3030303, v112
	v_sub_u16_sdwa v121, v112, v113 dst_sel:BYTE_1 dst_unused:UNUSED_PAD src0_sel:BYTE_1 src1_sel:BYTE_1
	s_waitcnt vmcnt(0)
	v_dot4c_i32_i8_e32 v110, v78, v104
	v_dot4c_i32_i8_e32 v106, v79, v104
	v_lshl_add_u64 v[78:79], v[90:91], 0, s[22:23]
	v_lshl_add_u64 v[78:79], v[78:79], 0, v[44:45]
	global_load_dword v104, v[78:79], off offset:4
	v_lshrrev_b32_e32 v79, 6, v122
	v_bfe_u32 v78, v120, 14, 2
	v_and_b32_e32 v79, 0x3030303, v79
	v_sub_u16_e32 v109, v79, v108
	v_sub_u16_sdwa v111, v79, v108 dst_sel:BYTE_1 dst_unused:UNUSED_PAD src0_sel:BYTE_1 src1_sel:BYTE_1
	v_sub_u16_sdwa v79, v79, v108 dst_sel:DWORD dst_unused:UNUSED_PAD src0_sel:WORD_1 src1_sel:WORD_1
	v_sub_u16_sdwa v78, v78, v108 dst_sel:BYTE_1 dst_unused:UNUSED_PAD src0_sel:DWORD src1_sel:BYTE_3
	v_bfe_u32 v108, v123, 14, 2
	v_sub_u16_e32 v120, v112, v113
	v_sub_u16_sdwa v112, v112, v113 dst_sel:DWORD dst_unused:UNUSED_PAD src0_sel:WORD_1 src1_sel:WORD_1
	v_sub_u16_sdwa v108, v108, v113 dst_sel:BYTE_1 dst_unused:UNUSED_PAD src0_sel:DWORD src1_sel:BYTE_3
	v_or_b32_sdwa v109, v109, v111 dst_sel:DWORD dst_unused:UNUSED_PAD src0_sel:BYTE_0 src1_sel:DWORD
	v_or_b32_sdwa v78, v79, v78 dst_sel:WORD_1 dst_unused:UNUSED_PAD src0_sel:BYTE_0 src1_sel:DWORD
	v_or_b32_sdwa v79, v120, v121 dst_sel:DWORD dst_unused:UNUSED_PAD src0_sel:BYTE_0 src1_sel:DWORD
	v_or_b32_sdwa v108, v112, v108 dst_sel:WORD_1 dst_unused:UNUSED_PAD src0_sel:BYTE_0 src1_sel:DWORD
	v_or_b32_sdwa v109, v109, v78 dst_sel:DWORD dst_unused:UNUSED_PAD src0_sel:WORD_0 src1_sel:DWORD
	v_or_b32_sdwa v108, v79, v108 dst_sel:DWORD dst_unused:UNUSED_PAD src0_sel:WORD_0 src1_sel:DWORD
	v_mov_b32_e32 v78, v11
	v_mov_b32_e32 v79, v11
	v_lshrrev_b32_e32 v112, 1, v126
	v_lshrrev_b32_e32 v111, 30, v127
	v_and_b32_e32 v112, 0x4040404, v112
	v_sub_u16_sdwa v111, v111, v112 dst_sel:BYTE_1 dst_unused:UNUSED_PAD src0_sel:DWORD src1_sel:BYTE_3
	s_waitcnt vmcnt(0)
	v_dot4c_i32_i8_e32 v78, v109, v104
	v_dot4c_i32_i8_e32 v79, v108, v104
	v_lshl_add_u64 v[108:109], v[82:83], 0, s[22:23]
	v_lshl_add_u64 v[108:109], v[108:109], 0, v[44:45]
	global_load_dword v45, v[108:109], off offset:4
	v_lshrrev_b32_e32 v104, 6, v89
	v_lshrrev_b32_e32 v89, 30, v89
	v_and_b32_e32 v104, 0x3030303, v104
	v_sub_u16_sdwa v89, v89, v88 dst_sel:BYTE_1 dst_unused:UNUSED_PAD src0_sel:DWORD src1_sel:BYTE_3
	v_sub_u16_e32 v108, v104, v88
	v_sub_u16_sdwa v109, v104, v88 dst_sel:BYTE_1 dst_unused:UNUSED_PAD src0_sel:BYTE_1 src1_sel:BYTE_1
	v_sub_u16_sdwa v88, v104, v88 dst_sel:DWORD dst_unused:UNUSED_PAD src0_sel:WORD_1 src1_sel:WORD_1
	v_lshrrev_b32_e32 v104, 6, v127
	v_and_b32_e32 v104, 0x3030303, v104
	v_sub_u16_e32 v113, v104, v112
	v_sub_u16_sdwa v120, v104, v112 dst_sel:BYTE_1 dst_unused:UNUSED_PAD src0_sel:BYTE_1 src1_sel:BYTE_1
	v_sub_u16_sdwa v104, v104, v112 dst_sel:DWORD dst_unused:UNUSED_PAD src0_sel:WORD_1 src1_sel:WORD_1
	v_or_b32_sdwa v108, v108, v109 dst_sel:DWORD dst_unused:UNUSED_PAD src0_sel:BYTE_0 src1_sel:DWORD
	v_or_b32_sdwa v88, v88, v89 dst_sel:WORD_1 dst_unused:UNUSED_PAD src0_sel:BYTE_0 src1_sel:DWORD
	v_or_b32_sdwa v89, v113, v120 dst_sel:DWORD dst_unused:UNUSED_PAD src0_sel:BYTE_0 src1_sel:DWORD
	v_or_b32_sdwa v104, v104, v111 dst_sel:WORD_1 dst_unused:UNUSED_PAD src0_sel:BYTE_0 src1_sel:DWORD
	v_or_b32_sdwa v88, v108, v88 dst_sel:DWORD dst_unused:UNUSED_PAD src0_sel:WORD_0 src1_sel:DWORD
	v_or_b32_sdwa v89, v89, v104 dst_sel:DWORD dst_unused:UNUSED_PAD src0_sel:WORD_0 src1_sel:DWORD
	v_mov_b32_e32 v109, v11
	v_mov_b32_e32 v108, v11
	v_bfe_u32 v112, v119, 24, 2
	v_and_b32_e32 v113, 0x3030303, v119
	s_waitcnt vmcnt(0)
	v_dot4c_i32_i8_e32 v109, v88, v45
	v_dot4c_i32_i8_e32 v108, v89, v45
	v_lshlrev_b32_e32 v45, 2, v114
	v_and_b32_e32 v45, 0x4040404, v45
	v_bfe_u32 v88, v116, 24, 2
	v_and_b32_e32 v89, 0x3030303, v116
	v_sub_u16_sdwa v88, v88, v45 dst_sel:BYTE_1 dst_unused:UNUSED_PAD src0_sel:DWORD src1_sel:BYTE_3
	v_sub_u16_e32 v104, v89, v45
	v_sub_u16_sdwa v111, v89, v45 dst_sel:BYTE_1 dst_unused:UNUSED_PAD src0_sel:BYTE_1 src1_sel:BYTE_1
	v_sub_u16_sdwa v45, v89, v45 dst_sel:DWORD dst_unused:UNUSED_PAD src0_sel:WORD_1 src1_sel:WORD_1
	v_lshlrev_b32_e32 v89, 2, v117
	v_and_b32_e32 v89, 0x4040404, v89
	v_sub_u16_sdwa v112, v112, v89 dst_sel:BYTE_1 dst_unused:UNUSED_PAD src0_sel:DWORD src1_sel:BYTE_3
	v_sub_u16_e32 v120, v113, v89
	v_sub_u16_sdwa v121, v113, v89 dst_sel:BYTE_1 dst_unused:UNUSED_PAD src0_sel:BYTE_1 src1_sel:BYTE_1
	v_sub_u16_sdwa v89, v113, v89 dst_sel:DWORD dst_unused:UNUSED_PAD src0_sel:WORD_1 src1_sel:WORD_1
	v_or_b32_sdwa v45, v45, v88 dst_sel:WORD_1 dst_unused:UNUSED_PAD src0_sel:BYTE_0 src1_sel:DWORD
	v_or_b32_sdwa v88, v120, v121 dst_sel:DWORD dst_unused:UNUSED_PAD src0_sel:BYTE_0 src1_sel:DWORD
	v_or_b32_sdwa v89, v89, v112 dst_sel:WORD_1 dst_unused:UNUSED_PAD src0_sel:BYTE_0 src1_sel:DWORD
	v_or_b32_sdwa v104, v104, v111 dst_sel:DWORD dst_unused:UNUSED_PAD src0_sel:BYTE_0 src1_sel:DWORD
	v_or_b32_sdwa v88, v88, v89 dst_sel:DWORD dst_unused:UNUSED_PAD src0_sel:WORD_0 src1_sel:DWORD
	global_load_dword v89, v[128:129], off offset:4
	v_or_b32_sdwa v45, v104, v45 dst_sel:DWORD dst_unused:UNUSED_PAD src0_sel:WORD_0 src1_sel:DWORD
	v_mov_b32_e32 v112, v11
	v_mov_b32_e32 v111, v11
	v_lshlrev_b32_e32 v121, 1, v117
	v_and_b32_e32 v121, 0x4040404, v121
	s_waitcnt vmcnt(0)
	v_dot4c_i32_i8_e32 v112, v45, v89
	v_dot4c_i32_i8_e32 v111, v88, v89
	v_lshrrev_b32_e32 v45, 2, v116
	v_lshlrev_b32_e32 v89, 1, v114
	v_and_b32_e32 v88, 0x3030303, v45
	v_bfe_u32 v45, v45, 24, 2
	v_and_b32_e32 v89, 0x4040404, v89
	v_sub_u16_sdwa v45, v45, v89 dst_sel:BYTE_1 dst_unused:UNUSED_PAD src0_sel:DWORD src1_sel:BYTE_3
	v_sub_u16_e32 v104, v88, v89
	v_sub_u16_sdwa v113, v88, v89 dst_sel:BYTE_1 dst_unused:UNUSED_PAD src0_sel:BYTE_1 src1_sel:BYTE_1
	v_sub_u16_sdwa v88, v88, v89 dst_sel:DWORD dst_unused:UNUSED_PAD src0_sel:WORD_1 src1_sel:WORD_1
	v_or_b32_sdwa v104, v104, v113 dst_sel:DWORD dst_unused:UNUSED_PAD src0_sel:BYTE_0 src1_sel:DWORD
	v_or_b32_sdwa v45, v88, v45 dst_sel:WORD_1 dst_unused:UNUSED_PAD src0_sel:BYTE_0 src1_sel:DWORD
	v_lshrrev_b32_e32 v89, 2, v119
	v_or_b32_sdwa v45, v104, v45 dst_sel:DWORD dst_unused:UNUSED_PAD src0_sel:WORD_0 src1_sel:DWORD
	global_load_dword v104, v[128:129], off offset:40
	v_and_b32_e32 v120, 0x3030303, v89
	v_bfe_u32 v89, v89, 24, 2
	v_sub_u16_sdwa v89, v89, v121 dst_sel:BYTE_1 dst_unused:UNUSED_PAD src0_sel:DWORD src1_sel:BYTE_3
	v_sub_u16_e32 v122, v120, v121
	v_sub_u16_sdwa v123, v120, v121 dst_sel:BYTE_1 dst_unused:UNUSED_PAD src0_sel:BYTE_1 src1_sel:BYTE_1
	v_sub_u16_sdwa v120, v120, v121 dst_sel:DWORD dst_unused:UNUSED_PAD src0_sel:WORD_1 src1_sel:WORD_1
	v_or_b32_sdwa v88, v122, v123 dst_sel:DWORD dst_unused:UNUSED_PAD src0_sel:BYTE_0 src1_sel:DWORD
	v_or_b32_sdwa v89, v120, v89 dst_sel:WORD_1 dst_unused:UNUSED_PAD src0_sel:BYTE_0 src1_sel:DWORD
	v_mov_b32_e32 v113, v11
	v_or_b32_sdwa v88, v88, v89 dst_sel:DWORD dst_unused:UNUSED_PAD src0_sel:WORD_0 src1_sel:DWORD
	v_mov_b32_e32 v89, v11
	s_waitcnt vmcnt(0)
	v_dot4c_i32_i8_e32 v113, v45, v104
	v_dot4c_i32_i8_e32 v89, v88, v104
	global_load_dword v120, v[128:129], off offset:112
	global_load_dword v123, v[60:61], off offset:108
	;; [unrolled: 1-line block ×6, first 2 shown]
	global_load_ushort v126, v[2:3], off offset:108
	global_load_ushort v125, v[2:3], off offset:108
	;; [unrolled: 1-line block ×3, first 2 shown]
                                        ; kill: killed $vgpr60_vgpr61
                                        ; kill: killed $vgpr62_vgpr63
                                        ; kill: killed $vgpr128_vgpr129
                                        ; kill: killed $vgpr90_vgpr91
                                        ; kill: killed $vgpr66_vgpr67
	global_load_ushort v61, v[2:3], off offset:108
	global_load_ushort v66, v[4:5], off offset:108
	;; [unrolled: 1-line block ×5, first 2 shown]
	global_load_dword v45, v[82:83], off offset:108
	global_load_dword v90, v[82:83], off offset:72
	global_load_ubyte v67, v[64:65], off offset:96
	global_load_ubyte v127, v[64:65], off offset:96
	global_load_ubyte v91, v[48:49], off offset:104
                                        ; kill: killed $vgpr82_vgpr83
                                        ; kill: killed $vgpr4_vgpr5
                                        ; kill: killed $vgpr64_vgpr65
                                        ; kill: killed $vgpr2_vgpr3
	global_load_ubyte v2, v[48:49], off offset:104
	global_load_ubyte v3, v[50:51], off offset:96
	;; [unrolled: 1-line block ×8, first 2 shown]
                                        ; kill: killed $vgpr48_vgpr49
                                        ; kill: killed $vgpr74_vgpr75
                                        ; kill: killed $vgpr52_vgpr53
                                        ; kill: killed $vgpr50_vgpr51
	s_nop 0
	global_load_ubyte v74, v[68:69], off offset:104
	global_load_ubyte v75, v[68:69], off offset:104
	;; [unrolled: 1-line block ×8, first 2 shown]
                                        ; kill: killed $vgpr68_vgpr69
                                        ; kill: killed $vgpr70_vgpr71
	global_load_ubyte v68, v[72:73], off offset:104
	v_lshrrev_b32_e32 v69, 6, v119
	v_lshrrev_b32_e32 v70, 1, v117
	v_and_b32_e32 v69, 0x3030303, v69
	v_and_b32_e32 v70, 0x4040404, v70
	v_sub_u16_e32 v71, v69, v70
	v_sub_u16_sdwa v72, v69, v70 dst_sel:BYTE_1 dst_unused:UNUSED_PAD src0_sel:BYTE_1 src1_sel:BYTE_1
	v_sub_u16_sdwa v69, v69, v70 dst_sel:DWORD dst_unused:UNUSED_PAD src0_sel:WORD_1 src1_sel:WORD_1
	v_mul_lo_u32 v43, v43, v89
	s_waitcnt vmcnt(31)
	v_cvt_f32_f16_e32 v88, v88
	s_waitcnt vmcnt(29)
	v_cvt_f32_f16_e32 v53, v126
	s_waitcnt vmcnt(28)
	v_cvt_f32_f16_e32 v51, v125
	s_waitcnt vmcnt(26)
	v_cvt_f32_f16_e32 v49, v61
	v_cvt_f32_f16_e32 v61, v124
	s_waitcnt vmcnt(24)
	v_cvt_f32_f16_e32 v50, v63
	v_cvt_f32_f16_e32 v52, v66
	s_waitcnt vmcnt(22)
	v_cvt_f32_f16_e32 v48, v62
	;; [unrolled: 3-line block ×3, first 2 shown]
	s_waitcnt vmcnt(16)
	v_lshrrev_b32_e32 v2, v21, v2
	v_lshlrev_b32_e32 v2, 4, v2
	s_waitcnt vmcnt(11)
	v_bfe_u32 v62, v65, v25, 4
	s_waitcnt vmcnt(8)
	v_lshrrev_b32_e32 v63, v29, v74
	v_lshlrev_b32_e32 v63, 4, v63
	v_and_or_b32 v62, v63, 48, v62
	s_waitcnt vmcnt(5)
	v_bfe_u32 v63, v129, v28, 4
	v_subrev_u32_e32 v62, 32, v62
	v_mul_lo_u32 v73, v62, v85
	s_waitcnt vmcnt(2)
	v_lshrrev_b32_e32 v65, v32, v132
	v_lshlrev_b32_e32 v65, 4, v65
	v_and_or_b32 v63, v65, 48, v63
	v_bfe_u32 v65, v127, v9, 4
	v_and_or_b32 v65, v2, 48, v65
	v_bfe_u32 v2, v4, v20, 4
	v_lshrrev_b32_e32 v4, v24, v64
	v_lshlrev_b32_e32 v4, 4, v4
	v_and_or_b32 v64, v4, 48, v2
	v_lshrrev_b32_e32 v4, v29, v128
	v_bfe_u32 v2, v83, v25, 4
	v_lshlrev_b32_e32 v4, 4, v4
	v_and_or_b32 v83, v4, 48, v2
	s_waitcnt vmcnt(1)
	v_lshrrev_b32_e32 v4, v32, v133
	v_bfe_u32 v2, v131, v28, 4
	v_lshlrev_b32_e32 v4, 4, v4
	v_and_or_b32 v124, v4, 48, v2
	v_lshrrev_b32_e32 v4, v21, v91
	v_bfe_u32 v2, v67, v9, 4
	v_lshlrev_b32_e32 v4, 4, v4
	v_and_or_b32 v66, v4, 48, v2
	v_bfe_u32 v2, v3, v20, 4
	v_lshrrev_b32_e32 v3, v24, v5
	v_lshlrev_b32_e32 v3, 4, v3
	v_lshrrev_b32_e32 v4, v29, v75
	v_and_or_b32 v2, v3, 48, v2
	v_bfe_u32 v3, v82, v25, 4
	v_lshlrev_b32_e32 v4, 4, v4
	v_and_or_b32 v82, v4, 48, v3
	s_waitcnt vmcnt(0)
	v_lshrrev_b32_e32 v4, v32, v68
	v_bfe_u32 v3, v130, v28, 4
	v_lshlrev_b32_e32 v4, 4, v4
	v_and_or_b32 v91, v4, 48, v3
	v_lshrrev_b32_e32 v4, 6, v116
	v_lshrrev_b32_e32 v5, 1, v114
	;; [unrolled: 1-line block ×3, first 2 shown]
	v_and_b32_e32 v4, 0x3030303, v4
	v_and_b32_e32 v5, 0x4040404, v5
	v_sub_u16_e32 v67, v4, v5
	v_sub_u16_sdwa v68, v4, v5 dst_sel:BYTE_1 dst_unused:UNUSED_PAD src0_sel:BYTE_1 src1_sel:BYTE_1
	v_sub_u16_sdwa v4, v4, v5 dst_sel:DWORD dst_unused:UNUSED_PAD src0_sel:WORD_1 src1_sel:WORD_1
	v_sub_u16_sdwa v3, v3, v5 dst_sel:BYTE_1 dst_unused:UNUSED_PAD src0_sel:DWORD src1_sel:BYTE_3
	v_lshrrev_b32_e32 v5, 30, v118
	v_sub_u16_sdwa v5, v5, v70 dst_sel:BYTE_1 dst_unused:UNUSED_PAD src0_sel:DWORD src1_sel:BYTE_3
	v_or_b32_sdwa v67, v67, v68 dst_sel:DWORD dst_unused:UNUSED_PAD src0_sel:BYTE_0 src1_sel:DWORD
	v_or_b32_sdwa v3, v4, v3 dst_sel:WORD_1 dst_unused:UNUSED_PAD src0_sel:BYTE_0 src1_sel:DWORD
	v_or_b32_sdwa v4, v71, v72 dst_sel:DWORD dst_unused:UNUSED_PAD src0_sel:BYTE_0 src1_sel:DWORD
	v_or_b32_sdwa v5, v69, v5 dst_sel:WORD_1 dst_unused:UNUSED_PAD src0_sel:BYTE_0 src1_sel:DWORD
	v_mul_lo_u32 v68, v77, v80
	v_mul_lo_u32 v69, v76, v81
	v_subrev_u32_e32 v2, 32, v2
	v_or_b32_sdwa v74, v67, v3 dst_sel:DWORD dst_unused:UNUSED_PAD src0_sel:WORD_0 src1_sel:DWORD
	v_or_b32_sdwa v75, v4, v5 dst_sel:DWORD dst_unused:UNUSED_PAD src0_sel:WORD_0 src1_sel:DWORD
	v_mul_lo_u32 v80, v2, v107
	v_cvt_f32_i32_e32 v3, v69
	v_cvt_f32_i32_e32 v2, v68
	v_cvt_f32_f16_e32 v4, v123
	v_subrev_u32_e32 v63, 32, v63
	global_load_dword v76, v[40:41], off
	global_load_dword v77, v[40:41], off offset:36
	global_load_dword v81, v[40:41], off offset:72
	v_mul_lo_u32 v70, v63, v86
	v_subrev_u32_e32 v86, 32, v64
	v_mul_lo_u32 v71, v63, v87
	v_mul_lo_u32 v72, v62, v84
	global_load_dword v84, v[40:41], off offset:108
	v_pk_fma_f32 v[62:63], v[4:5], v[2:3], v[0:1] op_sel_hi:[0,1,1]
	v_subrev_u32_e32 v4, 32, v66
	v_mul_lo_u32 v64, v86, v92
	v_mul_lo_u32 v87, v4, v105
	v_cvt_f32_i32_e32 v5, v72
	v_cvt_f32_i32_e32 v4, v70
	;; [unrolled: 1-line block ×3, first 2 shown]
	v_cvt_f32_f16_e32 v64, v122
	v_subrev_u32_e32 v85, 32, v65
	v_cvt_f32_i32_e32 v69, v73
	v_cvt_f32_i32_e32 v68, v71
	v_cvt_f32_f16_e32 v70, v121
	v_mul_lo_u32 v65, v85, v93
	scratch_load_dwordx4 v[0:3], off, off offset:16
	v_cvt_f32_i32_e32 v67, v65
	v_pk_fma_f32 v[64:65], v[64:65], v[4:5], v[6:7] op_sel_hi:[0,1,1]
	scratch_load_dwordx4 v[4:7], off, off offset:32
	v_mov_b32_e32 v105, v11
	v_mul_lo_u32 v85, v85, v106
	v_mov_b32_e32 v106, v11
	v_dot4c_i32_i8_e32 v105, v74, v120
	v_dot4c_i32_i8_e32 v106, v75, v120
	scratch_load_dwordx2 v[74:75], off, off offset:48
	v_pk_fma_f32 v[46:47], v[70:71], v[68:69], v[46:47] op_sel_hi:[0,1,1]
	scratch_load_dwordx4 v[68:71], off, off
	v_cvt_f32_i32_e32 v72, v80
	v_subrev_u32_e32 v80, 32, v91
	v_cvt_f32_i32_e32 v73, v87
	v_mul_lo_u32 v87, v80, v109
	v_subrev_u32_e32 v80, 32, v82
	v_mul_lo_u32 v91, v80, v108
	v_subrev_u32_e32 v83, 32, v83
	v_mul_lo_u32 v92, v86, v110
	v_cvt_f32_f16_e32 v86, v104
	v_mul_lo_u32 v93, v83, v79
	v_cvt_f32_i32_e32 v79, v85
	v_mul_lo_u32 v83, v83, v106
	v_cvt_f32_i32_e32 v107, v43
	v_cvt_f32_f16_e32 v110, v45
	v_cvt_f32_i32_e32 v93, v93
	v_cvt_f32_i32_e32 v109, v83
	v_pk_fma_f32 v[56:57], v[90:91], v[72:73], v[56:57] op_sel_hi:[0,1,1]
	v_pk_fma_f32 v[54:55], v[86:87], v[66:67], v[54:55] op_sel_hi:[0,1,1]
	v_lshl_add_u64 v[40:41], v[40:41], 0, s[24:25]
	s_waitcnt vmcnt(7)
	v_cvt_f32_f16_e32 v76, v76
	s_waitcnt vmcnt(6)
	v_cvt_f32_f16_e32 v80, v77
	v_mul_lo_u32 v77, v102, v112
	s_waitcnt vmcnt(5)
	v_cvt_f32_f16_e32 v82, v81
	v_mul_lo_u32 v81, v101, v111
	v_subrev_u32_e32 v102, 32, v124
	v_mul_lo_u32 v101, v103, v113
	v_mul_lo_u32 v85, v102, v105
	v_cvt_f32_i32_e32 v105, v81
	v_cvt_f32_i32_e32 v104, v77
	v_mul_lo_u32 v103, v102, v78
	v_cvt_f32_i32_e32 v106, v101
	v_cvt_f32_i32_e32 v78, v92
	;; [unrolled: 1-line block ×5, first 2 shown]
	s_waitcnt vmcnt(4)
	v_cvt_f32_f16_e32 v84, v84
	v_cvt_f32_i32_e32 v108, v85
	v_pk_fma_f32 v[76:77], v[76:77], v[104:105], 0 op_sel_hi:[0,1,0]
	v_pk_fma_f32 v[76:77], v[80:81], v[106:107], v[76:77] op_sel_hi:[0,1,1]
	s_waitcnt vmcnt(3)
	v_pk_fma_f32 v[0:1], v[58:59], v[52:53], v[0:1]
	v_pk_fma_f32 v[2:3], v[62:63], v[52:53], v[2:3]
	v_pk_fma_f32 v[52:53], v[110:111], v[102:103], v[56:57] op_sel_hi:[0,1,1]
	s_waitcnt vmcnt(2)
	v_pk_fma_f32 v[6:7], v[46:47], v[50:51], v[6:7]
	v_pk_fma_f32 v[46:47], v[82:83], v[78:79], v[76:77] op_sel_hi:[0,1,1]
	v_pk_fma_f32 v[4:5], v[64:65], v[50:51], v[4:5]
	v_pk_fma_f32 v[50:51], v[88:89], v[92:93], v[54:55] op_sel_hi:[0,1,1]
	v_pk_fma_f32 v[46:47], v[84:85], v[108:109], v[46:47] op_sel_hi:[0,1,1]
	scratch_store_dwordx4 off, v[0:3], off offset:16
	scratch_store_dwordx4 off, v[4:7], off offset:32
	s_waitcnt vmcnt(2)
	v_pk_fma_f32 v[50:51], v[50:51], v[48:49], v[70:71]
	v_pk_fma_f32 v[0:1], v[52:53], v[60:61], v[74:75]
	;; [unrolled: 1-line block ×3, first 2 shown]
	scratch_store_dwordx2 off, v[0:1], off offset:48
	scratch_store_dwordx4 off, v[48:51], off
	s_andn2_b64 exec, exec, s[12:13]
	s_cbranch_execnz .LBB118_2
.LBB118_3:
	s_or_b64 exec, exec, s[6:7]
	s_mov_b32 s5, 0
	v_cmp_eq_u32_e32 vcc, 0, v33
	s_waitcnt lgkmcnt(0)
	; wave barrier
	s_and_saveexec_b64 s[6:7], vcc
	s_cbranch_execz .LBB118_18
; %bb.4:
	scratch_load_dwordx2 v[2:3], off, off
	v_mbcnt_lo_u32_b32 v0, -1, 0
	v_mbcnt_hi_u32_b32 v9, -1, v0
	s_load_dwordx2 s[6:7], s[0:1], 0x38
	s_mul_i32 s0, s3, s14
	v_or_b32_e32 v1, s2, v8
	v_and_b32_e32 v0, 64, v9
	s_mul_i32 s4, s4, s18
	s_add_i32 s2, s0, s2
	v_cmp_gt_u32_e64 s[0:1], s10, v1
	v_xor_b32_e32 v1, 32, v9
	v_add_u32_e32 v14, 64, v0
	s_add_i32 s4, s2, s4
	v_cmp_lt_i32_e64 s[2:3], v1, v14
	v_cmp_gt_u32_e32 vcc, 2, v8
	s_nop 0
	v_cndmask_b32_e64 v0, v9, v1, s[2:3]
	v_lshlrev_b32_e32 v0, 2, v0
	v_xor_b32_e32 v1, 16, v9
	v_cmp_lt_i32_e64 s[2:3], v1, v14
	s_waitcnt vmcnt(0)
	ds_bpermute_b32 v4, v0, v2
	ds_bpermute_b32 v5, v0, v3
	v_cndmask_b32_e64 v1, v9, v1, s[2:3]
	v_lshlrev_b32_e32 v1, 2, v1
	s_waitcnt lgkmcnt(0)
	v_pk_add_f32 v[4:5], v[2:3], v[4:5]
	ds_bpermute_b32 v6, v1, v4
	ds_bpermute_b32 v7, v1, v5
	v_xor_b32_e32 v2, 8, v9
	v_cmp_lt_i32_e64 s[2:3], v2, v14
	v_xor_b32_e32 v3, 4, v9
	s_waitcnt lgkmcnt(0)
	v_pk_add_f32 v[4:5], v[4:5], v[6:7]
	v_cndmask_b32_e64 v2, v9, v2, s[2:3]
	v_lshlrev_b32_e32 v2, 2, v2
	ds_bpermute_b32 v6, v2, v4
	ds_bpermute_b32 v7, v2, v5
	v_cmp_lt_i32_e64 s[2:3], v3, v14
	s_waitcnt lgkmcnt(0)
	v_pk_add_f32 v[6:7], v[4:5], v[6:7]
	v_cndmask_b32_e64 v3, v9, v3, s[2:3]
	v_lshlrev_b32_e32 v3, 2, v3
	ds_bpermute_b32 v10, v3, v6
	ds_bpermute_b32 v11, v3, v7
	v_xor_b32_e32 v4, 2, v9
	v_cmp_lt_i32_e64 s[2:3], v4, v14
	v_xor_b32_e32 v5, 1, v9
	s_waitcnt lgkmcnt(0)
	v_pk_add_f32 v[10:11], v[6:7], v[10:11]
	v_cndmask_b32_e64 v4, v9, v4, s[2:3]
	v_lshlrev_b32_e32 v4, 2, v4
	ds_bpermute_b32 v12, v4, v10
	ds_bpermute_b32 v13, v4, v11
	v_cmp_lt_i32_e64 s[2:3], v5, v14
	s_waitcnt lgkmcnt(0)
	v_pk_add_f32 v[10:11], v[10:11], v[12:13]
	v_cndmask_b32_e64 v5, v9, v5, s[2:3]
	v_lshlrev_b32_e32 v6, 2, v5
	ds_bpermute_b32 v12, v6, v10
	ds_bpermute_b32 v13, v6, v11
	s_lshl_b64 s[2:3], s[4:5], 2
	s_add_u32 s2, s6, s2
	s_addc_u32 s3, s7, s3
	s_and_b64 s[0:1], vcc, s[0:1]
	s_waitcnt lgkmcnt(0)
	v_pk_add_f32 v[10:11], v[10:11], v[12:13]
	v_lshlrev_b32_e32 v5, 2, v8
	scratch_store_dwordx2 off, v[10:11], off
	s_and_saveexec_b64 s[4:5], s[0:1]
	s_cbranch_execz .LBB118_6
; %bb.5:
	scratch_load_dword v7, v5, off
	s_waitcnt vmcnt(0)
	global_store_dword v5, v7, s[2:3]
.LBB118_6:
	s_or_b64 exec, exec, s[4:5]
	scratch_load_dwordx2 v[10:11], off, off offset:8
	s_waitcnt vmcnt(0)
	ds_bpermute_b32 v12, v0, v10
	ds_bpermute_b32 v13, v0, v11
	s_waitcnt lgkmcnt(0)
	v_pk_add_f32 v[10:11], v[10:11], v[12:13]
	ds_bpermute_b32 v12, v1, v10
	ds_bpermute_b32 v13, v1, v11
	s_waitcnt lgkmcnt(0)
	v_pk_add_f32 v[10:11], v[10:11], v[12:13]
	;; [unrolled: 4-line block ×6, first 2 shown]
	scratch_store_dwordx2 off, v[10:11], off offset:8
	s_and_saveexec_b64 s[4:5], s[0:1]
	s_cbranch_execz .LBB118_8
; %bb.7:
	scratch_load_dword v7, v5, off offset:8
	v_add_u32_e32 v10, s10, v8
	v_mov_b32_e32 v11, 0
	v_lshl_add_u64 v[10:11], v[10:11], 2, s[2:3]
	s_waitcnt vmcnt(0)
	global_store_dword v[10:11], v7, off
.LBB118_8:
	s_or_b64 exec, exec, s[4:5]
	scratch_load_dwordx2 v[10:11], off, off offset:16
	s_waitcnt vmcnt(0)
	ds_bpermute_b32 v12, v0, v10
	ds_bpermute_b32 v13, v0, v11
	s_waitcnt lgkmcnt(0)
	v_pk_add_f32 v[10:11], v[10:11], v[12:13]
	ds_bpermute_b32 v12, v1, v10
	ds_bpermute_b32 v13, v1, v11
	s_waitcnt lgkmcnt(0)
	v_pk_add_f32 v[10:11], v[10:11], v[12:13]
	;; [unrolled: 4-line block ×6, first 2 shown]
	scratch_store_dwordx2 off, v[10:11], off offset:16
	s_and_saveexec_b64 s[4:5], s[0:1]
	s_cbranch_execz .LBB118_10
; %bb.9:
	scratch_load_dword v7, v5, off offset:16
	v_lshl_or_b32 v10, s10, 1, v8
	v_mov_b32_e32 v11, 0
	v_lshl_add_u64 v[10:11], v[10:11], 2, s[2:3]
	s_waitcnt vmcnt(0)
	global_store_dword v[10:11], v7, off
.LBB118_10:
	s_or_b64 exec, exec, s[4:5]
	scratch_load_dwordx2 v[10:11], off, off offset:24
	s_waitcnt vmcnt(0)
	ds_bpermute_b32 v12, v0, v10
	ds_bpermute_b32 v13, v0, v11
	s_waitcnt lgkmcnt(0)
	v_pk_add_f32 v[10:11], v[10:11], v[12:13]
	ds_bpermute_b32 v12, v1, v10
	ds_bpermute_b32 v13, v1, v11
	s_waitcnt lgkmcnt(0)
	v_pk_add_f32 v[10:11], v[10:11], v[12:13]
	;; [unrolled: 4-line block ×6, first 2 shown]
	scratch_store_dwordx2 off, v[10:11], off offset:24
	s_and_saveexec_b64 s[4:5], s[0:1]
	s_cbranch_execz .LBB118_12
; %bb.11:
	scratch_load_dword v7, v5, off offset:24
	v_mad_u64_u32 v[10:11], s[6:7], s10, 3, v[8:9]
	v_mov_b32_e32 v11, 0
	v_lshl_add_u64 v[10:11], v[10:11], 2, s[2:3]
	s_waitcnt vmcnt(0)
	global_store_dword v[10:11], v7, off
.LBB118_12:
	s_or_b64 exec, exec, s[4:5]
	scratch_load_dwordx2 v[10:11], off, off offset:32
	s_waitcnt vmcnt(0)
	ds_bpermute_b32 v12, v0, v10
	ds_bpermute_b32 v13, v0, v11
	s_waitcnt lgkmcnt(0)
	v_pk_add_f32 v[10:11], v[10:11], v[12:13]
	ds_bpermute_b32 v12, v1, v10
	ds_bpermute_b32 v13, v1, v11
	s_waitcnt lgkmcnt(0)
	v_pk_add_f32 v[10:11], v[10:11], v[12:13]
	;; [unrolled: 4-line block ×6, first 2 shown]
	scratch_store_dwordx2 off, v[10:11], off offset:32
	s_and_saveexec_b64 s[4:5], s[0:1]
	s_cbranch_execz .LBB118_14
; %bb.13:
	scratch_load_dword v7, v5, off offset:32
	v_lshl_or_b32 v10, s10, 2, v8
	v_mov_b32_e32 v11, 0
	v_lshl_add_u64 v[10:11], v[10:11], 2, s[2:3]
	s_waitcnt vmcnt(0)
	global_store_dword v[10:11], v7, off
.LBB118_14:
	s_or_b64 exec, exec, s[4:5]
	scratch_load_dwordx2 v[10:11], off, off offset:40
	s_waitcnt vmcnt(0)
	ds_bpermute_b32 v12, v0, v10
	ds_bpermute_b32 v13, v0, v11
	s_waitcnt lgkmcnt(0)
	v_pk_add_f32 v[10:11], v[10:11], v[12:13]
	ds_bpermute_b32 v12, v1, v10
	ds_bpermute_b32 v13, v1, v11
	s_waitcnt lgkmcnt(0)
	v_pk_add_f32 v[10:11], v[10:11], v[12:13]
	;; [unrolled: 4-line block ×6, first 2 shown]
	scratch_store_dwordx2 off, v[10:11], off offset:40
	s_and_saveexec_b64 s[4:5], s[0:1]
	s_cbranch_execz .LBB118_16
; %bb.15:
	scratch_load_dword v7, v5, off offset:40
	v_mad_u64_u32 v[10:11], s[6:7], s10, 5, v[8:9]
	v_mov_b32_e32 v11, 0
	v_lshl_add_u64 v[10:11], v[10:11], 2, s[2:3]
	s_waitcnt vmcnt(0)
	global_store_dword v[10:11], v7, off
.LBB118_16:
	s_or_b64 exec, exec, s[4:5]
	scratch_load_dwordx2 v[10:11], off, off offset:48
	s_waitcnt vmcnt(0)
	ds_bpermute_b32 v12, v0, v10
	ds_bpermute_b32 v13, v0, v11
	s_waitcnt lgkmcnt(0)
	v_pk_add_f32 v[10:11], v[10:11], v[12:13]
	ds_bpermute_b32 v0, v1, v10
	ds_bpermute_b32 v1, v1, v11
	s_waitcnt lgkmcnt(0)
	v_pk_add_f32 v[0:1], v[10:11], v[0:1]
	;; [unrolled: 4-line block ×6, first 2 shown]
	scratch_store_dwordx2 off, v[0:1], off offset:48
	s_and_b64 exec, exec, s[0:1]
	s_cbranch_execz .LBB118_18
; %bb.17:
	scratch_load_dword v2, v5, off offset:48
	s_mul_i32 s0, s10, 6
	v_or_b32_e32 v0, s0, v8
	v_mov_b32_e32 v1, 0
	v_lshl_add_u64 v[0:1], v[0:1], 2, s[2:3]
	s_waitcnt vmcnt(0)
	global_store_dword v[0:1], v2, off
.LBB118_18:
	s_endpgm
	.section	.rodata,"a",@progbits
	.p2align	6, 0x0
	.amdhsa_kernel _ZL13mul_mat_vec_qIL9ggml_type11ELi7ELb0ELb0EEvPKvS2_PKi31ggml_cuda_mm_fusion_args_devicePfj15HIP_vector_typeIjLj3EEjjjS8_jjjS8_jjjj
		.amdhsa_group_segment_fixed_size 0
		.amdhsa_private_segment_fixed_size 64
		.amdhsa_kernarg_size 144
		.amdhsa_user_sgpr_count 2
		.amdhsa_user_sgpr_dispatch_ptr 0
		.amdhsa_user_sgpr_queue_ptr 0
		.amdhsa_user_sgpr_kernarg_segment_ptr 1
		.amdhsa_user_sgpr_dispatch_id 0
		.amdhsa_user_sgpr_kernarg_preload_length 0
		.amdhsa_user_sgpr_kernarg_preload_offset 0
		.amdhsa_user_sgpr_private_segment_size 0
		.amdhsa_uses_dynamic_stack 0
		.amdhsa_enable_private_segment 1
		.amdhsa_system_sgpr_workgroup_id_x 1
		.amdhsa_system_sgpr_workgroup_id_y 1
		.amdhsa_system_sgpr_workgroup_id_z 1
		.amdhsa_system_sgpr_workgroup_info 0
		.amdhsa_system_vgpr_workitem_id 1
		.amdhsa_next_free_vgpr 140
		.amdhsa_next_free_sgpr 36
		.amdhsa_accum_offset 140
		.amdhsa_reserve_vcc 1
		.amdhsa_float_round_mode_32 0
		.amdhsa_float_round_mode_16_64 0
		.amdhsa_float_denorm_mode_32 3
		.amdhsa_float_denorm_mode_16_64 3
		.amdhsa_dx10_clamp 1
		.amdhsa_ieee_mode 1
		.amdhsa_fp16_overflow 0
		.amdhsa_tg_split 0
		.amdhsa_exception_fp_ieee_invalid_op 0
		.amdhsa_exception_fp_denorm_src 0
		.amdhsa_exception_fp_ieee_div_zero 0
		.amdhsa_exception_fp_ieee_overflow 0
		.amdhsa_exception_fp_ieee_underflow 0
		.amdhsa_exception_fp_ieee_inexact 0
		.amdhsa_exception_int_div_zero 0
	.end_amdhsa_kernel
	.section	.text._ZL13mul_mat_vec_qIL9ggml_type11ELi7ELb0ELb0EEvPKvS2_PKi31ggml_cuda_mm_fusion_args_devicePfj15HIP_vector_typeIjLj3EEjjjS8_jjjS8_jjjj,"axG",@progbits,_ZL13mul_mat_vec_qIL9ggml_type11ELi7ELb0ELb0EEvPKvS2_PKi31ggml_cuda_mm_fusion_args_devicePfj15HIP_vector_typeIjLj3EEjjjS8_jjjS8_jjjj,comdat
.Lfunc_end118:
	.size	_ZL13mul_mat_vec_qIL9ggml_type11ELi7ELb0ELb0EEvPKvS2_PKi31ggml_cuda_mm_fusion_args_devicePfj15HIP_vector_typeIjLj3EEjjjS8_jjjS8_jjjj, .Lfunc_end118-_ZL13mul_mat_vec_qIL9ggml_type11ELi7ELb0ELb0EEvPKvS2_PKi31ggml_cuda_mm_fusion_args_devicePfj15HIP_vector_typeIjLj3EEjjjS8_jjjS8_jjjj
                                        ; -- End function
	.section	.AMDGPU.csdata,"",@progbits
; Kernel info:
; codeLenInByte = 11220
; NumSgprs: 42
; NumVgprs: 140
; NumAgprs: 0
; TotalNumVgprs: 140
; ScratchSize: 64
; MemoryBound: 0
; FloatMode: 240
; IeeeMode: 1
; LDSByteSize: 0 bytes/workgroup (compile time only)
; SGPRBlocks: 5
; VGPRBlocks: 17
; NumSGPRsForWavesPerEU: 42
; NumVGPRsForWavesPerEU: 140
; AccumOffset: 140
; Occupancy: 3
; WaveLimiterHint : 0
; COMPUTE_PGM_RSRC2:SCRATCH_EN: 1
; COMPUTE_PGM_RSRC2:USER_SGPR: 2
; COMPUTE_PGM_RSRC2:TRAP_HANDLER: 0
; COMPUTE_PGM_RSRC2:TGID_X_EN: 1
; COMPUTE_PGM_RSRC2:TGID_Y_EN: 1
; COMPUTE_PGM_RSRC2:TGID_Z_EN: 1
; COMPUTE_PGM_RSRC2:TIDIG_COMP_CNT: 1
; COMPUTE_PGM_RSRC3_GFX90A:ACCUM_OFFSET: 34
; COMPUTE_PGM_RSRC3_GFX90A:TG_SPLIT: 0
	.section	.text._ZL13mul_mat_vec_qIL9ggml_type11ELi8ELb0ELb0EEvPKvS2_PKi31ggml_cuda_mm_fusion_args_devicePfj15HIP_vector_typeIjLj3EEjjjS8_jjjS8_jjjj,"axG",@progbits,_ZL13mul_mat_vec_qIL9ggml_type11ELi8ELb0ELb0EEvPKvS2_PKi31ggml_cuda_mm_fusion_args_devicePfj15HIP_vector_typeIjLj3EEjjjS8_jjjS8_jjjj,comdat
	.globl	_ZL13mul_mat_vec_qIL9ggml_type11ELi8ELb0ELb0EEvPKvS2_PKi31ggml_cuda_mm_fusion_args_devicePfj15HIP_vector_typeIjLj3EEjjjS8_jjjS8_jjjj ; -- Begin function _ZL13mul_mat_vec_qIL9ggml_type11ELi8ELb0ELb0EEvPKvS2_PKi31ggml_cuda_mm_fusion_args_devicePfj15HIP_vector_typeIjLj3EEjjjS8_jjjS8_jjjj
	.p2align	8
	.type	_ZL13mul_mat_vec_qIL9ggml_type11ELi8ELb0ELb0EEvPKvS2_PKi31ggml_cuda_mm_fusion_args_devicePfj15HIP_vector_typeIjLj3EEjjjS8_jjjS8_jjjj,@function
_ZL13mul_mat_vec_qIL9ggml_type11ELi8ELb0ELb0EEvPKvS2_PKi31ggml_cuda_mm_fusion_args_devicePfj15HIP_vector_typeIjLj3EEjjjS8_jjjS8_jjjj: ; @_ZL13mul_mat_vec_qIL9ggml_type11ELi8ELb0ELb0EEvPKvS2_PKi31ggml_cuda_mm_fusion_args_devicePfj15HIP_vector_typeIjLj3EEjjjS8_jjjS8_jjjj
; %bb.0:
	v_bfe_u32 v37, v0, 10, 10
	v_and_b32_e32 v12, 0x3ff, v0
	s_mov_b32 s20, 0
	s_load_dword s5, s[0:1], 0x40
	s_load_dwordx4 s[8:11], s[0:1], 0x50
	s_load_dword s25, s[0:1], 0x60
	s_load_dwordx4 s[12:15], s[0:1], 0x68
	;; [unrolled: 2-line block ×3, first 2 shown]
	v_lshl_or_b32 v4, v37, 6, v12
	s_mov_b32 s21, s20
	s_waitcnt lgkmcnt(0)
	s_lshr_b32 s5, s5, 8
	s_mov_b32 s22, s20
	s_mov_b32 s23, s20
	v_mov_b64_e32 v[0:1], s[20:21]
	v_lshrrev_b32_e32 v96, 4, v4
	s_lshl_b32 s2, s2, 1
	v_mov_b64_e32 v[2:3], s[22:23]
	v_cmp_gt_u32_e32 vcc, s5, v96
	scratch_store_dwordx4 off, v[0:3], off offset:48
	scratch_store_dwordx4 off, v[0:3], off offset:32
	;; [unrolled: 1-line block ×3, first 2 shown]
	scratch_store_dwordx4 off, v[0:3], off
	s_and_saveexec_b64 s[6:7], vcc
	s_cbranch_execz .LBB119_3
; %bb.1:
	v_lshrrev_b32_e32 v0, 1, v12
	v_and_b32_e32 v1, 15, v12
	v_and_b32_e32 v97, 4, v0
	;; [unrolled: 1-line block ×3, first 2 shown]
	v_lshlrev_b32_e32 v2, 1, v1
	v_sub_u32_e32 v1, v1, v0
	v_bfe_u32 v3, v12, 2, 1
	v_add_u32_e32 v1, v1, v3
	v_lshrrev_b16_e32 v3, 12, v1
	v_and_b32_e32 v3, 7, v3
	v_add_u16_e32 v3, v1, v3
	v_and_b32_e32 v5, 0xf8, v3
	v_ashrrev_i16_e32 v3, 3, v3
	v_mov_b32_e32 v6, 2
	v_lshlrev_b32_sdwa v98, v6, sext(v3) dst_sel:DWORD dst_unused:UNUSED_PAD src0_sel:DWORD src1_sel:WORD_0
	v_lshrrev_b16_e32 v3, 6, v1
	v_and_b32_e32 v3, 3, v3
	v_sub_u16_e32 v5, v1, v5
	v_add_u16_e32 v3, v1, v3
	v_bfe_i32 v16, v5, 0, 8
	v_and_b32_e32 v5, 0xfc, v3
	v_ashrrev_i16_e32 v3, 2, v3
	v_mov_b32_e32 v7, 1
	v_sub_u16_e32 v5, v1, v5
	v_lshlrev_b32_sdwa v99, v7, sext(v3) dst_sel:DWORD dst_unused:UNUSED_PAD src0_sel:DWORD src1_sel:WORD_0
	v_add_u16_e32 v3, 2, v1
	v_bfe_i32 v18, v5, 0, 8
	v_lshrrev_b16_e32 v5, 7, v3
	v_mov_b32_e32 v8, 5
	v_lshrrev_b16_sdwa v9, v8, v5 dst_sel:DWORD dst_unused:UNUSED_PAD src0_sel:DWORD src1_sel:BYTE_0
	v_add_u16_e32 v9, v3, v9
	v_mov_b32_e32 v11, 3
	v_and_b32_e32 v10, 0xf8, v9
	v_ashrrev_i16_sdwa v9, v11, sext(v9) dst_sel:DWORD dst_unused:UNUSED_PAD src0_sel:DWORD src1_sel:BYTE_0
	v_lshlrev_b32_sdwa v100, v6, sext(v9) dst_sel:DWORD dst_unused:UNUSED_PAD src0_sel:DWORD src1_sel:WORD_0
	v_mov_b32_e32 v9, 6
	v_lshrrev_b16_sdwa v5, v9, v5 dst_sel:DWORD dst_unused:UNUSED_PAD src0_sel:DWORD src1_sel:BYTE_0
	v_sub_u16_e32 v10, v3, v10
	v_add_u16_e32 v5, v3, v5
	v_bfe_i32 v20, v10, 0, 8
	v_and_b32_e32 v10, 0xfc, v5
	v_sub_u16_e32 v3, v3, v10
	s_load_dwordx4 s[20:23], s[0:1], 0x0
	v_ashrrev_i16_sdwa v5, v6, sext(v5) dst_sel:DWORD dst_unused:UNUSED_PAD src0_sel:DWORD src1_sel:BYTE_0
	v_bfe_i32 v22, v3, 0, 8
	v_add_u16_e32 v3, 4, v1
	v_lshlrev_b32_sdwa v101, v7, sext(v5) dst_sel:DWORD dst_unused:UNUSED_PAD src0_sel:DWORD src1_sel:WORD_0
	v_lshrrev_b16_e32 v5, 7, v3
	v_lshrrev_b16_sdwa v10, v8, v5 dst_sel:DWORD dst_unused:UNUSED_PAD src0_sel:DWORD src1_sel:BYTE_0
	s_mul_i32 s17, s4, s17
	v_add_u16_e32 v10, v3, v10
	v_lshrrev_b16_sdwa v5, v9, v5 dst_sel:DWORD dst_unused:UNUSED_PAD src0_sel:DWORD src1_sel:BYTE_0
	s_mul_hi_u32 s19, s17, 36
	s_mul_i32 s17, s17, 36
	v_and_b32_e32 v13, 0xf8, v10
	v_ashrrev_i16_sdwa v10, v11, sext(v10) dst_sel:DWORD dst_unused:UNUSED_PAD src0_sel:DWORD src1_sel:BYTE_0
	v_add_u16_e32 v5, v3, v5
	s_mul_i32 s13, s3, s13
	s_waitcnt lgkmcnt(0)
	s_add_u32 s17, s22, s17
	v_lshlrev_b32_sdwa v24, v6, sext(v10) dst_sel:DWORD dst_unused:UNUSED_PAD src0_sel:DWORD src1_sel:WORD_0
	v_and_b32_e32 v10, 0xfc, v5
	s_addc_u32 s19, s23, s19
	s_mul_hi_u32 s23, s13, 36
	s_mul_i32 s13, s13, 36
	v_sub_u16_e32 v13, v3, v13
	v_sub_u16_e32 v3, v3, v10
	v_add_u16_e32 v1, 6, v1
	s_add_u32 s22, s17, s13
	s_mul_hi_u32 s11, s11, s3
	v_ashrrev_i16_sdwa v5, v6, sext(v5) dst_sel:DWORD dst_unused:UNUSED_PAD src0_sel:DWORD src1_sel:BYTE_0
	v_bfe_i32 v30, v3, 0, 8
	v_lshrrev_b16_e32 v3, 7, v1
	s_addc_u32 s23, s19, s23
	s_add_i32 s11, s3, s11
	v_lshlrev_b32_sdwa v28, v7, sext(v5) dst_sel:DWORD dst_unused:UNUSED_PAD src0_sel:DWORD src1_sel:WORD_0
	v_lshrrev_b16_sdwa v5, v8, v3 dst_sel:DWORD dst_unused:UNUSED_PAD src0_sel:DWORD src1_sel:BYTE_0
	s_lshr_b32 s11, s11, s25
	v_add_u16_e32 v5, v1, v5
	v_lshrrev_b16_sdwa v3, v9, v3 dst_sel:DWORD dst_unused:UNUSED_PAD src0_sel:DWORD src1_sel:BYTE_0
	s_mul_i32 s11, s11, s12
	s_mul_hi_u32 s12, s15, s4
	v_and_b32_e32 v8, 0xf8, v5
	v_ashrrev_i16_sdwa v5, v11, sext(v5) dst_sel:DWORD dst_unused:UNUSED_PAD src0_sel:DWORD src1_sel:BYTE_0
	v_add_u16_e32 v3, v1, v3
	s_add_i32 s12, s4, s12
	v_lshlrev_b32_sdwa v32, v6, sext(v5) dst_sel:DWORD dst_unused:UNUSED_PAD src0_sel:DWORD src1_sel:WORD_0
	v_and_b32_e32 v5, 0xfc, v3
	s_lshr_b32 s12, s12, s24
	v_sub_u16_e32 v8, v1, v8
	v_sub_u16_e32 v1, v1, v5
	v_ashrrev_i16_sdwa v3, v6, sext(v3) dst_sel:DWORD dst_unused:UNUSED_PAD src0_sel:DWORD src1_sel:BYTE_0
	s_mul_i32 s15, s12, s16
	v_lshlrev_b32_sdwa v36, v7, sext(v3) dst_sel:DWORD dst_unused:UNUSED_PAD src0_sel:DWORD src1_sel:WORD_0
	v_bfe_i32 v38, v1, 0, 8
	v_mad_u64_u32 v[40:41], s[12:13], v97, 36, s[22:23]
	v_lshl_add_u32 v1, v37, 6, v12
	v_bfe_u32 v3, v12, 3, 1
	v_lshrrev_b32_e32 v1, 4, v1
	v_mul_hi_u32_u24_e32 v7, 0x90, v3
	v_mul_u32_u24_e32 v6, 0x90, v3
	s_movk_i32 s12, 0x120
	v_mad_u64_u32 v[6:7], s[12:13], v1, s12, v[6:7]
	s_add_i32 s12, s2, 1
	v_mov_b32_e32 v15, 0
	v_lshlrev_b32_e32 v4, 1, v0
	v_bfe_i32 v26, v13, 0, 8
	v_bfe_i32 v34, v8, 0, 8
	s_mul_i32 s16, s2, s8
	s_add_i32 s15, s15, s11
	s_mul_i32 s8, s8, s12
	v_ashrrev_i32_e32 v17, 31, v16
	v_ashrrev_i32_e32 v19, 31, v18
	v_ashrrev_i32_e32 v21, 31, v20
	v_ashrrev_i32_e32 v23, 31, v22
	v_ashrrev_i32_e32 v27, 31, v26
	v_ashrrev_i32_e32 v31, 31, v30
	v_ashrrev_i32_e32 v35, 31, v34
	v_ashrrev_i32_e32 v39, 31, v38
	v_mov_b32_e32 v13, v24
	v_mov_b32_e32 v25, v28
	;; [unrolled: 1-line block ×4, first 2 shown]
	s_add_i32 s11, s15, s16
	v_lshlrev_b32_e32 v42, 2, v0
	v_mov_b32_e32 v43, v15
	v_lshl_add_u64 v[44:45], s[22:23], 0, v[6:7]
	s_add_i32 s8, s15, s8
	s_lshl_b32 s15, s9, 1
	v_lshlrev_b32_e32 v102, 3, v96
	s_mul_i32 s19, s9, 3
	s_lshl_b32 s26, s9, 2
	s_mul_i32 s27, s9, 5
	s_mul_i32 s28, s9, 6
	;; [unrolled: 1-line block ×3, first 2 shown]
	s_mov_b64 s[12:13], 0
	s_movk_i32 s30, 0x6e
	v_lshlrev_b32_e32 v14, 1, v2
	v_lshlrev_b32_e32 v46, 1, v4
	s_mov_b32 s31, 0xffff
	v_lshlrev_b32_e32 v48, 2, v0
	s_mov_b64 s[16:17], 0x48
	s_mov_b64 s[22:23], 0x6c
	;; [unrolled: 1-line block ×3, first 2 shown]
.LBB119_2:                              ; =>This Inner Loop Header: Depth=1
	v_add_u32_e32 v2, s11, v96
	v_mov_b64_e32 v[0:1], s[20:21]
	v_add_u32_e32 v3, s8, v96
	v_add_u32_e32 v4, s15, v102
	v_mad_i64_i32 v[60:61], s[34:35], v2, s30, v[0:1]
	v_mov_b32_e32 v47, v15
	v_mov_b32_e32 v49, v15
	v_mad_i64_i32 v[62:63], s[34:35], v3, s30, v[0:1]
	v_mad_u64_u32 v[0:1], s[34:35], v4, 36, v[40:41]
	v_lshl_add_u64 v[88:89], v[60:61], 0, v[14:15]
	v_lshl_add_u64 v[2:3], v[0:1], 0, v[48:49]
	;; [unrolled: 1-line block ×13, first 2 shown]
	global_load_ushort v84, v[88:89], off offset:34
	global_load_ushort v85, v[86:87], off offset:34
	global_load_ubyte v47, v[64:65], off offset:96
	global_load_ubyte v51, v[70:71], off offset:104
	;; [unrolled: 1-line block ×4, first 2 shown]
	global_load_dword v74, v[90:91], off
	global_load_dword v75, v[92:93], off
	global_load_ubyte v76, v[56:57], off offset:104
	global_load_ubyte v77, v[54:55], off offset:96
	;; [unrolled: 1-line block ×4, first 2 shown]
	global_load_ushort v80, v[88:89], off offset:32
	global_load_ushort v81, v[86:87], off offset:32
	global_load_dword v82, v[2:3], off offset:4
	v_lshl_add_u64 v[4:5], v[0:1], 0, 36
	v_lshl_add_u64 v[2:3], v[4:5], 0, v[48:49]
	global_load_dword v83, v[2:3], off offset:4
	v_mov_b32_e32 v6, v15
	v_mov_b32_e32 v7, v15
	;; [unrolled: 1-line block ×4, first 2 shown]
	v_add_u32_e32 v50, s19, v102
	v_mov_b32_e32 v53, v15
	v_mov_b32_e32 v72, v15
	;; [unrolled: 1-line block ×3, first 2 shown]
	v_add_u32_e32 v96, 4, v96
	v_cmp_le_u32_e32 vcc, s5, v96
	s_or_b64 s[12:13], vcc, s[12:13]
	s_waitcnt vmcnt(15)
	v_lshlrev_b32_e32 v2, 16, v84
	s_waitcnt vmcnt(14)
	v_lshlrev_b32_e32 v3, 16, v85
	s_waitcnt vmcnt(13)
	v_bfe_u32 v4, v47, v98, 4
	s_waitcnt vmcnt(12)
	v_lshrrev_b32_e32 v5, v99, v51
	s_waitcnt vmcnt(11)
	v_bfe_u32 v47, v52, v98, 4
	s_waitcnt vmcnt(10)
	v_lshrrev_b32_e32 v51, v99, v73
	s_waitcnt vmcnt(9)
	v_ashrrev_i32_e32 v52, v97, v74
	s_waitcnt vmcnt(8)
	v_ashrrev_i32_e32 v73, v97, v75
	s_waitcnt vmcnt(7)
	v_lshrrev_b32_e32 v74, v101, v76
	s_waitcnt vmcnt(6)
	v_bfe_u32 v75, v77, v100, 4
	s_waitcnt vmcnt(5)
	v_lshrrev_b32_e32 v76, v101, v78
	s_waitcnt vmcnt(4)
	v_bfe_u32 v77, v79, v100, 4
	s_waitcnt vmcnt(3)
	v_or_b32_e32 v94, v2, v80
	s_waitcnt vmcnt(2)
	v_or_b32_e32 v95, v3, v81
	v_lshlrev_b32_e32 v2, 4, v5
	v_lshlrev_b32_e32 v3, 4, v51
	v_not_b32_e32 v103, v52
	v_not_b32_e32 v104, v73
	v_lshlrev_b32_e32 v5, 4, v74
	v_lshlrev_b32_e32 v51, 4, v76
	v_and_or_b32 v4, v2, 48, v4
	v_lshlrev_b32_e32 v2, 2, v103
	v_lshlrev_b32_e32 v73, 2, v104
	v_and_or_b32 v78, v5, 48, v75
	v_and_or_b32 v77, v51, 48, v77
	v_lshrrev_b32_e32 v5, 2, v94
	v_lshlrev_b32_e32 v51, 1, v103
	v_and_or_b32 v52, v3, 48, v47
	v_bfe_u32 v3, v94, 24, 2
	v_and_b32_e32 v47, 0x3030303, v94
	v_bfe_u32 v74, v95, 24, 2
	v_and_b32_e32 v76, 0x3030303, v95
	v_and_b32_e32 v2, 0x4040404, v2
	;; [unrolled: 1-line block ×5, first 2 shown]
	v_bfe_u32 v5, v5, 24, 2
	v_sub_u16_sdwa v3, v3, v2 dst_sel:BYTE_1 dst_unused:UNUSED_PAD src0_sel:DWORD src1_sel:BYTE_3
	v_sub_u16_e32 v105, v47, v2
	v_sub_u16_sdwa v106, v47, v2 dst_sel:BYTE_1 dst_unused:UNUSED_PAD src0_sel:BYTE_1 src1_sel:BYTE_1
	v_sub_u16_sdwa v2, v47, v2 dst_sel:DWORD dst_unused:UNUSED_PAD src0_sel:WORD_1 src1_sel:WORD_1
	v_sub_u16_sdwa v47, v74, v73 dst_sel:BYTE_1 dst_unused:UNUSED_PAD src0_sel:DWORD src1_sel:BYTE_3
	v_sub_u16_e32 v74, v76, v73
	v_sub_u16_sdwa v107, v76, v73 dst_sel:BYTE_1 dst_unused:UNUSED_PAD src0_sel:BYTE_1 src1_sel:BYTE_1
	v_sub_u16_sdwa v73, v76, v73 dst_sel:DWORD dst_unused:UNUSED_PAD src0_sel:WORD_1 src1_sel:WORD_1
	v_sub_u16_e32 v76, v80, v51
	v_sub_u16_sdwa v108, v80, v51 dst_sel:BYTE_1 dst_unused:UNUSED_PAD src0_sel:BYTE_1 src1_sel:BYTE_1
	v_sub_u16_sdwa v5, v5, v51 dst_sel:BYTE_1 dst_unused:UNUSED_PAD src0_sel:DWORD src1_sel:BYTE_3
	v_sub_u16_sdwa v80, v80, v51 dst_sel:DWORD dst_unused:UNUSED_PAD src0_sel:WORD_1 src1_sel:WORD_1
	v_or_b32_sdwa v2, v2, v3 dst_sel:WORD_1 dst_unused:UNUSED_PAD src0_sel:BYTE_0 src1_sel:DWORD
	v_or_b32_sdwa v3, v74, v107 dst_sel:DWORD dst_unused:UNUSED_PAD src0_sel:BYTE_0 src1_sel:DWORD
	v_or_b32_sdwa v74, v76, v108 dst_sel:DWORD dst_unused:UNUSED_PAD src0_sel:BYTE_0 src1_sel:DWORD
	global_load_dword v76, v[0:1], off
	v_or_b32_sdwa v5, v80, v5 dst_sel:WORD_1 dst_unused:UNUSED_PAD src0_sel:BYTE_0 src1_sel:DWORD
	global_load_dword v80, v[0:1], off offset:36
	v_lshrrev_b32_e32 v75, 2, v95
	v_lshlrev_b32_e32 v79, 1, v104
	v_and_b32_e32 v81, 0x3030303, v75
	v_bfe_u32 v75, v75, 24, 2
	v_and_b32_e32 v79, 0x4040404, v79
	v_sub_u16_sdwa v75, v75, v79 dst_sel:BYTE_1 dst_unused:UNUSED_PAD src0_sel:DWORD src1_sel:BYTE_3
	v_sub_u16_e32 v109, v81, v79
	v_sub_u16_sdwa v110, v81, v79 dst_sel:BYTE_1 dst_unused:UNUSED_PAD src0_sel:BYTE_1 src1_sel:BYTE_1
	v_sub_u16_sdwa v79, v81, v79 dst_sel:DWORD dst_unused:UNUSED_PAD src0_sel:WORD_1 src1_sel:WORD_1
	v_or_b32_sdwa v81, v105, v106 dst_sel:DWORD dst_unused:UNUSED_PAD src0_sel:BYTE_0 src1_sel:DWORD
	v_or_b32_sdwa v73, v73, v47 dst_sel:WORD_1 dst_unused:UNUSED_PAD src0_sel:BYTE_0 src1_sel:DWORD
	v_or_b32_sdwa v108, v109, v110 dst_sel:DWORD dst_unused:UNUSED_PAD src0_sel:BYTE_0 src1_sel:DWORD
	global_load_dword v109, v[0:1], off offset:72
	v_or_b32_sdwa v75, v79, v75 dst_sel:WORD_1 dst_unused:UNUSED_PAD src0_sel:BYTE_0 src1_sel:DWORD
	v_or_b32_sdwa v79, v81, v2 dst_sel:DWORD dst_unused:UNUSED_PAD src0_sel:WORD_0 src1_sel:DWORD
	v_or_b32_sdwa v73, v3, v73 dst_sel:DWORD dst_unused:UNUSED_PAD src0_sel:WORD_0 src1_sel:DWORD
	;; [unrolled: 1-line block ×4, first 2 shown]
	v_subrev_u32_e32 v110, 32, v4
	v_subrev_u32_e32 v112, 32, v52
	s_waitcnt vmcnt(4)
	v_dot4c_i32_i8_e32 v6, v79, v82
	v_dot4c_i32_i8_e32 v7, v73, v82
	v_subrev_u32_e32 v82, 32, v78
	v_subrev_u32_e32 v113, 32, v77
	v_mul_lo_u32 v4, v112, v6
	v_mul_lo_u32 v5, v110, v7
	s_waitcnt vmcnt(3)
	v_dot4c_i32_i8_e32 v8, v81, v83
	v_dot4c_i32_i8_e32 v9, v108, v83
	global_load_dword v47, v[0:1], off offset:108
	v_cvt_f32_i32_e32 v5, v5
	v_cvt_f32_i32_e32 v4, v4
	v_mul_lo_u32 v8, v113, v8
	v_mul_lo_u32 v9, v82, v9
	v_cvt_f32_i32_e32 v9, v9
	v_cvt_f32_i32_e32 v8, v8
	v_mad_u64_u32 v[50:51], s[34:35], v50, 36, v[40:41]
	v_mov_b32_e32 v105, v15
	v_lshl_add_u64 v[2:3], v[0:1], 0, s[16:17]
	v_lshl_add_u64 v[2:3], v[2:3], 0, v[48:49]
	;; [unrolled: 1-line block ×3, first 2 shown]
	v_mov_b32_e32 v106, v15
	v_mov_b32_e32 v107, v15
	v_lshl_add_u64 v[0:1], v[0:1], 0, s[22:23]
	v_lshl_add_u64 v[0:1], v[0:1], 0, v[48:49]
	s_waitcnt vmcnt(3)
	v_cvt_f32_f16_e32 v6, v76
	v_lshl_add_u64 v[76:77], v[62:63], 0, v[26:27]
	s_waitcnt vmcnt(2)
	v_cvt_f32_f16_e32 v52, v80
	v_pk_fma_f32 v[4:5], v[6:7], v[4:5], 0 op_sel_hi:[0,1,0]
	v_lshl_add_u64 v[6:7], v[50:51], 0, v[48:49]
	v_pk_fma_f32 v[8:9], v[52:53], v[8:9], v[4:5] op_sel_hi:[0,1,1]
	v_lshl_add_u64 v[4:5], v[50:51], 0, 36
	v_lshl_add_u64 v[4:5], v[4:5], 0, v[48:49]
	global_load_dword v52, v[50:51], off
	global_load_dword v83, v[50:51], off offset:36
	global_load_dword v78, v[6:7], off offset:4
	s_waitcnt vmcnt(0)
	v_dot4c_i32_i8_e32 v53, v79, v78
	global_load_dword v4, v[4:5], off offset:4
	v_dot4c_i32_i8_e32 v72, v73, v78
	v_lshl_add_u64 v[78:79], v[62:63], 0, v[30:31]
	s_waitcnt vmcnt(0)
	v_dot4c_i32_i8_e32 v111, v81, v4
	v_dot4c_i32_i8_e32 v105, v108, v4
	global_load_ubyte v4, v[76:77], off offset:96
	global_load_ubyte v5, v[78:79], off offset:104
	global_load_dword v73, v[2:3], off offset:4
	global_load_ubyte v6, v[74:75], off offset:96
	v_lshl_add_u64 v[80:81], v[60:61], 0, v[30:31]
	s_waitcnt vmcnt(3)
	v_bfe_u32 v2, v4, v13, 4
	s_waitcnt vmcnt(2)
	v_lshrrev_b32_e32 v3, v25, v5
	v_lshlrev_b32_e32 v3, 4, v3
	v_and_or_b32 v108, v3, 48, v2
	global_load_ubyte v2, v[80:81], off offset:104
	s_waitcnt vmcnt(1)
	v_bfe_u32 v3, v6, v24, 4
	v_mul_lo_u32 v5, v110, v72
	v_cvt_f32_i32_e32 v7, v5
	v_cvt_f32_f16_e32 v4, v83
	v_lshrrev_b32_e32 v5, 4, v94
	v_and_b32_e32 v72, 0x4040404, v104
	v_subrev_u32_e32 v108, 32, v108
	s_waitcnt vmcnt(0)
	v_lshrrev_b32_e32 v2, v28, v2
	v_lshlrev_b32_e32 v2, 4, v2
	v_and_or_b32 v114, v2, 48, v3
	v_mul_lo_u32 v3, v112, v53
	v_cvt_f32_f16_e32 v2, v52
	v_cvt_f32_i32_e32 v6, v3
	v_lshrrev_b32_e32 v53, 4, v95
	v_and_b32_e32 v52, 0x4040404, v103
	v_lshrrev_b32_e32 v95, 6, v95
	v_pk_fma_f32 v[2:3], v[2:3], v[6:7], 0 op_sel_hi:[0,1,0]
	v_mul_lo_u32 v6, v113, v111
	v_mul_lo_u32 v7, v82, v105
	v_cvt_f32_i32_e32 v7, v7
	v_cvt_f32_i32_e32 v6, v6
	v_and_b32_e32 v82, 0x3030303, v5
	v_bfe_u32 v5, v5, 24, 2
	v_and_b32_e32 v95, 0x3030303, v95
	v_pk_fma_f32 v[2:3], v[4:5], v[6:7], v[2:3] op_sel_hi:[0,1,1]
	v_and_b32_e32 v4, 0x3030303, v53
	v_bfe_u32 v6, v53, 24, 2
	v_sub_u16_sdwa v5, v5, v52 dst_sel:BYTE_1 dst_unused:UNUSED_PAD src0_sel:DWORD src1_sel:BYTE_3
	v_sub_u16_e32 v7, v82, v52
	v_sub_u16_sdwa v53, v82, v52 dst_sel:BYTE_1 dst_unused:UNUSED_PAD src0_sel:BYTE_1 src1_sel:BYTE_1
	v_sub_u16_sdwa v82, v82, v52 dst_sel:DWORD dst_unused:UNUSED_PAD src0_sel:WORD_1 src1_sel:WORD_1
	v_sub_u16_sdwa v6, v6, v72 dst_sel:BYTE_1 dst_unused:UNUSED_PAD src0_sel:DWORD src1_sel:BYTE_3
	v_sub_u16_e32 v83, v4, v72
	v_sub_u16_sdwa v105, v4, v72 dst_sel:BYTE_1 dst_unused:UNUSED_PAD src0_sel:BYTE_1 src1_sel:BYTE_1
	v_sub_u16_sdwa v72, v4, v72 dst_sel:DWORD dst_unused:UNUSED_PAD src0_sel:WORD_1 src1_sel:WORD_1
	v_or_b32_sdwa v7, v7, v53 dst_sel:DWORD dst_unused:UNUSED_PAD src0_sel:BYTE_0 src1_sel:DWORD
	v_or_b32_sdwa v82, v82, v5 dst_sel:WORD_1 dst_unused:UNUSED_PAD src0_sel:BYTE_0 src1_sel:DWORD
	v_or_b32_sdwa v83, v83, v105 dst_sel:DWORD dst_unused:UNUSED_PAD src0_sel:BYTE_0 src1_sel:DWORD
	v_or_b32_sdwa v72, v72, v6 dst_sel:WORD_1 dst_unused:UNUSED_PAD src0_sel:BYTE_0 src1_sel:DWORD
	v_or_b32_sdwa v105, v7, v82 dst_sel:DWORD dst_unused:UNUSED_PAD src0_sel:WORD_0 src1_sel:DWORD
	v_or_b32_sdwa v110, v83, v72 dst_sel:DWORD dst_unused:UNUSED_PAD src0_sel:WORD_0 src1_sel:DWORD
	v_cvt_f32_f16_e32 v72, v109
	v_subrev_u32_e32 v109, 32, v114
	v_dot4c_i32_i8_e32 v106, v105, v73
	v_dot4c_i32_i8_e32 v107, v110, v73
	v_lshl_add_u64 v[6:7], v[62:63], 0, v[34:35]
	v_lshl_add_u64 v[52:53], v[50:51], 0, s[16:17]
	v_mul_lo_u32 v73, v109, v106
	v_mul_lo_u32 v82, v108, v107
	v_cvt_f32_i32_e32 v83, v82
	v_cvt_f32_i32_e32 v82, v73
	v_lshl_add_u64 v[4:5], v[60:61], 0, v[34:35]
	v_mov_b32_e32 v112, v15
	v_pk_fma_f32 v[72:73], v[72:73], v[82:83], v[8:9] op_sel_hi:[0,1,1]
	v_lshl_add_u64 v[82:83], v[62:63], 0, v[38:39]
	global_load_ubyte v106, v[6:7], off offset:96
	global_load_dword v107, v[0:1], off offset:4
	global_load_ubyte v111, v[82:83], off offset:104
	v_lshl_add_u64 v[0:1], v[52:53], 0, v[48:49]
	global_load_dword v52, v[0:1], off offset:4
	global_load_ubyte v53, v[4:5], off offset:96
	v_lshl_add_u64 v[8:9], v[60:61], 0, v[38:39]
	s_waitcnt vmcnt(4)
	v_bfe_u32 v0, v106, v29, 4
	s_waitcnt vmcnt(2)
	v_lshrrev_b32_e32 v1, v33, v111
	v_lshlrev_b32_e32 v1, 4, v1
	v_and_or_b32 v106, v1, 48, v0
	global_load_ubyte v0, v[8:9], off offset:104
	s_waitcnt vmcnt(1)
	v_bfe_u32 v1, v53, v32, 4
	v_bfe_u32 v53, v84, 14, 2
	v_bfe_u32 v84, v85, 14, 2
	v_lshrrev_b32_e32 v85, 6, v94
	v_lshrrev_b32_e32 v94, 1, v103
	;; [unrolled: 1-line block ×3, first 2 shown]
	v_and_b32_e32 v85, 0x3030303, v85
	v_and_b32_e32 v94, 0x4040404, v94
	;; [unrolled: 1-line block ×3, first 2 shown]
	v_sub_u16_sdwa v104, v85, v94 dst_sel:BYTE_1 dst_unused:UNUSED_PAD src0_sel:BYTE_1 src1_sel:BYTE_1
	v_sub_u16_sdwa v53, v53, v94 dst_sel:BYTE_1 dst_unused:UNUSED_PAD src0_sel:DWORD src1_sel:BYTE_3
	v_sub_u16_sdwa v84, v84, v103 dst_sel:BYTE_1 dst_unused:UNUSED_PAD src0_sel:DWORD src1_sel:BYTE_3
	v_subrev_u32_e32 v106, 32, v106
	s_waitcnt vmcnt(0)
	v_lshrrev_b32_e32 v0, v36, v0
	v_lshlrev_b32_e32 v0, 4, v0
	v_and_or_b32 v111, v0, 48, v1
	v_mov_b32_e32 v0, v15
	v_mov_b32_e32 v1, v15
	v_dot4c_i32_i8_e32 v0, v105, v52
	v_dot4c_i32_i8_e32 v1, v110, v52
	v_sub_u16_e32 v52, v85, v94
	v_sub_u16_sdwa v85, v85, v94 dst_sel:DWORD dst_unused:UNUSED_PAD src0_sel:WORD_1 src1_sel:WORD_1
	v_sub_u16_e32 v94, v95, v103
	v_sub_u16_sdwa v105, v95, v103 dst_sel:BYTE_1 dst_unused:UNUSED_PAD src0_sel:BYTE_1 src1_sel:BYTE_1
	v_sub_u16_sdwa v95, v95, v103 dst_sel:DWORD dst_unused:UNUSED_PAD src0_sel:WORD_1 src1_sel:WORD_1
	v_or_b32_sdwa v103, v52, v104 dst_sel:DWORD dst_unused:UNUSED_PAD src0_sel:BYTE_0 src1_sel:DWORD
	global_load_dword v52, v[50:51], off offset:72
	v_or_b32_sdwa v53, v85, v53 dst_sel:WORD_1 dst_unused:UNUSED_PAD src0_sel:BYTE_0 src1_sel:DWORD
	v_mov_b32_e32 v104, v15
	v_or_b32_sdwa v103, v103, v53 dst_sel:DWORD dst_unused:UNUSED_PAD src0_sel:WORD_0 src1_sel:DWORD
	v_or_b32_sdwa v94, v94, v105 dst_sel:DWORD dst_unused:UNUSED_PAD src0_sel:BYTE_0 src1_sel:DWORD
	v_or_b32_sdwa v95, v95, v84 dst_sel:WORD_1 dst_unused:UNUSED_PAD src0_sel:BYTE_0 src1_sel:DWORD
	v_mul_lo_u32 v0, v109, v0
	v_mul_lo_u32 v1, v108, v1
	v_subrev_u32_e32 v109, 32, v111
	v_dot4c_i32_i8_e32 v104, v103, v107
	v_cvt_f32_i32_e32 v1, v1
	v_cvt_f32_i32_e32 v0, v0
	v_or_b32_sdwa v108, v94, v95 dst_sel:DWORD dst_unused:UNUSED_PAD src0_sel:WORD_0 src1_sel:DWORD
	v_mul_lo_u32 v94, v109, v104
	v_cvt_f32_f16_e32 v104, v47
	global_load_dword v47, v[50:51], off offset:108
	v_mov_b32_e32 v110, v15
	v_lshl_add_u64 v[50:51], v[50:51], 0, s[22:23]
	v_dot4c_i32_i8_e32 v110, v108, v107
	v_lshl_add_u64 v[50:51], v[50:51], 0, v[48:49]
	v_cvt_f32_i32_e32 v94, v94
	v_mov_b32_e32 v105, v15
	v_mul_lo_u32 v95, v106, v110
	v_cvt_f32_i32_e32 v95, v95
	v_pk_fma_f32 v[72:73], v[104:105], v[94:95], v[72:73] op_sel_hi:[0,1,1]
	s_waitcnt vmcnt(1)
	v_cvt_f32_f16_e32 v52, v52
	v_pk_fma_f32 v[84:85], v[52:53], v[0:1], v[2:3] op_sel_hi:[0,1,1]
	scratch_load_dwordx4 v[0:3], off, off offset:16
	global_load_ushort v107, v[62:63], off offset:108
	global_load_ushort v110, v[60:61], off offset:108
	v_add_u32_e32 v52, s26, v102
	global_load_dword v50, v[50:51], off offset:4
	v_mad_u64_u32 v[52:53], s[34:35], v52, 36, v[40:41]
	global_load_ushort v51, v[88:89], off offset:34
	v_lshl_add_u64 v[94:95], v[52:53], 0, v[48:49]
	s_waitcnt vmcnt(1)
	v_dot4c_i32_i8_e32 v105, v103, v50
	v_dot4c_i32_i8_e32 v112, v108, v50
	s_nop 1
	v_mul_lo_u32 v104, v109, v105
	v_cvt_f32_i32_e32 v104, v104
	global_load_ushort v50, v[86:87], off offset:34
	global_load_ubyte v103, v[64:65], off offset:96
	v_mul_lo_u32 v105, v106, v112
	v_cvt_f32_i32_e32 v105, v105
	v_cvt_f32_f16_e32 v106, v47
	global_load_ubyte v108, v[70:71], off offset:104
	v_pk_fma_f32 v[84:85], v[106:107], v[104:105], v[84:85] op_sel_hi:[0,1,1]
	v_cvt_f32_f16_e32 v105, v107
	v_cvt_f32_f16_e32 v104, v110
	global_load_ubyte v47, v[68:69], off offset:96
	global_load_ubyte v106, v[66:67], off offset:104
	v_pk_fma_f32 v[0:1], v[72:73], v[104:105], v[0:1]
	v_pk_fma_f32 v[2:3], v[84:85], v[104:105], v[2:3]
	global_load_dword v72, v[90:91], off
	global_load_dword v73, v[92:93], off
	global_load_ushort v84, v[88:89], off offset:32
	global_load_ushort v85, v[86:87], off offset:32
	global_load_dword v107, v[94:95], off offset:4
	s_waitcnt vmcnt(10)
	v_lshlrev_b32_e32 v94, 16, v51
	v_bfe_u32 v51, v51, 14, 2
	s_waitcnt vmcnt(9)
	v_lshlrev_b32_e32 v95, 16, v50
	s_waitcnt vmcnt(8)
	v_bfe_u32 v103, v103, v98, 4
	v_bfe_u32 v50, v50, 14, 2
	s_waitcnt vmcnt(7)
	v_lshrrev_b32_e32 v105, v99, v108
	s_waitcnt vmcnt(6)
	v_bfe_u32 v47, v47, v98, 4
	s_waitcnt vmcnt(5)
	v_lshrrev_b32_e32 v106, v99, v106
	s_waitcnt vmcnt(4)
	v_ashrrev_i32_e32 v72, v97, v72
	s_waitcnt vmcnt(3)
	v_ashrrev_i32_e32 v73, v97, v73
	v_not_b32_e32 v120, v72
	s_waitcnt vmcnt(2)
	v_or_b32_e32 v109, v94, v84
	s_waitcnt vmcnt(1)
	v_or_b32_e32 v104, v95, v85
	v_lshlrev_b32_e32 v84, 4, v105
	v_lshlrev_b32_e32 v85, 4, v106
	v_not_b32_e32 v105, v73
	v_lshlrev_b32_e32 v72, 2, v120
	v_and_or_b32 v47, v85, 48, v47
	v_bfe_u32 v73, v109, 24, 2
	v_and_b32_e32 v85, 0x3030303, v109
	v_lshlrev_b32_e32 v94, 2, v105
	v_and_b32_e32 v72, 0x4040404, v72
	v_and_or_b32 v84, v84, 48, v103
	v_bfe_u32 v95, v104, 24, 2
	v_sub_u16_sdwa v73, v73, v72 dst_sel:BYTE_1 dst_unused:UNUSED_PAD src0_sel:DWORD src1_sel:BYTE_3
	v_sub_u16_e32 v103, v85, v72
	v_sub_u16_sdwa v106, v85, v72 dst_sel:BYTE_1 dst_unused:UNUSED_PAD src0_sel:BYTE_1 src1_sel:BYTE_1
	v_sub_u16_sdwa v72, v85, v72 dst_sel:DWORD dst_unused:UNUSED_PAD src0_sel:WORD_1 src1_sel:WORD_1
	v_and_b32_e32 v85, 0x3030303, v104
	v_and_b32_e32 v94, 0x4040404, v94
	v_sub_u16_sdwa v95, v95, v94 dst_sel:BYTE_1 dst_unused:UNUSED_PAD src0_sel:DWORD src1_sel:BYTE_3
	v_sub_u16_e32 v108, v85, v94
	v_sub_u16_sdwa v110, v85, v94 dst_sel:BYTE_1 dst_unused:UNUSED_PAD src0_sel:BYTE_1 src1_sel:BYTE_1
	v_sub_u16_sdwa v85, v85, v94 dst_sel:DWORD dst_unused:UNUSED_PAD src0_sel:WORD_1 src1_sel:WORD_1
	v_or_b32_sdwa v85, v85, v95 dst_sel:WORD_1 dst_unused:UNUSED_PAD src0_sel:BYTE_0 src1_sel:DWORD
	global_load_dword v95, v[52:53], off
	v_or_b32_sdwa v94, v103, v106 dst_sel:DWORD dst_unused:UNUSED_PAD src0_sel:BYTE_0 src1_sel:DWORD
	v_or_b32_sdwa v72, v72, v73 dst_sel:WORD_1 dst_unused:UNUSED_PAD src0_sel:BYTE_0 src1_sel:DWORD
	v_or_b32_sdwa v73, v108, v110 dst_sel:DWORD dst_unused:UNUSED_PAD src0_sel:BYTE_0 src1_sel:DWORD
	v_mov_b32_e32 v103, v15
	v_mov_b32_e32 v106, v15
	v_or_b32_sdwa v108, v94, v72 dst_sel:DWORD dst_unused:UNUSED_PAD src0_sel:WORD_0 src1_sel:DWORD
	v_or_b32_sdwa v110, v73, v85 dst_sel:DWORD dst_unused:UNUSED_PAD src0_sel:WORD_0 src1_sel:DWORD
	v_subrev_u32_e32 v111, 32, v84
	v_subrev_u32_e32 v47, 32, v47
	s_waitcnt vmcnt(1)
	v_dot4c_i32_i8_e32 v103, v108, v107
	v_dot4c_i32_i8_e32 v106, v110, v107
	v_lshl_add_u64 v[72:73], v[52:53], 0, 36
	v_lshl_add_u64 v[72:73], v[72:73], 0, v[48:49]
	v_mul_lo_u32 v84, v47, v103
	v_mul_lo_u32 v85, v111, v106
	v_cvt_f32_i32_e32 v85, v85
	v_cvt_f32_i32_e32 v84, v84
	v_lshlrev_b32_e32 v114, 1, v105
	v_and_b32_e32 v114, 0x4040404, v114
	s_waitcnt vmcnt(0)
	v_cvt_f32_f16_e32 v94, v95
	v_pk_fma_f32 v[84:85], v[94:95], v[84:85], 0 op_sel_hi:[0,1,0]
	global_load_ubyte v94, v[56:57], off offset:104
	global_load_ubyte v95, v[54:55], off offset:96
	global_load_dword v103, v[72:73], off offset:4
	global_load_ubyte v106, v[58:59], off offset:104
	s_waitcnt vmcnt(3)
	v_lshrrev_b32_e32 v72, v101, v94
	s_waitcnt vmcnt(2)
	v_bfe_u32 v73, v95, v100, 4
	v_lshlrev_b32_e32 v72, 4, v72
	v_and_or_b32 v72, v72, 48, v73
	global_load_ubyte v73, v[10:11], off offset:96
	s_waitcnt vmcnt(1)
	v_lshrrev_b32_e32 v94, v101, v106
	v_lshlrev_b32_e32 v94, 4, v94
	v_lshlrev_b32_e32 v106, 1, v120
	v_and_b32_e32 v106, 0x4040404, v106
	s_waitcnt vmcnt(0)
	v_bfe_u32 v73, v73, v100, 4
	v_and_or_b32 v73, v94, 48, v73
	v_lshrrev_b32_e32 v94, 2, v109
	v_and_b32_e32 v95, 0x3030303, v94
	v_bfe_u32 v94, v94, 24, 2
	v_sub_u16_sdwa v94, v94, v106 dst_sel:BYTE_1 dst_unused:UNUSED_PAD src0_sel:DWORD src1_sel:BYTE_3
	v_sub_u16_e32 v107, v95, v106
	v_sub_u16_sdwa v112, v95, v106 dst_sel:BYTE_1 dst_unused:UNUSED_PAD src0_sel:BYTE_1 src1_sel:BYTE_1
	v_sub_u16_sdwa v95, v95, v106 dst_sel:DWORD dst_unused:UNUSED_PAD src0_sel:WORD_1 src1_sel:WORD_1
	v_lshrrev_b32_e32 v106, 2, v104
	v_and_b32_e32 v113, 0x3030303, v106
	v_bfe_u32 v106, v106, 24, 2
	v_sub_u16_sdwa v106, v106, v114 dst_sel:BYTE_1 dst_unused:UNUSED_PAD src0_sel:DWORD src1_sel:BYTE_3
	v_sub_u16_e32 v115, v113, v114
	v_sub_u16_sdwa v116, v113, v114 dst_sel:BYTE_1 dst_unused:UNUSED_PAD src0_sel:BYTE_1 src1_sel:BYTE_1
	v_sub_u16_sdwa v113, v113, v114 dst_sel:DWORD dst_unused:UNUSED_PAD src0_sel:WORD_1 src1_sel:WORD_1
	v_or_b32_sdwa v107, v107, v112 dst_sel:DWORD dst_unused:UNUSED_PAD src0_sel:BYTE_0 src1_sel:DWORD
	v_or_b32_sdwa v94, v95, v94 dst_sel:WORD_1 dst_unused:UNUSED_PAD src0_sel:BYTE_0 src1_sel:DWORD
	v_or_b32_sdwa v95, v115, v116 dst_sel:DWORD dst_unused:UNUSED_PAD src0_sel:BYTE_0 src1_sel:DWORD
	v_or_b32_sdwa v106, v113, v106 dst_sel:WORD_1 dst_unused:UNUSED_PAD src0_sel:BYTE_0 src1_sel:DWORD
	v_or_b32_sdwa v107, v107, v94 dst_sel:DWORD dst_unused:UNUSED_PAD src0_sel:WORD_0 src1_sel:DWORD
	v_mov_b32_e32 v94, v15
	v_or_b32_sdwa v106, v95, v106 dst_sel:DWORD dst_unused:UNUSED_PAD src0_sel:WORD_0 src1_sel:DWORD
	v_dot4c_i32_i8_e32 v94, v107, v103
	v_mov_b32_e32 v95, v15
	v_subrev_u32_e32 v112, 32, v73
	v_dot4c_i32_i8_e32 v95, v106, v103
	v_subrev_u32_e32 v103, 32, v72
	v_mul_lo_u32 v72, v112, v94
	global_load_dword v94, v[52:53], off offset:36
	v_mul_lo_u32 v73, v103, v95
	v_cvt_f32_i32_e32 v73, v73
	v_cvt_f32_i32_e32 v72, v72
	v_mov_b32_e32 v113, v15
	v_and_b32_e32 v114, 0x4040404, v105
	v_lshrrev_b32_e32 v105, 1, v105
	v_and_b32_e32 v105, 0x4040404, v105
	v_sub_u16_sdwa v50, v50, v105 dst_sel:BYTE_1 dst_unused:UNUSED_PAD src0_sel:DWORD src1_sel:BYTE_3
	s_waitcnt vmcnt(0)
	v_cvt_f32_f16_e32 v94, v94
	v_pk_fma_f32 v[72:73], v[94:95], v[72:73], v[84:85] op_sel_hi:[0,1,1]
	v_add_u32_e32 v84, s27, v102
	v_mad_u64_u32 v[94:95], s[34:35], v84, 36, v[40:41]
	v_lshl_add_u64 v[84:85], v[94:95], 0, v[48:49]
	global_load_dword v84, v[84:85], off offset:4
	s_waitcnt vmcnt(0)
	v_dot4c_i32_i8_e32 v113, v108, v84
	v_mov_b32_e32 v108, v15
	v_dot4c_i32_i8_e32 v108, v110, v84
	v_lshl_add_u64 v[84:85], v[94:95], 0, 36
	v_lshl_add_u64 v[84:85], v[84:85], 0, v[48:49]
	global_load_dword v84, v[84:85], off offset:4
	v_mov_b32_e32 v110, v15
	v_mul_lo_u32 v47, v47, v113
	s_waitcnt vmcnt(0)
	v_dot4c_i32_i8_e32 v110, v107, v84
	v_mov_b32_e32 v107, v15
	v_dot4c_i32_i8_e32 v107, v106, v84
	v_mul_lo_u32 v84, v111, v108
	v_cvt_f32_i32_e32 v85, v84
	v_cvt_f32_i32_e32 v84, v47
	global_load_dword v47, v[94:95], off
	global_load_dword v108, v[94:95], off offset:36
	v_mul_lo_u32 v103, v103, v107
	s_waitcnt vmcnt(1)
	v_cvt_f32_f16_e32 v106, v47
	v_mul_lo_u32 v47, v112, v110
	s_waitcnt vmcnt(0)
	v_cvt_f32_f16_e32 v108, v108
	v_pk_fma_f32 v[84:85], v[106:107], v[84:85], 0 op_sel_hi:[0,1,0]
	v_cvt_f32_i32_e32 v107, v103
	v_cvt_f32_i32_e32 v106, v47
	global_load_ubyte v47, v[76:77], off offset:96
	global_load_ubyte v103, v[78:79], off offset:104
	v_pk_fma_f32 v[84:85], v[108:109], v[106:107], v[84:85] op_sel_hi:[0,1,1]
	v_lshl_add_u64 v[106:107], v[52:53], 0, s[16:17]
	v_lshl_add_u64 v[106:107], v[106:107], 0, v[48:49]
	global_load_dword v108, v[106:107], off offset:4
	global_load_ubyte v110, v[74:75], off offset:96
	s_waitcnt vmcnt(3)
	v_bfe_u32 v47, v47, v13, 4
	s_waitcnt vmcnt(2)
	v_lshrrev_b32_e32 v103, v25, v103
	v_lshlrev_b32_e32 v103, 4, v103
	v_and_or_b32 v47, v103, 48, v47
	global_load_ubyte v103, v[80:81], off offset:104
	v_subrev_u32_e32 v47, 32, v47
	s_waitcnt vmcnt(1)
	v_bfe_u32 v106, v110, v24, 4
	v_and_b32_e32 v110, 0x4040404, v120
	s_waitcnt vmcnt(0)
	v_lshrrev_b32_e32 v103, v28, v103
	v_lshlrev_b32_e32 v103, 4, v103
	v_and_or_b32 v103, v103, 48, v106
	v_lshrrev_b32_e32 v106, 4, v109
	v_and_b32_e32 v107, 0x3030303, v106
	v_bfe_u32 v106, v106, 24, 2
	v_sub_u16_sdwa v106, v106, v110 dst_sel:BYTE_1 dst_unused:UNUSED_PAD src0_sel:DWORD src1_sel:BYTE_3
	v_sub_u16_e32 v111, v107, v110
	v_sub_u16_sdwa v112, v107, v110 dst_sel:BYTE_1 dst_unused:UNUSED_PAD src0_sel:BYTE_1 src1_sel:BYTE_1
	v_sub_u16_sdwa v107, v107, v110 dst_sel:DWORD dst_unused:UNUSED_PAD src0_sel:WORD_1 src1_sel:WORD_1
	v_lshrrev_b32_e32 v110, 4, v104
	v_and_b32_e32 v113, 0x3030303, v110
	v_bfe_u32 v110, v110, 24, 2
	v_sub_u16_sdwa v110, v110, v114 dst_sel:BYTE_1 dst_unused:UNUSED_PAD src0_sel:DWORD src1_sel:BYTE_3
	v_sub_u16_e32 v115, v113, v114
	v_sub_u16_sdwa v116, v113, v114 dst_sel:BYTE_1 dst_unused:UNUSED_PAD src0_sel:BYTE_1 src1_sel:BYTE_1
	v_sub_u16_sdwa v113, v113, v114 dst_sel:DWORD dst_unused:UNUSED_PAD src0_sel:WORD_1 src1_sel:WORD_1
	v_or_b32_sdwa v111, v111, v112 dst_sel:DWORD dst_unused:UNUSED_PAD src0_sel:BYTE_0 src1_sel:DWORD
	v_or_b32_sdwa v106, v107, v106 dst_sel:WORD_1 dst_unused:UNUSED_PAD src0_sel:BYTE_0 src1_sel:DWORD
	v_or_b32_sdwa v107, v115, v116 dst_sel:DWORD dst_unused:UNUSED_PAD src0_sel:BYTE_0 src1_sel:DWORD
	v_or_b32_sdwa v110, v113, v110 dst_sel:WORD_1 dst_unused:UNUSED_PAD src0_sel:BYTE_0 src1_sel:DWORD
	v_or_b32_sdwa v111, v111, v106 dst_sel:DWORD dst_unused:UNUSED_PAD src0_sel:WORD_0 src1_sel:DWORD
	v_or_b32_sdwa v110, v107, v110 dst_sel:DWORD dst_unused:UNUSED_PAD src0_sel:WORD_0 src1_sel:DWORD
	v_mov_b32_e32 v106, v15
	v_mov_b32_e32 v107, v15
	v_dot4c_i32_i8_e32 v106, v111, v108
	v_dot4c_i32_i8_e32 v107, v110, v108
	global_load_dword v108, v[52:53], off offset:72
	v_subrev_u32_e32 v103, 32, v103
	v_mul_lo_u32 v106, v103, v106
	v_mul_lo_u32 v107, v47, v107
	v_cvt_f32_i32_e32 v107, v107
	v_cvt_f32_i32_e32 v106, v106
	v_lshrrev_b32_e32 v104, 6, v104
	v_and_b32_e32 v104, 0x3030303, v104
	s_waitcnt vmcnt(0)
	v_cvt_f32_f16_e32 v108, v108
	v_pk_fma_f32 v[112:113], v[108:109], v[106:107], v[72:73] op_sel_hi:[0,1,1]
	v_lshl_add_u64 v[72:73], v[94:95], 0, s[16:17]
	v_lshl_add_u64 v[72:73], v[72:73], 0, v[48:49]
	global_load_dword v72, v[72:73], off offset:4
	v_mov_b32_e32 v73, v15
	v_mov_b32_e32 v106, v15
	v_lshrrev_b32_e32 v109, 6, v109
	v_and_b32_e32 v109, 0x3030303, v109
	s_waitcnt vmcnt(0)
	v_dot4c_i32_i8_e32 v73, v111, v72
	v_dot4c_i32_i8_e32 v106, v110, v72
	s_nop 1
	v_mul_lo_u32 v72, v103, v73
	global_load_dword v103, v[94:95], off offset:72
	v_cvt_f32_i32_e32 v72, v72
	v_mul_lo_u32 v47, v47, v106
	v_cvt_f32_i32_e32 v73, v47
	v_add_u32_e32 v47, s9, v102
	s_waitcnt vmcnt(0)
	v_cvt_f32_f16_e32 v106, v103
	v_pk_fma_f32 v[114:115], v[106:107], v[72:73], v[84:85] op_sel_hi:[0,1,1]
	v_mad_u64_u32 v[84:85], s[34:35], v47, 36, v[40:41]
	v_lshl_add_u64 v[72:73], v[84:85], 0, v[48:49]
	global_load_dword v47, v[72:73], off offset:4
	global_load_ushort v123, v[90:91], off
	global_load_ushort v103, v[90:91], off offset:2
	global_load_ushort v107, v[88:89], off offset:34
	;; [unrolled: 1-line block ×3, first 2 shown]
	s_waitcnt vmcnt(2)
	v_lshl_or_b32 v72, v103, 16, v123
	v_ashrrev_i32_e32 v72, v97, v72
	s_waitcnt vmcnt(1)
	v_lshlrev_b32_e32 v73, 16, v107
	v_not_b32_e32 v108, v72
	s_waitcnt vmcnt(0)
	v_or_b32_e32 v110, v73, v124
	v_lshlrev_b32_e32 v72, 2, v108
	v_and_b32_e32 v72, 0x4040404, v72
	v_bfe_u32 v73, v110, 24, 2
	v_and_b32_e32 v103, 0x3030303, v110
	v_sub_u16_sdwa v73, v73, v72 dst_sel:BYTE_1 dst_unused:UNUSED_PAD src0_sel:DWORD src1_sel:BYTE_3
	v_sub_u16_e32 v106, v103, v72
	v_sub_u16_sdwa v118, v103, v72 dst_sel:BYTE_1 dst_unused:UNUSED_PAD src0_sel:BYTE_1 src1_sel:BYTE_1
	v_sub_u16_sdwa v72, v103, v72 dst_sel:DWORD dst_unused:UNUSED_PAD src0_sel:WORD_1 src1_sel:WORD_1
	global_load_ushort v103, v[92:93], off offset:2
	global_load_ushort v125, v[92:93], off
	global_load_ushort v111, v[86:87], off offset:34
	global_load_ushort v126, v[86:87], off offset:32
	v_or_b32_sdwa v106, v106, v118 dst_sel:DWORD dst_unused:UNUSED_PAD src0_sel:BYTE_0 src1_sel:DWORD
	v_or_b32_sdwa v72, v72, v73 dst_sel:WORD_1 dst_unused:UNUSED_PAD src0_sel:BYTE_0 src1_sel:DWORD
	v_lshlrev_b32_e32 v118, 1, v108
	v_or_b32_sdwa v72, v106, v72 dst_sel:DWORD dst_unused:UNUSED_PAD src0_sel:WORD_0 src1_sel:DWORD
	v_mov_b32_e32 v106, v15
	v_and_b32_e32 v118, 0x4040404, v118
	s_waitcnt vmcnt(2)
	v_lshl_or_b32 v103, v103, 16, v125
	v_ashrrev_i32_e32 v103, v97, v103
	s_waitcnt vmcnt(1)
	v_lshlrev_b32_e32 v116, 16, v111
	s_waitcnt vmcnt(0)
	v_or_b32_e32 v117, v116, v126
	v_not_b32_e32 v116, v103
	v_lshlrev_b32_e32 v103, 2, v116
	v_and_b32_e32 v103, 0x4040404, v103
	v_bfe_u32 v119, v117, 24, 2
	v_and_b32_e32 v121, 0x3030303, v117
	v_sub_u16_sdwa v119, v119, v103 dst_sel:BYTE_1 dst_unused:UNUSED_PAD src0_sel:DWORD src1_sel:BYTE_3
	v_sub_u16_e32 v122, v121, v103
	v_sub_u16_sdwa v127, v121, v103 dst_sel:BYTE_1 dst_unused:UNUSED_PAD src0_sel:BYTE_1 src1_sel:BYTE_1
	v_sub_u16_sdwa v103, v121, v103 dst_sel:DWORD dst_unused:UNUSED_PAD src0_sel:WORD_1 src1_sel:WORD_1
	v_or_b32_sdwa v73, v122, v127 dst_sel:DWORD dst_unused:UNUSED_PAD src0_sel:BYTE_0 src1_sel:DWORD
	v_or_b32_sdwa v103, v103, v119 dst_sel:WORD_1 dst_unused:UNUSED_PAD src0_sel:BYTE_0 src1_sel:DWORD
	v_lshlrev_b32_e32 v127, 1, v116
	v_or_b32_sdwa v73, v73, v103 dst_sel:DWORD dst_unused:UNUSED_PAD src0_sel:WORD_0 src1_sel:DWORD
	v_mov_b32_e32 v103, v15
	v_dot4c_i32_i8_e32 v103, v72, v47
	v_dot4c_i32_i8_e32 v106, v73, v47
	v_lshl_add_u64 v[72:73], v[84:85], 0, 36
	v_lshl_add_u64 v[72:73], v[72:73], 0, v[48:49]
	global_load_dword v47, v[72:73], off offset:4
	v_lshrrev_b32_e32 v72, 2, v110
	v_and_b32_e32 v73, 0x3030303, v72
	v_bfe_u32 v72, v72, 24, 2
	v_sub_u16_sdwa v72, v72, v118 dst_sel:BYTE_1 dst_unused:UNUSED_PAD src0_sel:DWORD src1_sel:BYTE_3
	v_sub_u16_e32 v119, v73, v118
	v_sub_u16_sdwa v121, v73, v118 dst_sel:BYTE_1 dst_unused:UNUSED_PAD src0_sel:BYTE_1 src1_sel:BYTE_1
	v_sub_u16_sdwa v73, v73, v118 dst_sel:DWORD dst_unused:UNUSED_PAD src0_sel:WORD_1 src1_sel:WORD_1
	v_lshrrev_b32_e32 v118, 2, v117
	v_and_b32_e32 v122, 0x3030303, v118
	v_bfe_u32 v118, v118, 24, 2
	v_and_b32_e32 v127, 0x4040404, v127
	v_sub_u16_sdwa v118, v118, v127 dst_sel:BYTE_1 dst_unused:UNUSED_PAD src0_sel:DWORD src1_sel:BYTE_3
	v_sub_u16_e32 v128, v122, v127
	v_sub_u16_sdwa v129, v122, v127 dst_sel:BYTE_1 dst_unused:UNUSED_PAD src0_sel:BYTE_1 src1_sel:BYTE_1
	v_sub_u16_sdwa v122, v122, v127 dst_sel:DWORD dst_unused:UNUSED_PAD src0_sel:WORD_1 src1_sel:WORD_1
	v_or_b32_sdwa v119, v119, v121 dst_sel:DWORD dst_unused:UNUSED_PAD src0_sel:BYTE_0 src1_sel:DWORD
	v_or_b32_sdwa v72, v73, v72 dst_sel:WORD_1 dst_unused:UNUSED_PAD src0_sel:BYTE_0 src1_sel:DWORD
	v_or_b32_sdwa v73, v128, v129 dst_sel:DWORD dst_unused:UNUSED_PAD src0_sel:BYTE_0 src1_sel:DWORD
	v_or_b32_sdwa v118, v122, v118 dst_sel:WORD_1 dst_unused:UNUSED_PAD src0_sel:BYTE_0 src1_sel:DWORD
	v_or_b32_sdwa v72, v119, v72 dst_sel:DWORD dst_unused:UNUSED_PAD src0_sel:WORD_0 src1_sel:DWORD
	v_or_b32_sdwa v73, v73, v118 dst_sel:DWORD dst_unused:UNUSED_PAD src0_sel:WORD_0 src1_sel:DWORD
	v_mov_b32_e32 v118, v15
	v_mov_b32_e32 v119, v15
	v_sub_u16_sdwa v128, v104, v105 dst_sel:BYTE_1 dst_unused:UNUSED_PAD src0_sel:BYTE_1 src1_sel:BYTE_1
	s_waitcnt vmcnt(0)
	v_dot4c_i32_i8_e32 v118, v72, v47
	global_load_ubyte v72, v[70:71], off offset:104
	v_dot4c_i32_i8_e32 v119, v73, v47
	global_load_ubyte v73, v[66:67], off offset:104
	global_load_ubyte v47, v[64:65], off offset:96
	s_waitcnt vmcnt(2)
	v_lshrrev_b32_e32 v72, v99, v72
	v_lshlrev_b32_e32 v72, 4, v72
	s_waitcnt vmcnt(1)
	v_lshrrev_b32_e32 v73, v99, v73
	s_waitcnt vmcnt(0)
	v_bfe_u32 v47, v47, v98, 4
	v_and_or_b32 v47, v72, 48, v47
	global_load_ubyte v72, v[68:69], off offset:96
	v_lshlrev_b32_e32 v73, 4, v73
	v_subrev_u32_e32 v121, 32, v47
	s_waitcnt vmcnt(0)
	v_bfe_u32 v72, v72, v98, 4
	v_and_or_b32 v72, v73, 48, v72
	v_subrev_u32_e32 v122, 32, v72
	v_mul_lo_u32 v47, v122, v103
	v_mul_lo_u32 v72, v121, v106
	v_cvt_f32_i32_e32 v73, v72
	v_cvt_f32_i32_e32 v72, v47
	global_load_dword v47, v[84:85], off
	global_load_ubyte v103, v[54:55], off offset:96
	s_waitcnt vmcnt(1)
	v_cvt_f32_f16_e32 v106, v47
	global_load_ubyte v47, v[56:57], off offset:104
	v_pk_fma_f32 v[72:73], v[106:107], v[72:73], 0 op_sel_hi:[0,1,0]
	global_load_ubyte v106, v[10:11], off offset:96
	s_waitcnt vmcnt(2)
	v_bfe_u32 v103, v103, v100, 4
	s_waitcnt vmcnt(1)
	v_lshrrev_b32_e32 v47, v101, v47
	v_lshlrev_b32_e32 v47, 4, v47
	v_and_or_b32 v47, v47, 48, v103
	global_load_ubyte v103, v[58:59], off offset:104
	s_waitcnt vmcnt(1)
	v_bfe_u32 v106, v106, v100, 4
	v_subrev_u32_e32 v47, 32, v47
	s_waitcnt vmcnt(0)
	v_lshrrev_b32_e32 v103, v101, v103
	v_lshlrev_b32_e32 v103, 4, v103
	v_and_or_b32 v103, v103, 48, v106
	v_subrev_u32_e32 v103, 32, v103
	v_mul_lo_u32 v106, v103, v118
	v_mul_lo_u32 v118, v47, v119
	v_cvt_f32_i32_e32 v119, v118
	v_cvt_f32_i32_e32 v118, v106
	global_load_dword v106, v[84:85], off offset:36
	s_waitcnt vmcnt(0)
	v_cvt_f32_f16_e32 v106, v106
	v_pk_fma_f32 v[72:73], v[106:107], v[118:119], v[72:73] op_sel_hi:[0,1,1]
	global_load_dword v106, v[52:53], off offset:108
	v_lshl_add_u64 v[52:53], v[52:53], 0, s[22:23]
	v_lshl_add_u64 v[52:53], v[52:53], 0, v[48:49]
	global_load_dword v118, v[52:53], off offset:4
	global_load_ubyte v119, v[6:7], off offset:96
	global_load_dword v129, v[86:87], off offset:32
	v_bfe_u32 v107, v107, 14, 2
	global_load_ubyte v53, v[82:83], off offset:104
	s_waitcnt vmcnt(2)
	v_bfe_u32 v52, v119, v29, 4
	global_load_ubyte v119, v[8:9], off offset:104
	s_waitcnt vmcnt(1)
	v_lshrrev_b32_e32 v53, v33, v53
	v_lshlrev_b32_e32 v53, 4, v53
	v_and_or_b32 v52, v53, 48, v52
	global_load_ubyte v53, v[4:5], off offset:96
	s_waitcnt vmcnt(1)
	v_lshrrev_b32_e32 v119, v36, v119
	v_lshlrev_b32_e32 v119, 4, v119
	s_waitcnt vmcnt(0)
	v_bfe_u32 v53, v53, v32, 4
	v_and_or_b32 v53, v119, 48, v53
	v_lshrrev_b32_e32 v119, 1, v120
	v_and_b32_e32 v119, 0x4040404, v119
	v_sub_u16_sdwa v51, v51, v119 dst_sel:BYTE_1 dst_unused:UNUSED_PAD src0_sel:DWORD src1_sel:BYTE_3
	v_sub_u16_e32 v120, v109, v119
	v_sub_u16_sdwa v127, v109, v119 dst_sel:BYTE_1 dst_unused:UNUSED_PAD src0_sel:BYTE_1 src1_sel:BYTE_1
	v_sub_u16_sdwa v109, v109, v119 dst_sel:DWORD dst_unused:UNUSED_PAD src0_sel:WORD_1 src1_sel:WORD_1
	v_sub_u16_e32 v119, v104, v105
	v_sub_u16_sdwa v104, v104, v105 dst_sel:DWORD dst_unused:UNUSED_PAD src0_sel:WORD_1 src1_sel:WORD_1
	v_or_b32_sdwa v105, v120, v127 dst_sel:DWORD dst_unused:UNUSED_PAD src0_sel:BYTE_0 src1_sel:DWORD
	v_or_b32_sdwa v51, v109, v51 dst_sel:WORD_1 dst_unused:UNUSED_PAD src0_sel:BYTE_0 src1_sel:DWORD
	v_or_b32_sdwa v109, v119, v128 dst_sel:DWORD dst_unused:UNUSED_PAD src0_sel:BYTE_0 src1_sel:DWORD
	v_or_b32_sdwa v50, v104, v50 dst_sel:WORD_1 dst_unused:UNUSED_PAD src0_sel:BYTE_0 src1_sel:DWORD
	v_or_b32_sdwa v104, v105, v51 dst_sel:DWORD dst_unused:UNUSED_PAD src0_sel:WORD_0 src1_sel:DWORD
	v_or_b32_sdwa v105, v109, v50 dst_sel:DWORD dst_unused:UNUSED_PAD src0_sel:WORD_0 src1_sel:DWORD
	v_mov_b32_e32 v50, v15
	v_mov_b32_e32 v51, v15
	v_dot4c_i32_i8_e32 v50, v104, v118
	v_dot4c_i32_i8_e32 v51, v105, v118
	v_subrev_u32_e32 v109, 32, v52
	v_subrev_u32_e32 v118, 32, v53
	v_mul_lo_u32 v50, v118, v50
	v_mul_lo_u32 v51, v109, v51
	v_cvt_f32_i32_e32 v51, v51
	v_cvt_f32_i32_e32 v50, v50
	v_cvt_f32_f16_e32 v52, v106
	global_load_dword v120, v[90:91], off
	global_load_dword v127, v[92:93], off
	global_load_dword v128, v[88:89], off offset:32
	v_pk_fma_f32 v[50:51], v[52:53], v[50:51], v[112:113] op_sel_hi:[0,1,1]
	v_lshl_add_u64 v[52:53], v[94:95], 0, s[22:23]
	v_lshl_add_u64 v[52:53], v[52:53], 0, v[48:49]
	global_load_dword v52, v[52:53], off offset:4
	v_mov_b32_e32 v53, v15
	global_load_dword v94, v[94:95], off offset:108
	v_and_b32_e32 v113, 0x4040404, v116
	v_lshrrev_b32_e32 v116, 1, v116
	v_and_b32_e32 v116, 0x4040404, v116
	s_waitcnt vmcnt(1)
	v_dot4c_i32_i8_e32 v53, v104, v52
	v_mov_b32_e32 v104, v15
	v_dot4c_i32_i8_e32 v104, v105, v52
	s_nop 0
	v_mul_lo_u32 v52, v118, v53
	v_cvt_f32_i32_e32 v52, v52
	s_waitcnt vmcnt(0)
	v_cvt_f32_f16_e32 v94, v94
	v_mul_lo_u32 v53, v109, v104
	v_cvt_f32_i32_e32 v53, v53
	v_and_b32_e32 v105, 0x4040404, v108
	v_and_b32_e32 v118, 0xffff0000, v129
	v_or_b32_e32 v119, v118, v126
	v_pk_fma_f32 v[52:53], v[94:95], v[52:53], v[114:115] op_sel_hi:[0,1,1]
	v_lshl_add_u64 v[94:95], v[84:85], 0, s[16:17]
	v_lshl_add_u64 v[94:95], v[94:95], 0, v[48:49]
	global_load_dword v94, v[94:95], off offset:4
	v_lshrrev_b32_e32 v95, 4, v110
	v_and_b32_e32 v104, 0x3030303, v95
	v_bfe_u32 v95, v95, 24, 2
	v_sub_u16_sdwa v95, v95, v105 dst_sel:BYTE_1 dst_unused:UNUSED_PAD src0_sel:DWORD src1_sel:BYTE_3
	v_sub_u16_e32 v106, v104, v105
	v_sub_u16_sdwa v109, v104, v105 dst_sel:BYTE_1 dst_unused:UNUSED_PAD src0_sel:BYTE_1 src1_sel:BYTE_1
	v_sub_u16_sdwa v104, v104, v105 dst_sel:DWORD dst_unused:UNUSED_PAD src0_sel:WORD_1 src1_sel:WORD_1
	v_lshrrev_b32_e32 v105, 4, v117
	v_and_b32_e32 v112, 0x3030303, v105
	v_bfe_u32 v105, v105, 24, 2
	v_sub_u16_sdwa v105, v105, v113 dst_sel:BYTE_1 dst_unused:UNUSED_PAD src0_sel:DWORD src1_sel:BYTE_3
	v_sub_u16_e32 v114, v112, v113
	v_sub_u16_sdwa v115, v112, v113 dst_sel:BYTE_1 dst_unused:UNUSED_PAD src0_sel:BYTE_1 src1_sel:BYTE_1
	v_sub_u16_sdwa v112, v112, v113 dst_sel:DWORD dst_unused:UNUSED_PAD src0_sel:WORD_1 src1_sel:WORD_1
	v_or_b32_sdwa v106, v106, v109 dst_sel:DWORD dst_unused:UNUSED_PAD src0_sel:BYTE_0 src1_sel:DWORD
	v_or_b32_sdwa v95, v104, v95 dst_sel:WORD_1 dst_unused:UNUSED_PAD src0_sel:BYTE_0 src1_sel:DWORD
	v_or_b32_sdwa v104, v114, v115 dst_sel:DWORD dst_unused:UNUSED_PAD src0_sel:BYTE_0 src1_sel:DWORD
	v_or_b32_sdwa v105, v112, v105 dst_sel:WORD_1 dst_unused:UNUSED_PAD src0_sel:BYTE_0 src1_sel:DWORD
	v_or_b32_sdwa v95, v106, v95 dst_sel:DWORD dst_unused:UNUSED_PAD src0_sel:WORD_0 src1_sel:DWORD
	v_or_b32_sdwa v106, v104, v105 dst_sel:DWORD dst_unused:UNUSED_PAD src0_sel:WORD_0 src1_sel:DWORD
	v_mov_b32_e32 v104, v15
	v_mov_b32_e32 v105, v15
	v_and_b32_e32 v113, 0xffff0000, v128
	v_or_b32_e32 v114, v113, v124
	v_lshrrev_b32_e32 v110, 6, v110
	v_lshrrev_b32_e32 v108, 1, v108
	v_and_b32_e32 v110, 0x3030303, v110
	v_and_b32_e32 v108, 0x4040404, v108
	v_sub_u16_sdwa v107, v107, v108 dst_sel:BYTE_1 dst_unused:UNUSED_PAD src0_sel:DWORD src1_sel:BYTE_3
	s_waitcnt vmcnt(0)
	v_dot4c_i32_i8_e32 v104, v95, v94
	v_dot4c_i32_i8_e32 v105, v106, v94
	v_and_b32_e32 v94, 0xffff0000, v120
	v_or_b32_e32 v94, v94, v123
	v_and_b32_e32 v95, 0xffff0000, v127
	v_or_b32_e32 v95, v95, v125
	v_ashrrev_i32_e32 v94, v97, v94
	v_not_b32_e32 v112, v94
	v_lshrrev_b32_e32 v94, 4, v114
	v_ashrrev_i32_e32 v95, v97, v95
	v_and_b32_e32 v106, 0x3030303, v94
	v_bfe_u32 v94, v94, 24, 2
	v_and_b32_e32 v109, 0x4040404, v112
	v_not_b32_e32 v115, v95
	v_lshrrev_b32_e32 v95, 4, v119
	v_sub_u16_sdwa v94, v94, v109 dst_sel:BYTE_1 dst_unused:UNUSED_PAD src0_sel:DWORD src1_sel:BYTE_3
	v_sub_u16_e32 v123, v106, v109
	v_sub_u16_sdwa v124, v106, v109 dst_sel:BYTE_1 dst_unused:UNUSED_PAD src0_sel:BYTE_1 src1_sel:BYTE_1
	v_sub_u16_sdwa v106, v106, v109 dst_sel:DWORD dst_unused:UNUSED_PAD src0_sel:WORD_1 src1_sel:WORD_1
	v_and_b32_e32 v109, 0x3030303, v95
	v_bfe_u32 v95, v95, 24, 2
	v_and_b32_e32 v125, 0x4040404, v115
	v_sub_u16_sdwa v95, v95, v125 dst_sel:BYTE_1 dst_unused:UNUSED_PAD src0_sel:DWORD src1_sel:BYTE_3
	v_sub_u16_e32 v126, v109, v125
	v_sub_u16_sdwa v130, v109, v125 dst_sel:BYTE_1 dst_unused:UNUSED_PAD src0_sel:BYTE_1 src1_sel:BYTE_1
	v_sub_u16_sdwa v109, v109, v125 dst_sel:DWORD dst_unused:UNUSED_PAD src0_sel:WORD_1 src1_sel:WORD_1
	v_or_b32_sdwa v123, v123, v124 dst_sel:DWORD dst_unused:UNUSED_PAD src0_sel:BYTE_0 src1_sel:DWORD
	v_or_b32_sdwa v94, v106, v94 dst_sel:WORD_1 dst_unused:UNUSED_PAD src0_sel:BYTE_0 src1_sel:DWORD
	v_or_b32_sdwa v106, v126, v130 dst_sel:DWORD dst_unused:UNUSED_PAD src0_sel:BYTE_0 src1_sel:DWORD
	v_or_b32_sdwa v95, v109, v95 dst_sel:WORD_1 dst_unused:UNUSED_PAD src0_sel:BYTE_0 src1_sel:DWORD
	v_or_b32_sdwa v109, v123, v94 dst_sel:DWORD dst_unused:UNUSED_PAD src0_sel:WORD_0 src1_sel:DWORD
	v_or_b32_sdwa v123, v106, v95 dst_sel:DWORD dst_unused:UNUSED_PAD src0_sel:WORD_0 src1_sel:DWORD
	v_lshl_add_u64 v[94:95], v[44:45], 0, v[42:43]
	global_load_dword v124, v[94:95], off offset:76
	v_mov_b32_e32 v106, v15
	s_waitcnt vmcnt(0)
	v_dot4c_i32_i8_e32 v106, v109, v124
	v_mov_b32_e32 v109, v15
	v_dot4c_i32_i8_e32 v109, v123, v124
	v_lshl_add_u64 v[124:125], v[84:85], 0, s[22:23]
	v_lshl_add_u64 v[124:125], v[124:125], 0, v[48:49]
	global_load_dword v123, v[124:125], off offset:4
	v_sub_u16_e32 v124, v110, v108
	v_sub_u16_sdwa v125, v110, v108 dst_sel:BYTE_1 dst_unused:UNUSED_PAD src0_sel:BYTE_1 src1_sel:BYTE_1
	v_sub_u16_sdwa v110, v110, v108 dst_sel:DWORD dst_unused:UNUSED_PAD src0_sel:WORD_1 src1_sel:WORD_1
	v_bfe_u32 v108, v111, 14, 2
	v_lshrrev_b32_e32 v111, 6, v117
	v_and_b32_e32 v111, 0x3030303, v111
	v_sub_u16_e32 v117, v111, v116
	v_sub_u16_sdwa v126, v111, v116 dst_sel:BYTE_1 dst_unused:UNUSED_PAD src0_sel:BYTE_1 src1_sel:BYTE_1
	v_sub_u16_sdwa v111, v111, v116 dst_sel:DWORD dst_unused:UNUSED_PAD src0_sel:WORD_1 src1_sel:WORD_1
	v_sub_u16_sdwa v108, v108, v116 dst_sel:BYTE_1 dst_unused:UNUSED_PAD src0_sel:DWORD src1_sel:BYTE_3
	v_or_b32_sdwa v116, v124, v125 dst_sel:DWORD dst_unused:UNUSED_PAD src0_sel:BYTE_0 src1_sel:DWORD
	v_or_b32_sdwa v107, v110, v107 dst_sel:WORD_1 dst_unused:UNUSED_PAD src0_sel:BYTE_0 src1_sel:DWORD
	v_or_b32_sdwa v110, v117, v126 dst_sel:DWORD dst_unused:UNUSED_PAD src0_sel:BYTE_0 src1_sel:DWORD
	v_or_b32_sdwa v108, v111, v108 dst_sel:WORD_1 dst_unused:UNUSED_PAD src0_sel:BYTE_0 src1_sel:DWORD
	v_or_b32_sdwa v111, v116, v107 dst_sel:DWORD dst_unused:UNUSED_PAD src0_sel:WORD_0 src1_sel:DWORD
	v_or_b32_sdwa v110, v110, v108 dst_sel:DWORD dst_unused:UNUSED_PAD src0_sel:WORD_0 src1_sel:DWORD
	v_mov_b32_e32 v107, v15
	v_mov_b32_e32 v108, v15
	s_waitcnt vmcnt(0)
	v_dot4c_i32_i8_e32 v107, v111, v123
	v_dot4c_i32_i8_e32 v108, v110, v123
	global_load_ushort v110, v[90:91], off offset:2
	global_load_ushort v111, v[90:91], off
	global_load_ushort v124, v[88:89], off offset:34
	global_load_ushort v116, v[88:89], off offset:32
	;; [unrolled: 1-line block ×3, first 2 shown]
	global_load_ushort v125, v[92:93], off
                                        ; kill: killed $vgpr88_vgpr89
                                        ; kill: killed $vgpr90_vgpr91
                                        ; kill: killed $vgpr92_vgpr93
	global_load_ushort v123, v[86:87], off offset:34
	s_nop 0
	global_load_ushort v88, v[86:87], off offset:32
	v_add_u32_e32 v86, s28, v102
	v_mad_u64_u32 v[90:91], s[34:35], v86, 36, v[40:41]
	v_lshl_add_u64 v[86:87], v[90:91], 0, s[16:17]
	v_lshl_add_u64 v[86:87], v[86:87], 0, v[48:49]
	global_load_dword v89, v[86:87], off offset:4
	s_waitcnt vmcnt(8)
	v_lshlrev_b32_e32 v130, 16, v110
	s_waitcnt vmcnt(7)
	v_or_b32_e32 v86, v130, v111
	s_waitcnt vmcnt(6)
	v_lshlrev_b32_e32 v131, 16, v124
	s_waitcnt vmcnt(5)
	v_or_b32_e32 v87, v131, v116
	v_ashrrev_i32_e32 v86, v97, v86
	v_not_b32_e32 v86, v86
	v_lshrrev_b32_e32 v92, 4, v87
	v_and_b32_e32 v93, 0x3030303, v92
	v_bfe_u32 v92, v92, 24, 2
	v_and_b32_e32 v110, 0x4040404, v86
	s_waitcnt vmcnt(4)
	v_lshlrev_b32_e32 v117, 16, v117
	v_sub_u16_sdwa v92, v92, v110 dst_sel:BYTE_1 dst_unused:UNUSED_PAD src0_sel:DWORD src1_sel:BYTE_3
	v_sub_u16_e32 v111, v93, v110
	v_sub_u16_sdwa v116, v93, v110 dst_sel:BYTE_1 dst_unused:UNUSED_PAD src0_sel:BYTE_1 src1_sel:BYTE_1
	v_sub_u16_sdwa v93, v93, v110 dst_sel:DWORD dst_unused:UNUSED_PAD src0_sel:WORD_1 src1_sel:WORD_1
	s_waitcnt vmcnt(3)
	v_or_b32_e32 v110, v117, v125
	s_waitcnt vmcnt(2)
	v_lshlrev_b32_e32 v132, 16, v123
	s_waitcnt vmcnt(1)
	v_or_b32_e32 v126, v132, v88
	v_ashrrev_i32_e32 v88, v97, v110
	v_not_b32_e32 v125, v88
	v_lshrrev_b32_e32 v88, 4, v126
	v_and_b32_e32 v110, 0x3030303, v88
	v_bfe_u32 v88, v88, 24, 2
	v_and_b32_e32 v133, 0x4040404, v125
	v_sub_u16_sdwa v88, v88, v133 dst_sel:BYTE_1 dst_unused:UNUSED_PAD src0_sel:DWORD src1_sel:BYTE_3
	v_sub_u16_e32 v134, v110, v133
	v_sub_u16_sdwa v135, v110, v133 dst_sel:BYTE_1 dst_unused:UNUSED_PAD src0_sel:BYTE_1 src1_sel:BYTE_1
	v_sub_u16_sdwa v110, v110, v133 dst_sel:DWORD dst_unused:UNUSED_PAD src0_sel:WORD_1 src1_sel:WORD_1
	v_or_b32_sdwa v111, v111, v116 dst_sel:DWORD dst_unused:UNUSED_PAD src0_sel:BYTE_0 src1_sel:DWORD
	v_or_b32_sdwa v92, v93, v92 dst_sel:WORD_1 dst_unused:UNUSED_PAD src0_sel:BYTE_0 src1_sel:DWORD
	v_or_b32_sdwa v93, v134, v135 dst_sel:DWORD dst_unused:UNUSED_PAD src0_sel:BYTE_0 src1_sel:DWORD
	v_or_b32_sdwa v88, v110, v88 dst_sel:WORD_1 dst_unused:UNUSED_PAD src0_sel:BYTE_0 src1_sel:DWORD
	v_or_b32_sdwa v92, v111, v92 dst_sel:DWORD dst_unused:UNUSED_PAD src0_sel:WORD_0 src1_sel:DWORD
	v_or_b32_sdwa v88, v93, v88 dst_sel:DWORD dst_unused:UNUSED_PAD src0_sel:WORD_0 src1_sel:DWORD
	v_mov_b32_e32 v93, v15
	s_waitcnt vmcnt(0)
	v_dot4c_i32_i8_e32 v93, v92, v89
	v_mov_b32_e32 v92, v15
	v_dot4c_i32_i8_e32 v92, v88, v89
	v_add_u32_e32 v88, s29, v102
	v_mad_u64_u32 v[88:89], s[34:35], v88, 36, v[40:41]
	v_lshl_add_u64 v[110:111], v[88:89], 0, s[16:17]
	v_lshl_add_u64 v[110:111], v[110:111], 0, v[48:49]
	global_load_dword v116, v[110:111], off offset:4
	v_and_or_b32 v110, v120, s31, v130
	v_and_or_b32 v128, v128, s31, v131
	;; [unrolled: 1-line block ×3, first 2 shown]
	v_ashrrev_i32_e32 v110, v97, v110
	v_and_or_b32 v127, v129, s31, v132
	v_not_b32_e32 v129, v110
	v_lshrrev_b32_e32 v110, 4, v128
	v_ashrrev_i32_e32 v111, v97, v111
	v_and_b32_e32 v117, 0x3030303, v110
	v_bfe_u32 v110, v110, 24, 2
	v_and_b32_e32 v120, 0x4040404, v129
	v_not_b32_e32 v130, v111
	v_lshrrev_b32_e32 v111, 4, v127
	v_sub_u16_sdwa v110, v110, v120 dst_sel:BYTE_1 dst_unused:UNUSED_PAD src0_sel:DWORD src1_sel:BYTE_3
	v_sub_u16_e32 v131, v117, v120
	v_sub_u16_sdwa v132, v117, v120 dst_sel:BYTE_1 dst_unused:UNUSED_PAD src0_sel:BYTE_1 src1_sel:BYTE_1
	v_sub_u16_sdwa v117, v117, v120 dst_sel:DWORD dst_unused:UNUSED_PAD src0_sel:WORD_1 src1_sel:WORD_1
	v_and_b32_e32 v120, 0x3030303, v111
	v_bfe_u32 v111, v111, 24, 2
	v_and_b32_e32 v133, 0x4040404, v130
	v_sub_u16_sdwa v111, v111, v133 dst_sel:BYTE_1 dst_unused:UNUSED_PAD src0_sel:DWORD src1_sel:BYTE_3
	v_sub_u16_e32 v134, v120, v133
	v_sub_u16_sdwa v135, v120, v133 dst_sel:BYTE_1 dst_unused:UNUSED_PAD src0_sel:BYTE_1 src1_sel:BYTE_1
	v_sub_u16_sdwa v120, v120, v133 dst_sel:DWORD dst_unused:UNUSED_PAD src0_sel:WORD_1 src1_sel:WORD_1
	v_or_b32_sdwa v131, v131, v132 dst_sel:DWORD dst_unused:UNUSED_PAD src0_sel:BYTE_0 src1_sel:DWORD
	v_or_b32_sdwa v110, v117, v110 dst_sel:WORD_1 dst_unused:UNUSED_PAD src0_sel:BYTE_0 src1_sel:DWORD
	v_or_b32_sdwa v117, v134, v135 dst_sel:DWORD dst_unused:UNUSED_PAD src0_sel:BYTE_0 src1_sel:DWORD
	v_or_b32_sdwa v111, v120, v111 dst_sel:WORD_1 dst_unused:UNUSED_PAD src0_sel:BYTE_0 src1_sel:DWORD
	v_or_b32_sdwa v110, v131, v110 dst_sel:DWORD dst_unused:UNUSED_PAD src0_sel:WORD_0 src1_sel:DWORD
	v_or_b32_sdwa v117, v117, v111 dst_sel:DWORD dst_unused:UNUSED_PAD src0_sel:WORD_0 src1_sel:DWORD
	v_mov_b32_e32 v111, v15
	v_and_b32_e32 v120, 0x3030303, v114
	v_bfe_u32 v133, v119, 24, 2
	v_and_b32_e32 v134, 0x3030303, v119
	v_bfe_u32 v124, v124, 14, 2
	v_bfe_u32 v123, v123, 14, 2
	v_add_u32_e32 v102, 32, v102
	s_waitcnt vmcnt(0)
	v_dot4c_i32_i8_e32 v111, v110, v116
	v_mov_b32_e32 v110, v15
	v_dot4c_i32_i8_e32 v110, v117, v116
	v_lshlrev_b32_e32 v116, 2, v112
	v_and_b32_e32 v116, 0x4040404, v116
	v_bfe_u32 v117, v114, 24, 2
	v_sub_u16_sdwa v117, v117, v116 dst_sel:BYTE_1 dst_unused:UNUSED_PAD src0_sel:DWORD src1_sel:BYTE_3
	v_sub_u16_e32 v131, v120, v116
	v_sub_u16_sdwa v132, v120, v116 dst_sel:BYTE_1 dst_unused:UNUSED_PAD src0_sel:BYTE_1 src1_sel:BYTE_1
	v_sub_u16_sdwa v116, v120, v116 dst_sel:DWORD dst_unused:UNUSED_PAD src0_sel:WORD_1 src1_sel:WORD_1
	v_lshlrev_b32_e32 v120, 2, v115
	v_and_b32_e32 v120, 0x4040404, v120
	v_sub_u16_sdwa v133, v133, v120 dst_sel:BYTE_1 dst_unused:UNUSED_PAD src0_sel:DWORD src1_sel:BYTE_3
	v_sub_u16_e32 v135, v134, v120
	v_sub_u16_sdwa v136, v134, v120 dst_sel:BYTE_1 dst_unused:UNUSED_PAD src0_sel:BYTE_1 src1_sel:BYTE_1
	v_sub_u16_sdwa v120, v134, v120 dst_sel:DWORD dst_unused:UNUSED_PAD src0_sel:WORD_1 src1_sel:WORD_1
	v_or_b32_sdwa v131, v131, v132 dst_sel:DWORD dst_unused:UNUSED_PAD src0_sel:BYTE_0 src1_sel:DWORD
	v_or_b32_sdwa v116, v116, v117 dst_sel:WORD_1 dst_unused:UNUSED_PAD src0_sel:BYTE_0 src1_sel:DWORD
	v_or_b32_sdwa v132, v135, v136 dst_sel:DWORD dst_unused:UNUSED_PAD src0_sel:BYTE_0 src1_sel:DWORD
	v_or_b32_sdwa v120, v120, v133 dst_sel:WORD_1 dst_unused:UNUSED_PAD src0_sel:BYTE_0 src1_sel:DWORD
	v_or_b32_sdwa v117, v131, v116 dst_sel:DWORD dst_unused:UNUSED_PAD src0_sel:WORD_0 src1_sel:DWORD
	v_or_b32_sdwa v116, v132, v120 dst_sel:DWORD dst_unused:UNUSED_PAD src0_sel:WORD_0 src1_sel:DWORD
	global_load_dword v120, v[94:95], off offset:4
	v_mov_b32_e32 v131, v15
	v_mov_b32_e32 v134, v15
	v_lshlrev_b32_e32 v136, 1, v115
	v_and_b32_e32 v136, 0x4040404, v136
	v_lshrrev_b32_e32 v115, 1, v115
	v_and_b32_e32 v115, 0x4040404, v115
	s_waitcnt vmcnt(0)
	v_dot4c_i32_i8_e32 v131, v117, v120
	v_dot4c_i32_i8_e32 v134, v116, v120
	v_lshrrev_b32_e32 v116, 2, v114
	v_lshlrev_b32_e32 v120, 1, v112
	v_and_b32_e32 v117, 0x3030303, v116
	v_bfe_u32 v116, v116, 24, 2
	v_and_b32_e32 v120, 0x4040404, v120
	v_sub_u16_sdwa v116, v116, v120 dst_sel:BYTE_1 dst_unused:UNUSED_PAD src0_sel:DWORD src1_sel:BYTE_3
	v_sub_u16_e32 v132, v117, v120
	v_sub_u16_sdwa v133, v117, v120 dst_sel:BYTE_1 dst_unused:UNUSED_PAD src0_sel:BYTE_1 src1_sel:BYTE_1
	v_sub_u16_sdwa v117, v117, v120 dst_sel:DWORD dst_unused:UNUSED_PAD src0_sel:WORD_1 src1_sel:WORD_1
	v_or_b32_sdwa v132, v132, v133 dst_sel:DWORD dst_unused:UNUSED_PAD src0_sel:BYTE_0 src1_sel:DWORD
	v_or_b32_sdwa v116, v117, v116 dst_sel:WORD_1 dst_unused:UNUSED_PAD src0_sel:BYTE_0 src1_sel:DWORD
	v_lshrrev_b32_e32 v120, 2, v119
	v_or_b32_sdwa v116, v132, v116 dst_sel:DWORD dst_unused:UNUSED_PAD src0_sel:WORD_0 src1_sel:DWORD
	global_load_dword v132, v[94:95], off offset:40
	v_and_b32_e32 v135, 0x3030303, v120
	v_bfe_u32 v120, v120, 24, 2
	v_sub_u16_sdwa v120, v120, v136 dst_sel:BYTE_1 dst_unused:UNUSED_PAD src0_sel:DWORD src1_sel:BYTE_3
	v_sub_u16_e32 v137, v135, v136
	v_sub_u16_sdwa v138, v135, v136 dst_sel:BYTE_1 dst_unused:UNUSED_PAD src0_sel:BYTE_1 src1_sel:BYTE_1
	v_sub_u16_sdwa v135, v135, v136 dst_sel:DWORD dst_unused:UNUSED_PAD src0_sel:WORD_1 src1_sel:WORD_1
	v_or_b32_sdwa v117, v137, v138 dst_sel:DWORD dst_unused:UNUSED_PAD src0_sel:BYTE_0 src1_sel:DWORD
	v_or_b32_sdwa v120, v135, v120 dst_sel:WORD_1 dst_unused:UNUSED_PAD src0_sel:BYTE_0 src1_sel:DWORD
	v_lshrrev_b32_e32 v112, 1, v112
	v_or_b32_sdwa v120, v117, v120 dst_sel:DWORD dst_unused:UNUSED_PAD src0_sel:WORD_0 src1_sel:DWORD
	v_mov_b32_e32 v117, v15
	v_and_b32_e32 v112, 0x4040404, v112
	v_mov_b32_e32 v136, v15
	s_waitcnt vmcnt(0)
	v_dot4c_i32_i8_e32 v117, v116, v132
	v_mov_b32_e32 v116, v15
	v_dot4c_i32_i8_e32 v116, v120, v132
	global_load_dword v120, v[94:95], off offset:112
	v_lshrrev_b32_e32 v95, 6, v114
	v_lshrrev_b32_e32 v94, 30, v113
	v_and_b32_e32 v95, 0x3030303, v95
	v_sub_u16_e32 v113, v95, v112
	v_sub_u16_sdwa v114, v95, v112 dst_sel:BYTE_1 dst_unused:UNUSED_PAD src0_sel:BYTE_1 src1_sel:BYTE_1
	v_sub_u16_sdwa v95, v95, v112 dst_sel:DWORD dst_unused:UNUSED_PAD src0_sel:WORD_1 src1_sel:WORD_1
	v_sub_u16_sdwa v94, v94, v112 dst_sel:BYTE_1 dst_unused:UNUSED_PAD src0_sel:DWORD src1_sel:BYTE_3
	v_lshrrev_b32_e32 v112, 30, v118
	v_lshrrev_b32_e32 v118, 6, v119
	v_and_b32_e32 v118, 0x3030303, v118
	v_sub_u16_e32 v119, v118, v115
	v_sub_u16_sdwa v132, v118, v115 dst_sel:BYTE_1 dst_unused:UNUSED_PAD src0_sel:BYTE_1 src1_sel:BYTE_1
	v_sub_u16_sdwa v118, v118, v115 dst_sel:DWORD dst_unused:UNUSED_PAD src0_sel:WORD_1 src1_sel:WORD_1
	v_sub_u16_sdwa v112, v112, v115 dst_sel:BYTE_1 dst_unused:UNUSED_PAD src0_sel:DWORD src1_sel:BYTE_3
	v_or_b32_sdwa v113, v113, v114 dst_sel:DWORD dst_unused:UNUSED_PAD src0_sel:BYTE_0 src1_sel:DWORD
	v_or_b32_sdwa v94, v95, v94 dst_sel:WORD_1 dst_unused:UNUSED_PAD src0_sel:BYTE_0 src1_sel:DWORD
	v_or_b32_sdwa v95, v119, v132 dst_sel:DWORD dst_unused:UNUSED_PAD src0_sel:BYTE_0 src1_sel:DWORD
	v_or_b32_sdwa v112, v118, v112 dst_sel:WORD_1 dst_unused:UNUSED_PAD src0_sel:BYTE_0 src1_sel:DWORD
	v_or_b32_sdwa v113, v113, v94 dst_sel:DWORD dst_unused:UNUSED_PAD src0_sel:WORD_0 src1_sel:DWORD
	v_or_b32_sdwa v112, v95, v112 dst_sel:DWORD dst_unused:UNUSED_PAD src0_sel:WORD_0 src1_sel:DWORD
	v_mov_b32_e32 v94, v15
	v_mov_b32_e32 v95, v15
	v_bfe_u32 v114, v87, 24, 2
	v_and_b32_e32 v115, 0x3030303, v87
	v_and_b32_e32 v132, 0x3030303, v126
	s_waitcnt vmcnt(0)
	v_dot4c_i32_i8_e32 v94, v113, v120
	v_dot4c_i32_i8_e32 v95, v112, v120
	v_lshl_add_u64 v[112:113], v[90:91], 0, v[48:49]
	global_load_dword v112, v[112:113], off offset:4
	v_lshlrev_b32_e32 v113, 2, v86
	v_and_b32_e32 v113, 0x4040404, v113
	v_sub_u16_sdwa v114, v114, v113 dst_sel:BYTE_1 dst_unused:UNUSED_PAD src0_sel:DWORD src1_sel:BYTE_3
	v_sub_u16_e32 v118, v115, v113
	v_sub_u16_sdwa v119, v115, v113 dst_sel:BYTE_1 dst_unused:UNUSED_PAD src0_sel:BYTE_1 src1_sel:BYTE_1
	v_sub_u16_sdwa v113, v115, v113 dst_sel:DWORD dst_unused:UNUSED_PAD src0_sel:WORD_1 src1_sel:WORD_1
	v_lshlrev_b32_e32 v115, 2, v125
	v_and_b32_e32 v115, 0x4040404, v115
	v_bfe_u32 v120, v126, 24, 2
	v_sub_u16_sdwa v120, v120, v115 dst_sel:BYTE_1 dst_unused:UNUSED_PAD src0_sel:DWORD src1_sel:BYTE_3
	v_sub_u16_e32 v133, v132, v115
	v_sub_u16_sdwa v135, v132, v115 dst_sel:BYTE_1 dst_unused:UNUSED_PAD src0_sel:BYTE_1 src1_sel:BYTE_1
	v_sub_u16_sdwa v115, v132, v115 dst_sel:DWORD dst_unused:UNUSED_PAD src0_sel:WORD_1 src1_sel:WORD_1
	v_or_b32_sdwa v118, v118, v119 dst_sel:DWORD dst_unused:UNUSED_PAD src0_sel:BYTE_0 src1_sel:DWORD
	v_or_b32_sdwa v113, v113, v114 dst_sel:WORD_1 dst_unused:UNUSED_PAD src0_sel:BYTE_0 src1_sel:DWORD
	v_or_b32_sdwa v114, v133, v135 dst_sel:DWORD dst_unused:UNUSED_PAD src0_sel:BYTE_0 src1_sel:DWORD
	v_or_b32_sdwa v115, v115, v120 dst_sel:WORD_1 dst_unused:UNUSED_PAD src0_sel:BYTE_0 src1_sel:DWORD
	v_or_b32_sdwa v113, v118, v113 dst_sel:DWORD dst_unused:UNUSED_PAD src0_sel:WORD_0 src1_sel:DWORD
	v_or_b32_sdwa v114, v114, v115 dst_sel:DWORD dst_unused:UNUSED_PAD src0_sel:WORD_0 src1_sel:DWORD
	v_mov_b32_e32 v135, v15
	v_lshlrev_b32_e32 v115, 1, v86
	v_and_b32_e32 v115, 0x4040404, v115
	v_lshlrev_b32_e32 v132, 1, v125
	v_and_b32_e32 v132, 0x4040404, v132
	v_lshrrev_b32_e32 v86, 1, v86
	v_and_b32_e32 v86, 0x4040404, v86
	s_waitcnt vmcnt(0)
	v_dot4c_i32_i8_e32 v135, v113, v112
	v_dot4c_i32_i8_e32 v136, v114, v112
	v_lshl_add_u64 v[112:113], v[90:91], 0, 36
	v_lshl_add_u64 v[112:113], v[112:113], 0, v[48:49]
	global_load_dword v112, v[112:113], off offset:4
	v_lshrrev_b32_e32 v113, 2, v87
	v_and_b32_e32 v114, 0x3030303, v113
	v_bfe_u32 v113, v113, 24, 2
	v_sub_u16_sdwa v113, v113, v115 dst_sel:BYTE_1 dst_unused:UNUSED_PAD src0_sel:DWORD src1_sel:BYTE_3
	v_sub_u16_e32 v118, v114, v115
	v_sub_u16_sdwa v119, v114, v115 dst_sel:BYTE_1 dst_unused:UNUSED_PAD src0_sel:BYTE_1 src1_sel:BYTE_1
	v_sub_u16_sdwa v114, v114, v115 dst_sel:DWORD dst_unused:UNUSED_PAD src0_sel:WORD_1 src1_sel:WORD_1
	v_lshrrev_b32_e32 v115, 2, v126
	v_and_b32_e32 v120, 0x3030303, v115
	v_bfe_u32 v115, v115, 24, 2
	v_sub_u16_sdwa v115, v115, v132 dst_sel:BYTE_1 dst_unused:UNUSED_PAD src0_sel:DWORD src1_sel:BYTE_3
	v_sub_u16_e32 v133, v120, v132
	v_sub_u16_sdwa v137, v120, v132 dst_sel:BYTE_1 dst_unused:UNUSED_PAD src0_sel:BYTE_1 src1_sel:BYTE_1
	v_sub_u16_sdwa v120, v120, v132 dst_sel:DWORD dst_unused:UNUSED_PAD src0_sel:WORD_1 src1_sel:WORD_1
	v_or_b32_sdwa v118, v118, v119 dst_sel:DWORD dst_unused:UNUSED_PAD src0_sel:BYTE_0 src1_sel:DWORD
	v_or_b32_sdwa v113, v114, v113 dst_sel:WORD_1 dst_unused:UNUSED_PAD src0_sel:BYTE_0 src1_sel:DWORD
	v_or_b32_sdwa v114, v133, v137 dst_sel:DWORD dst_unused:UNUSED_PAD src0_sel:BYTE_0 src1_sel:DWORD
	v_or_b32_sdwa v115, v120, v115 dst_sel:WORD_1 dst_unused:UNUSED_PAD src0_sel:BYTE_0 src1_sel:DWORD
	v_or_b32_sdwa v113, v118, v113 dst_sel:DWORD dst_unused:UNUSED_PAD src0_sel:WORD_0 src1_sel:DWORD
	v_or_b32_sdwa v114, v114, v115 dst_sel:DWORD dst_unused:UNUSED_PAD src0_sel:WORD_0 src1_sel:DWORD
	v_mov_b32_e32 v119, v15
	v_mov_b32_e32 v120, v15
	v_and_b32_e32 v115, 0x3030303, v128
	v_bfe_u32 v133, v127, 24, 2
	v_and_b32_e32 v137, 0x3030303, v127
	v_lshrrev_b32_e32 v87, 6, v87
	v_and_b32_e32 v87, 0x3030303, v87
	s_waitcnt vmcnt(0)
	v_dot4c_i32_i8_e32 v119, v113, v112
	v_dot4c_i32_i8_e32 v120, v114, v112
	v_lshl_add_u64 v[112:113], v[88:89], 0, v[48:49]
	global_load_dword v112, v[112:113], off offset:4
	v_lshlrev_b32_e32 v113, 2, v129
	v_and_b32_e32 v113, 0x4040404, v113
	v_bfe_u32 v114, v128, 24, 2
	v_sub_u16_sdwa v114, v114, v113 dst_sel:BYTE_1 dst_unused:UNUSED_PAD src0_sel:DWORD src1_sel:BYTE_3
	v_sub_u16_e32 v118, v115, v113
	v_sub_u16_sdwa v132, v115, v113 dst_sel:BYTE_1 dst_unused:UNUSED_PAD src0_sel:BYTE_1 src1_sel:BYTE_1
	v_sub_u16_sdwa v113, v115, v113 dst_sel:DWORD dst_unused:UNUSED_PAD src0_sel:WORD_1 src1_sel:WORD_1
	v_lshlrev_b32_e32 v115, 2, v130
	v_and_b32_e32 v115, 0x4040404, v115
	v_sub_u16_sdwa v133, v133, v115 dst_sel:BYTE_1 dst_unused:UNUSED_PAD src0_sel:DWORD src1_sel:BYTE_3
	v_sub_u16_e32 v138, v137, v115
	v_sub_u16_sdwa v139, v137, v115 dst_sel:BYTE_1 dst_unused:UNUSED_PAD src0_sel:BYTE_1 src1_sel:BYTE_1
	v_sub_u16_sdwa v115, v137, v115 dst_sel:DWORD dst_unused:UNUSED_PAD src0_sel:WORD_1 src1_sel:WORD_1
	v_or_b32_sdwa v118, v118, v132 dst_sel:DWORD dst_unused:UNUSED_PAD src0_sel:BYTE_0 src1_sel:DWORD
	v_or_b32_sdwa v113, v113, v114 dst_sel:WORD_1 dst_unused:UNUSED_PAD src0_sel:BYTE_0 src1_sel:DWORD
	v_or_b32_sdwa v114, v138, v139 dst_sel:DWORD dst_unused:UNUSED_PAD src0_sel:BYTE_0 src1_sel:DWORD
	v_or_b32_sdwa v115, v115, v133 dst_sel:WORD_1 dst_unused:UNUSED_PAD src0_sel:BYTE_0 src1_sel:DWORD
	v_or_b32_sdwa v113, v118, v113 dst_sel:DWORD dst_unused:UNUSED_PAD src0_sel:WORD_0 src1_sel:DWORD
	v_or_b32_sdwa v114, v114, v115 dst_sel:DWORD dst_unused:UNUSED_PAD src0_sel:WORD_0 src1_sel:DWORD
	v_mov_b32_e32 v137, v15
	v_mov_b32_e32 v138, v15
	v_lshlrev_b32_e32 v115, 1, v129
	v_and_b32_e32 v115, 0x4040404, v115
	v_lshlrev_b32_e32 v139, 1, v130
	v_and_b32_e32 v139, 0x4040404, v139
	s_waitcnt vmcnt(0)
	v_dot4c_i32_i8_e32 v137, v113, v112
	v_dot4c_i32_i8_e32 v138, v114, v112
	v_lshl_add_u64 v[112:113], v[88:89], 0, 36
	v_lshl_add_u64 v[112:113], v[112:113], 0, v[48:49]
	global_load_dword v113, v[112:113], off offset:4
	v_lshrrev_b32_e32 v112, 2, v128
	v_and_b32_e32 v114, 0x3030303, v112
	v_bfe_u32 v112, v112, 24, 2
	v_sub_u16_sdwa v112, v112, v115 dst_sel:BYTE_1 dst_unused:UNUSED_PAD src0_sel:DWORD src1_sel:BYTE_3
	v_sub_u16_e32 v118, v114, v115
	v_sub_u16_sdwa v132, v114, v115 dst_sel:BYTE_1 dst_unused:UNUSED_PAD src0_sel:BYTE_1 src1_sel:BYTE_1
	v_sub_u16_sdwa v114, v114, v115 dst_sel:DWORD dst_unused:UNUSED_PAD src0_sel:WORD_1 src1_sel:WORD_1
	v_lshrrev_b32_e32 v115, 2, v127
	v_and_b32_e32 v133, 0x3030303, v115
	v_bfe_u32 v115, v115, 24, 2
	v_sub_u16_sdwa v115, v115, v139 dst_sel:BYTE_1 dst_unused:UNUSED_PAD src0_sel:DWORD src1_sel:BYTE_3
	v_sub_u16_e32 v140, v133, v139
	v_sub_u16_sdwa v141, v133, v139 dst_sel:BYTE_1 dst_unused:UNUSED_PAD src0_sel:BYTE_1 src1_sel:BYTE_1
	v_sub_u16_sdwa v133, v133, v139 dst_sel:DWORD dst_unused:UNUSED_PAD src0_sel:WORD_1 src1_sel:WORD_1
	v_or_b32_sdwa v118, v118, v132 dst_sel:DWORD dst_unused:UNUSED_PAD src0_sel:BYTE_0 src1_sel:DWORD
	v_or_b32_sdwa v115, v133, v115 dst_sel:WORD_1 dst_unused:UNUSED_PAD src0_sel:BYTE_0 src1_sel:DWORD
	v_lshl_add_u64 v[132:133], v[90:91], 0, s[22:23]
	v_or_b32_sdwa v112, v114, v112 dst_sel:WORD_1 dst_unused:UNUSED_PAD src0_sel:BYTE_0 src1_sel:DWORD
	v_lshl_add_u64 v[132:133], v[132:133], 0, v[48:49]
	v_or_b32_sdwa v112, v118, v112 dst_sel:DWORD dst_unused:UNUSED_PAD src0_sel:WORD_0 src1_sel:DWORD
	global_load_dword v118, v[132:133], off offset:4
	v_or_b32_sdwa v114, v140, v141 dst_sel:DWORD dst_unused:UNUSED_PAD src0_sel:BYTE_0 src1_sel:DWORD
	v_or_b32_sdwa v114, v114, v115 dst_sel:DWORD dst_unused:UNUSED_PAD src0_sel:WORD_0 src1_sel:DWORD
	v_mov_b32_e32 v115, v15
	s_waitcnt vmcnt(1)
	v_dot4c_i32_i8_e32 v115, v112, v113
	v_mov_b32_e32 v112, v15
	v_dot4c_i32_i8_e32 v112, v114, v113
	v_sub_u16_e32 v113, v87, v86
	v_sub_u16_sdwa v114, v87, v86 dst_sel:BYTE_1 dst_unused:UNUSED_PAD src0_sel:BYTE_1 src1_sel:BYTE_1
	v_sub_u16_sdwa v87, v87, v86 dst_sel:DWORD dst_unused:UNUSED_PAD src0_sel:WORD_1 src1_sel:WORD_1
	v_sub_u16_sdwa v86, v124, v86 dst_sel:BYTE_1 dst_unused:UNUSED_PAD src0_sel:DWORD src1_sel:BYTE_3
	v_or_b32_sdwa v113, v113, v114 dst_sel:DWORD dst_unused:UNUSED_PAD src0_sel:BYTE_0 src1_sel:DWORD
	v_or_b32_sdwa v86, v87, v86 dst_sel:WORD_1 dst_unused:UNUSED_PAD src0_sel:BYTE_0 src1_sel:DWORD
	v_lshrrev_b32_e32 v87, 6, v126
	v_lshrrev_b32_e32 v114, 1, v125
	v_and_b32_e32 v87, 0x3030303, v87
	v_and_b32_e32 v114, 0x4040404, v114
	v_sub_u16_e32 v125, v87, v114
	v_sub_u16_sdwa v126, v87, v114 dst_sel:BYTE_1 dst_unused:UNUSED_PAD src0_sel:BYTE_1 src1_sel:BYTE_1
	v_sub_u16_sdwa v87, v87, v114 dst_sel:DWORD dst_unused:UNUSED_PAD src0_sel:WORD_1 src1_sel:WORD_1
	v_sub_u16_sdwa v114, v123, v114 dst_sel:BYTE_1 dst_unused:UNUSED_PAD src0_sel:DWORD src1_sel:BYTE_3
	v_or_b32_sdwa v125, v125, v126 dst_sel:DWORD dst_unused:UNUSED_PAD src0_sel:BYTE_0 src1_sel:DWORD
	v_or_b32_sdwa v87, v87, v114 dst_sel:WORD_1 dst_unused:UNUSED_PAD src0_sel:BYTE_0 src1_sel:DWORD
	v_or_b32_sdwa v86, v113, v86 dst_sel:DWORD dst_unused:UNUSED_PAD src0_sel:WORD_0 src1_sel:DWORD
	v_or_b32_sdwa v87, v125, v87 dst_sel:DWORD dst_unused:UNUSED_PAD src0_sel:WORD_0 src1_sel:DWORD
	v_mov_b32_e32 v114, v15
	v_mov_b32_e32 v113, v15
	s_waitcnt vmcnt(0)
	v_dot4c_i32_i8_e32 v114, v86, v118
	v_dot4c_i32_i8_e32 v113, v87, v118
	v_lshl_add_u64 v[86:87], v[88:89], 0, s[22:23]
	v_lshl_add_u64 v[86:87], v[86:87], 0, v[48:49]
	global_load_dword v86, v[86:87], off offset:4
	v_lshrrev_b32_e32 v49, 6, v128
	v_lshrrev_b32_e32 v87, 1, v129
	v_and_b32_e32 v49, 0x3030303, v49
	v_and_b32_e32 v87, 0x4040404, v87
	v_sub_u16_e32 v118, v49, v87
	v_sub_u16_sdwa v125, v49, v87 dst_sel:BYTE_1 dst_unused:UNUSED_PAD src0_sel:BYTE_1 src1_sel:BYTE_1
	v_sub_u16_sdwa v49, v49, v87 dst_sel:DWORD dst_unused:UNUSED_PAD src0_sel:WORD_1 src1_sel:WORD_1
	v_sub_u16_sdwa v87, v124, v87 dst_sel:BYTE_1 dst_unused:UNUSED_PAD src0_sel:DWORD src1_sel:BYTE_3
	v_lshrrev_b32_e32 v124, 6, v127
	v_lshrrev_b32_e32 v126, 1, v130
	v_and_b32_e32 v124, 0x3030303, v124
	v_and_b32_e32 v126, 0x4040404, v126
	v_sub_u16_e32 v127, v124, v126
	v_sub_u16_sdwa v128, v124, v126 dst_sel:BYTE_1 dst_unused:UNUSED_PAD src0_sel:BYTE_1 src1_sel:BYTE_1
	v_sub_u16_sdwa v124, v124, v126 dst_sel:DWORD dst_unused:UNUSED_PAD src0_sel:WORD_1 src1_sel:WORD_1
	v_sub_u16_sdwa v123, v123, v126 dst_sel:BYTE_1 dst_unused:UNUSED_PAD src0_sel:DWORD src1_sel:BYTE_3
	v_or_b32_sdwa v118, v118, v125 dst_sel:DWORD dst_unused:UNUSED_PAD src0_sel:BYTE_0 src1_sel:DWORD
	v_or_b32_sdwa v49, v49, v87 dst_sel:WORD_1 dst_unused:UNUSED_PAD src0_sel:BYTE_0 src1_sel:DWORD
	v_or_b32_sdwa v87, v127, v128 dst_sel:DWORD dst_unused:UNUSED_PAD src0_sel:BYTE_0 src1_sel:DWORD
	v_or_b32_sdwa v123, v124, v123 dst_sel:WORD_1 dst_unused:UNUSED_PAD src0_sel:BYTE_0 src1_sel:DWORD
	v_or_b32_sdwa v49, v118, v49 dst_sel:DWORD dst_unused:UNUSED_PAD src0_sel:WORD_0 src1_sel:DWORD
	v_mov_b32_e32 v118, v15
	v_or_b32_sdwa v87, v87, v123 dst_sel:DWORD dst_unused:UNUSED_PAD src0_sel:WORD_0 src1_sel:DWORD
	s_waitcnt vmcnt(0)
	v_dot4c_i32_i8_e32 v118, v49, v86
	v_mov_b32_e32 v49, v15
	v_dot4c_i32_i8_e32 v49, v87, v86
	v_mul_lo_u32 v87, v121, v134
	global_load_dword v121, v[44:45], off
	v_mul_lo_u32 v86, v122, v131
	v_cvt_f32_i32_e32 v87, v87
	v_cvt_f32_i32_e32 v86, v86
	s_waitcnt vmcnt(0)
	v_cvt_f32_f16_e32 v122, v121
	v_pk_fma_f32 v[86:87], v[122:123], v[86:87], 0 op_sel_hi:[0,1,0]
	global_load_ubyte v121, v[64:65], off offset:96
	global_load_ubyte v122, v[70:71], off offset:104
	;; [unrolled: 1-line block ×3, first 2 shown]
                                        ; kill: killed $vgpr70_vgpr71
                                        ; kill: killed $vgpr68_vgpr69
                                        ; kill: killed $vgpr64_vgpr65
	s_nop 0
	global_load_ubyte v64, v[66:67], off offset:104
	s_waitcnt vmcnt(3)
	v_bfe_u32 v65, v121, v98, 4
	s_waitcnt vmcnt(2)
	v_lshrrev_b32_e32 v66, v99, v122
	v_lshlrev_b32_e32 v66, 4, v66
	v_and_or_b32 v65, v66, 48, v65
	s_waitcnt vmcnt(1)
	v_bfe_u32 v66, v123, v98, 4
	v_subrev_u32_e32 v68, 32, v65
	s_waitcnt vmcnt(0)
	v_lshrrev_b32_e32 v64, v99, v64
	v_lshlrev_b32_e32 v64, 4, v64
	v_and_or_b32 v64, v64, 48, v66
	global_load_dword v66, v[90:91], off
	v_subrev_u32_e32 v69, 32, v64
	v_mul_lo_u32 v64, v69, v135
	v_mul_lo_u32 v65, v68, v136
	v_cvt_f32_i32_e32 v65, v65
	v_cvt_f32_i32_e32 v64, v64
	s_waitcnt vmcnt(0)
	v_cvt_f32_f16_e32 v66, v66
	v_pk_fma_f32 v[66:67], v[66:67], v[64:65], 0 op_sel_hi:[0,1,0]
	v_mul_lo_u32 v65, v68, v138
	global_load_dword v68, v[88:89], off
	v_mul_lo_u32 v64, v69, v137
	v_cvt_f32_i32_e32 v65, v65
	v_cvt_f32_i32_e32 v64, v64
	s_waitcnt vmcnt(0)
	v_cvt_f32_f16_e32 v68, v68
	v_pk_fma_f32 v[64:65], v[68:69], v[64:65], 0 op_sel_hi:[0,1,0]
	global_load_dword v121, v[84:85], off offset:108
	global_load_dword v123, v[84:85], off offset:72
	global_load_ushort v127, v[62:63], off offset:108
	global_load_ushort v124, v[62:63], off offset:108
	;; [unrolled: 1-line block ×6, first 2 shown]
	global_load_dword v69, v[90:91], off offset:108
	global_load_dword v122, v[90:91], off offset:36
	;; [unrolled: 1-line block ×3, first 2 shown]
                                        ; kill: killed $vgpr84_vgpr85
                                        ; kill: killed $vgpr90_vgpr91
                                        ; kill: killed $vgpr60_vgpr61
                                        ; kill: killed $vgpr62_vgpr63
	global_load_dword v68, v[88:89], off offset:108
	global_load_dword v84, v[88:89], off offset:36
	;; [unrolled: 1-line block ×3, first 2 shown]
	global_load_ubyte v60, v[10:11], off offset:96
	global_load_ubyte v85, v[56:57], off offset:104
	;; [unrolled: 1-line block ×5, first 2 shown]
                                        ; kill: killed $vgpr58_vgpr59
                                        ; kill: killed $vgpr10_vgpr11
                                        ; kill: killed $vgpr88_vgpr89
                                        ; kill: killed $vgpr56_vgpr57
                                        ; kill: killed $vgpr54_vgpr55
	global_load_ubyte v90, v[76:77], off offset:96
	global_load_ubyte v10, v[78:79], off offset:104
	;; [unrolled: 1-line block ×10, first 2 shown]
                                        ; kill: killed $vgpr82_vgpr83
                                        ; kill: killed $vgpr80_vgpr81
                                        ; kill: killed $vgpr74_vgpr75
                                        ; kill: killed $vgpr78_vgpr79
                                        ; kill: killed $vgpr76_vgpr77
	global_load_ubyte v74, v[6:7], off offset:96
	global_load_ubyte v75, v[4:5], off offset:96
	;; [unrolled: 1-line block ×5, first 2 shown]
	s_waitcnt vmcnt(31)
	v_cvt_f32_f16_e32 v57, v127
	s_waitcnt vmcnt(30)
	v_cvt_f32_f16_e32 v59, v124
	;; [unrolled: 2-line block ×9, first 2 shown]
	s_waitcnt vmcnt(14)
	v_bfe_u32 v4, v90, v13, 4
	s_waitcnt vmcnt(12)
	v_lshrrev_b32_e32 v5, v25, v91
	v_lshlrev_b32_e32 v5, 4, v5
	v_and_or_b32 v4, v5, 48, v4
	s_waitcnt vmcnt(10)
	v_bfe_u32 v5, v131, v24, 4
	s_waitcnt vmcnt(8)
	v_lshrrev_b32_e32 v6, v28, v132
	v_lshlrev_b32_e32 v6, 4, v6
	s_waitcnt vmcnt(6)
	v_lshrrev_b32_e32 v7, v33, v130
	v_and_or_b32 v5, v6, 48, v5
	s_waitcnt vmcnt(5)
	v_bfe_u32 v6, v133, v29, 4
	v_lshlrev_b32_e32 v7, 4, v7
	v_and_or_b32 v79, v7, 48, v6
	v_subrev_u32_e32 v91, 32, v79
	s_waitcnt vmcnt(2)
	v_bfe_u32 v6, v76, v32, 4
	s_waitcnt vmcnt(1)
	v_lshrrev_b32_e32 v7, v36, v77
	v_lshlrev_b32_e32 v7, 4, v7
	v_and_or_b32 v77, v7, 48, v6
	v_lshrrev_b32_e32 v6, v101, v85
	v_bfe_u32 v7, v63, v100, 4
	v_lshlrev_b32_e32 v6, 4, v6
	v_and_or_b32 v76, v6, 48, v7
	v_lshrrev_b32_e32 v6, v101, v62
	v_bfe_u32 v7, v60, v100, 4
	;; [unrolled: 4-line block ×5, first 2 shown]
	v_lshlrev_b32_e32 v7, 4, v7
	v_and_or_b32 v83, v7, 48, v6
	global_load_dword v6, v[44:45], off offset:36
	s_waitcnt vmcnt(1)
	v_lshrrev_b32_e32 v8, v36, v78
	global_load_dword v78, v[44:45], off offset:72
	global_load_dword v88, v[44:45], off offset:108
	v_subrev_u32_e32 v74, 32, v4
	v_subrev_u32_e32 v10, 32, v5
	v_bfe_u32 v7, v75, v32, 4
	v_lshlrev_b32_e32 v8, 4, v8
	v_mul_lo_u32 v4, v10, v104
	v_mul_lo_u32 v5, v74, v105
	v_and_or_b32 v85, v8, 48, v7
	v_cvt_f32_i32_e32 v9, v5
	v_cvt_f32_i32_e32 v8, v4
	v_mul_lo_u32 v4, v103, v117
	v_mul_lo_u32 v5, v47, v116
	v_cvt_f32_i32_e32 v5, v5
	v_cvt_f32_i32_e32 v4, v4
	v_mul_lo_u32 v47, v10, v106
	v_cvt_f32_f16_e32 v10, v123
	v_subrev_u32_e32 v89, 32, v80
	v_mul_lo_u32 v80, v74, v109
	v_cvt_f32_f16_e32 v74, v122
	v_pk_fma_f32 v[62:63], v[10:11], v[8:9], v[72:73] op_sel_hi:[0,1,1]
	v_mul_lo_u32 v72, v89, v119
	v_cvt_f32_i32_e32 v72, v72
	scratch_load_dwordx4 v[8:11], off, off
	v_subrev_u32_e32 v77, 32, v77
	v_cvt_f32_i32_e32 v79, v80
	v_mul_lo_u32 v89, v89, v115
	v_subrev_u32_e32 v85, 32, v85
	v_cvt_f32_i32_e32 v106, v89
	v_lshl_add_u64 v[44:45], v[44:45], 0, s[24:25]
	s_waitcnt vmcnt(3)
	v_cvt_f32_f16_e32 v6, v6
	v_pk_fma_f32 v[60:61], v[6:7], v[4:5], v[86:87] op_sel_hi:[0,1,1]
	v_subrev_u32_e32 v87, 32, v76
	v_mul_lo_u32 v73, v87, v120
	v_cvt_f32_i32_e32 v73, v73
	scratch_load_dwordx4 v[4:7], off, off offset:32
	v_subrev_u32_e32 v76, 32, v82
	v_mul_lo_u32 v82, v77, v107
	v_pk_fma_f32 v[66:67], v[74:75], v[72:73], v[66:67] op_sel_hi:[0,1,1]
	scratch_load_dwordx4 v[72:75], off, off offset:48
	v_mul_lo_u32 v90, v76, v93
	v_mul_lo_u32 v103, v76, v111
	s_waitcnt vmcnt(4)
	v_cvt_f32_f16_e32 v76, v78
	v_subrev_u32_e32 v78, 32, v81
	v_cvt_f32_i32_e32 v80, v82
	s_waitcnt vmcnt(3)
	v_cvt_f32_f16_e32 v82, v88
	v_cvt_f32_f16_e32 v88, v71
	v_mul_lo_u32 v71, v87, v112
	v_mul_lo_u32 v81, v91, v108
	;; [unrolled: 1-line block ×4, first 2 shown]
	v_cvt_f32_i32_e32 v78, v47
	v_mul_lo_u32 v47, v77, v94
	v_mul_lo_u32 v77, v91, v95
	v_cvt_f32_f16_e32 v94, v69
	v_subrev_u32_e32 v69, 32, v83
	v_cvt_f32_i32_e32 v107, v71
	v_cvt_f32_i32_e32 v81, v81
	v_cvt_f32_f16_e32 v86, v121
	v_cvt_f32_i32_e32 v91, v92
	v_cvt_f32_i32_e32 v90, v90
	;; [unrolled: 1-line block ×4, first 2 shown]
	v_mul_lo_u32 v87, v85, v114
	v_mul_lo_u32 v85, v85, v118
	;; [unrolled: 1-line block ×4, first 2 shown]
	v_cvt_f32_i32_e32 v105, v77
	v_cvt_f32_i32_e32 v104, v47
	;; [unrolled: 1-line block ×6, first 2 shown]
	v_pk_fma_f32 v[64:65], v[84:85], v[106:107], v[64:65] op_sel_hi:[0,1,1]
	s_waitcnt vmcnt(1)
	v_pk_fma_f32 v[4:5], v[50:51], v[56:57], v[4:5]
	v_pk_fma_f32 v[50:51], v[76:77], v[78:79], v[60:61] op_sel_hi:[0,1,1]
	v_pk_fma_f32 v[6:7], v[52:53], v[56:57], v[6:7]
	v_pk_fma_f32 v[52:53], v[86:87], v[80:81], v[62:63] op_sel_hi:[0,1,1]
	v_pk_fma_f32 v[56:57], v[88:89], v[90:91], v[66:67] op_sel_hi:[0,1,1]
	;; [unrolled: 1-line block ×4, first 2 shown]
	v_pk_fma_f32 v[10:11], v[52:53], v[54:55], v[10:11]
	v_pk_fma_f32 v[52:53], v[94:95], v[108:109], v[56:57] op_sel_hi:[0,1,1]
	v_pk_fma_f32 v[56:57], v[68:69], v[110:111], v[60:61] op_sel_hi:[0,1,1]
	v_pk_fma_f32 v[8:9], v[50:51], v[54:55], v[8:9]
	scratch_store_dwordx4 off, v[0:3], off offset:16
	scratch_store_dwordx4 off, v[4:7], off offset:32
	s_waitcnt vmcnt(2)
	v_pk_fma_f32 v[0:1], v[52:53], v[58:59], v[72:73]
	v_pk_fma_f32 v[2:3], v[56:57], v[58:59], v[74:75]
	scratch_store_dwordx4 off, v[8:11], off
	scratch_store_dwordx4 off, v[0:3], off offset:48
	s_andn2_b64 exec, exec, s[12:13]
	s_cbranch_execnz .LBB119_2
.LBB119_3:
	s_or_b64 exec, exec, s[6:7]
	s_mov_b32 s5, 0
	v_cmp_eq_u32_e32 vcc, 0, v37
	s_waitcnt lgkmcnt(0)
	; wave barrier
	s_and_saveexec_b64 s[6:7], vcc
	s_cbranch_execz .LBB119_20
; %bb.4:
	scratch_load_dwordx2 v[2:3], off, off
	v_mbcnt_lo_u32_b32 v0, -1, 0
	v_mbcnt_hi_u32_b32 v13, -1, v0
	s_load_dwordx2 s[6:7], s[0:1], 0x38
	s_mul_i32 s0, s3, s14
	v_or_b32_e32 v1, s2, v12
	v_and_b32_e32 v0, 64, v13
	s_mul_i32 s4, s4, s18
	s_add_i32 s2, s0, s2
	v_cmp_gt_u32_e64 s[0:1], s10, v1
	v_xor_b32_e32 v1, 32, v13
	v_add_u32_e32 v14, 64, v0
	s_add_i32 s4, s2, s4
	v_cmp_lt_i32_e64 s[2:3], v1, v14
	v_cmp_gt_u32_e32 vcc, 2, v12
	s_nop 0
	v_cndmask_b32_e64 v0, v13, v1, s[2:3]
	v_lshlrev_b32_e32 v0, 2, v0
	v_xor_b32_e32 v1, 16, v13
	v_cmp_lt_i32_e64 s[2:3], v1, v14
	s_waitcnt vmcnt(0)
	ds_bpermute_b32 v4, v0, v2
	ds_bpermute_b32 v5, v0, v3
	v_cndmask_b32_e64 v1, v13, v1, s[2:3]
	v_lshlrev_b32_e32 v1, 2, v1
	s_waitcnt lgkmcnt(0)
	v_pk_add_f32 v[4:5], v[2:3], v[4:5]
	ds_bpermute_b32 v6, v1, v4
	ds_bpermute_b32 v7, v1, v5
	v_xor_b32_e32 v2, 8, v13
	v_cmp_lt_i32_e64 s[2:3], v2, v14
	v_xor_b32_e32 v3, 4, v13
	s_waitcnt lgkmcnt(0)
	v_pk_add_f32 v[4:5], v[4:5], v[6:7]
	v_cndmask_b32_e64 v2, v13, v2, s[2:3]
	v_lshlrev_b32_e32 v2, 2, v2
	ds_bpermute_b32 v6, v2, v4
	ds_bpermute_b32 v7, v2, v5
	v_cmp_lt_i32_e64 s[2:3], v3, v14
	s_waitcnt lgkmcnt(0)
	v_pk_add_f32 v[6:7], v[4:5], v[6:7]
	v_cndmask_b32_e64 v3, v13, v3, s[2:3]
	v_lshlrev_b32_e32 v3, 2, v3
	ds_bpermute_b32 v8, v3, v6
	ds_bpermute_b32 v9, v3, v7
	v_xor_b32_e32 v4, 2, v13
	v_cmp_lt_i32_e64 s[2:3], v4, v14
	v_xor_b32_e32 v5, 1, v13
	s_waitcnt lgkmcnt(0)
	v_pk_add_f32 v[8:9], v[6:7], v[8:9]
	v_cndmask_b32_e64 v4, v13, v4, s[2:3]
	v_lshlrev_b32_e32 v4, 2, v4
	ds_bpermute_b32 v10, v4, v8
	ds_bpermute_b32 v11, v4, v9
	v_cmp_lt_i32_e64 s[2:3], v5, v14
	s_waitcnt lgkmcnt(0)
	v_pk_add_f32 v[8:9], v[8:9], v[10:11]
	v_cndmask_b32_e64 v5, v13, v5, s[2:3]
	v_lshlrev_b32_e32 v6, 2, v5
	ds_bpermute_b32 v10, v6, v8
	ds_bpermute_b32 v11, v6, v9
	s_lshl_b64 s[2:3], s[4:5], 2
	s_add_u32 s2, s6, s2
	s_addc_u32 s3, s7, s3
	s_and_b64 s[0:1], vcc, s[0:1]
	s_waitcnt lgkmcnt(0)
	v_pk_add_f32 v[8:9], v[8:9], v[10:11]
	v_lshlrev_b32_e32 v5, 2, v12
	scratch_store_dwordx2 off, v[8:9], off
	s_and_saveexec_b64 s[4:5], s[0:1]
	s_cbranch_execz .LBB119_6
; %bb.5:
	scratch_load_dword v7, v5, off
	s_waitcnt vmcnt(0)
	global_store_dword v5, v7, s[2:3]
.LBB119_6:
	s_or_b64 exec, exec, s[4:5]
	scratch_load_dwordx2 v[8:9], off, off offset:8
	s_waitcnt vmcnt(0)
	ds_bpermute_b32 v10, v0, v8
	ds_bpermute_b32 v11, v0, v9
	s_waitcnt lgkmcnt(0)
	v_pk_add_f32 v[8:9], v[8:9], v[10:11]
	ds_bpermute_b32 v10, v1, v8
	ds_bpermute_b32 v11, v1, v9
	s_waitcnt lgkmcnt(0)
	v_pk_add_f32 v[8:9], v[8:9], v[10:11]
	;; [unrolled: 4-line block ×6, first 2 shown]
	scratch_store_dwordx2 off, v[8:9], off offset:8
	s_and_saveexec_b64 s[4:5], s[0:1]
	s_cbranch_execz .LBB119_8
; %bb.7:
	scratch_load_dword v7, v5, off offset:8
	v_add_u32_e32 v8, s10, v12
	v_mov_b32_e32 v9, 0
	v_lshl_add_u64 v[8:9], v[8:9], 2, s[2:3]
	s_waitcnt vmcnt(0)
	global_store_dword v[8:9], v7, off
.LBB119_8:
	s_or_b64 exec, exec, s[4:5]
	scratch_load_dwordx2 v[8:9], off, off offset:16
	s_waitcnt vmcnt(0)
	ds_bpermute_b32 v10, v0, v8
	ds_bpermute_b32 v11, v0, v9
	s_waitcnt lgkmcnt(0)
	v_pk_add_f32 v[8:9], v[8:9], v[10:11]
	ds_bpermute_b32 v10, v1, v8
	ds_bpermute_b32 v11, v1, v9
	s_waitcnt lgkmcnt(0)
	v_pk_add_f32 v[8:9], v[8:9], v[10:11]
	;; [unrolled: 4-line block ×6, first 2 shown]
	scratch_store_dwordx2 off, v[8:9], off offset:16
	s_and_saveexec_b64 s[4:5], s[0:1]
	s_cbranch_execz .LBB119_10
; %bb.9:
	scratch_load_dword v7, v5, off offset:16
	v_lshl_or_b32 v8, s10, 1, v12
	v_mov_b32_e32 v9, 0
	v_lshl_add_u64 v[8:9], v[8:9], 2, s[2:3]
	s_waitcnt vmcnt(0)
	global_store_dword v[8:9], v7, off
.LBB119_10:
	s_or_b64 exec, exec, s[4:5]
	scratch_load_dwordx2 v[8:9], off, off offset:24
	s_waitcnt vmcnt(0)
	ds_bpermute_b32 v10, v0, v8
	ds_bpermute_b32 v11, v0, v9
	s_waitcnt lgkmcnt(0)
	v_pk_add_f32 v[8:9], v[8:9], v[10:11]
	ds_bpermute_b32 v10, v1, v8
	ds_bpermute_b32 v11, v1, v9
	s_waitcnt lgkmcnt(0)
	v_pk_add_f32 v[8:9], v[8:9], v[10:11]
	ds_bpermute_b32 v10, v2, v8
	ds_bpermute_b32 v11, v2, v9
	s_waitcnt lgkmcnt(0)
	v_pk_add_f32 v[8:9], v[8:9], v[10:11]
	ds_bpermute_b32 v10, v3, v8
	ds_bpermute_b32 v11, v3, v9
	s_waitcnt lgkmcnt(0)
	v_pk_add_f32 v[8:9], v[8:9], v[10:11]
	ds_bpermute_b32 v10, v4, v8
	ds_bpermute_b32 v11, v4, v9
	s_waitcnt lgkmcnt(0)
	v_pk_add_f32 v[8:9], v[8:9], v[10:11]
	ds_bpermute_b32 v10, v6, v8
	ds_bpermute_b32 v11, v6, v9
	s_waitcnt lgkmcnt(0)
	v_pk_add_f32 v[8:9], v[8:9], v[10:11]
	scratch_store_dwordx2 off, v[8:9], off offset:24
	s_and_saveexec_b64 s[4:5], s[0:1]
	s_cbranch_execz .LBB119_12
; %bb.11:
	scratch_load_dword v7, v5, off offset:24
	v_mad_u64_u32 v[8:9], s[6:7], s10, 3, v[12:13]
	v_mov_b32_e32 v9, 0
	v_lshl_add_u64 v[8:9], v[8:9], 2, s[2:3]
	s_waitcnt vmcnt(0)
	global_store_dword v[8:9], v7, off
.LBB119_12:
	s_or_b64 exec, exec, s[4:5]
	scratch_load_dwordx2 v[8:9], off, off offset:32
	s_waitcnt vmcnt(0)
	ds_bpermute_b32 v10, v0, v8
	ds_bpermute_b32 v11, v0, v9
	s_waitcnt lgkmcnt(0)
	v_pk_add_f32 v[8:9], v[8:9], v[10:11]
	ds_bpermute_b32 v10, v1, v8
	ds_bpermute_b32 v11, v1, v9
	s_waitcnt lgkmcnt(0)
	v_pk_add_f32 v[8:9], v[8:9], v[10:11]
	;; [unrolled: 4-line block ×6, first 2 shown]
	scratch_store_dwordx2 off, v[8:9], off offset:32
	s_and_saveexec_b64 s[4:5], s[0:1]
	s_cbranch_execz .LBB119_14
; %bb.13:
	scratch_load_dword v7, v5, off offset:32
	v_lshl_or_b32 v8, s10, 2, v12
	v_mov_b32_e32 v9, 0
	v_lshl_add_u64 v[8:9], v[8:9], 2, s[2:3]
	s_waitcnt vmcnt(0)
	global_store_dword v[8:9], v7, off
.LBB119_14:
	s_or_b64 exec, exec, s[4:5]
	scratch_load_dwordx2 v[8:9], off, off offset:40
	s_waitcnt vmcnt(0)
	ds_bpermute_b32 v10, v0, v8
	ds_bpermute_b32 v11, v0, v9
	s_waitcnt lgkmcnt(0)
	v_pk_add_f32 v[8:9], v[8:9], v[10:11]
	ds_bpermute_b32 v10, v1, v8
	ds_bpermute_b32 v11, v1, v9
	s_waitcnt lgkmcnt(0)
	v_pk_add_f32 v[8:9], v[8:9], v[10:11]
	;; [unrolled: 4-line block ×6, first 2 shown]
	scratch_store_dwordx2 off, v[8:9], off offset:40
	s_and_saveexec_b64 s[4:5], s[0:1]
	s_cbranch_execz .LBB119_16
; %bb.15:
	scratch_load_dword v7, v5, off offset:40
	v_mad_u64_u32 v[8:9], s[6:7], s10, 5, v[12:13]
	v_mov_b32_e32 v9, 0
	v_lshl_add_u64 v[8:9], v[8:9], 2, s[2:3]
	s_waitcnt vmcnt(0)
	global_store_dword v[8:9], v7, off
.LBB119_16:
	s_or_b64 exec, exec, s[4:5]
	scratch_load_dwordx2 v[8:9], off, off offset:48
	s_waitcnt vmcnt(0)
	ds_bpermute_b32 v10, v0, v8
	ds_bpermute_b32 v11, v0, v9
	s_waitcnt lgkmcnt(0)
	v_pk_add_f32 v[8:9], v[8:9], v[10:11]
	ds_bpermute_b32 v10, v1, v8
	ds_bpermute_b32 v11, v1, v9
	s_waitcnt lgkmcnt(0)
	v_pk_add_f32 v[8:9], v[8:9], v[10:11]
	;; [unrolled: 4-line block ×6, first 2 shown]
	scratch_store_dwordx2 off, v[8:9], off offset:48
	s_and_saveexec_b64 s[4:5], s[0:1]
	s_cbranch_execz .LBB119_18
; %bb.17:
	scratch_load_dword v7, v5, off offset:48
	s_mul_i32 s6, s10, 6
	v_or_b32_e32 v8, s6, v12
	v_mov_b32_e32 v9, 0
	v_lshl_add_u64 v[8:9], v[8:9], 2, s[2:3]
	s_waitcnt vmcnt(0)
	global_store_dword v[8:9], v7, off
.LBB119_18:
	s_or_b64 exec, exec, s[4:5]
	scratch_load_dwordx2 v[8:9], off, off offset:56
	s_waitcnt vmcnt(0)
	ds_bpermute_b32 v10, v0, v8
	ds_bpermute_b32 v11, v0, v9
	s_waitcnt lgkmcnt(0)
	v_pk_add_f32 v[8:9], v[8:9], v[10:11]
	ds_bpermute_b32 v0, v1, v8
	ds_bpermute_b32 v1, v1, v9
	s_waitcnt lgkmcnt(0)
	v_pk_add_f32 v[0:1], v[8:9], v[0:1]
	;; [unrolled: 4-line block ×6, first 2 shown]
	scratch_store_dwordx2 off, v[0:1], off offset:56
	s_and_b64 exec, exec, s[0:1]
	s_cbranch_execz .LBB119_20
; %bb.19:
	scratch_load_dword v2, v5, off offset:56
	v_mad_u64_u32 v[0:1], s[0:1], s10, 7, v[12:13]
	v_mov_b32_e32 v1, 0
	v_lshl_add_u64 v[0:1], v[0:1], 2, s[2:3]
	s_waitcnt vmcnt(0)
	global_store_dword v[0:1], v2, off
.LBB119_20:
	s_endpgm
	.section	.rodata,"a",@progbits
	.p2align	6, 0x0
	.amdhsa_kernel _ZL13mul_mat_vec_qIL9ggml_type11ELi8ELb0ELb0EEvPKvS2_PKi31ggml_cuda_mm_fusion_args_devicePfj15HIP_vector_typeIjLj3EEjjjS8_jjjS8_jjjj
		.amdhsa_group_segment_fixed_size 0
		.amdhsa_private_segment_fixed_size 80
		.amdhsa_kernarg_size 144
		.amdhsa_user_sgpr_count 2
		.amdhsa_user_sgpr_dispatch_ptr 0
		.amdhsa_user_sgpr_queue_ptr 0
		.amdhsa_user_sgpr_kernarg_segment_ptr 1
		.amdhsa_user_sgpr_dispatch_id 0
		.amdhsa_user_sgpr_kernarg_preload_length 0
		.amdhsa_user_sgpr_kernarg_preload_offset 0
		.amdhsa_user_sgpr_private_segment_size 0
		.amdhsa_uses_dynamic_stack 0
		.amdhsa_enable_private_segment 1
		.amdhsa_system_sgpr_workgroup_id_x 1
		.amdhsa_system_sgpr_workgroup_id_y 1
		.amdhsa_system_sgpr_workgroup_id_z 1
		.amdhsa_system_sgpr_workgroup_info 0
		.amdhsa_system_vgpr_workitem_id 1
		.amdhsa_next_free_vgpr 142
		.amdhsa_next_free_sgpr 36
		.amdhsa_accum_offset 144
		.amdhsa_reserve_vcc 1
		.amdhsa_float_round_mode_32 0
		.amdhsa_float_round_mode_16_64 0
		.amdhsa_float_denorm_mode_32 3
		.amdhsa_float_denorm_mode_16_64 3
		.amdhsa_dx10_clamp 1
		.amdhsa_ieee_mode 1
		.amdhsa_fp16_overflow 0
		.amdhsa_tg_split 0
		.amdhsa_exception_fp_ieee_invalid_op 0
		.amdhsa_exception_fp_denorm_src 0
		.amdhsa_exception_fp_ieee_div_zero 0
		.amdhsa_exception_fp_ieee_overflow 0
		.amdhsa_exception_fp_ieee_underflow 0
		.amdhsa_exception_fp_ieee_inexact 0
		.amdhsa_exception_int_div_zero 0
	.end_amdhsa_kernel
	.section	.text._ZL13mul_mat_vec_qIL9ggml_type11ELi8ELb0ELb0EEvPKvS2_PKi31ggml_cuda_mm_fusion_args_devicePfj15HIP_vector_typeIjLj3EEjjjS8_jjjS8_jjjj,"axG",@progbits,_ZL13mul_mat_vec_qIL9ggml_type11ELi8ELb0ELb0EEvPKvS2_PKi31ggml_cuda_mm_fusion_args_devicePfj15HIP_vector_typeIjLj3EEjjjS8_jjjS8_jjjj,comdat
.Lfunc_end119:
	.size	_ZL13mul_mat_vec_qIL9ggml_type11ELi8ELb0ELb0EEvPKvS2_PKi31ggml_cuda_mm_fusion_args_devicePfj15HIP_vector_typeIjLj3EEjjjS8_jjjS8_jjjj, .Lfunc_end119-_ZL13mul_mat_vec_qIL9ggml_type11ELi8ELb0ELb0EEvPKvS2_PKi31ggml_cuda_mm_fusion_args_devicePfj15HIP_vector_typeIjLj3EEjjjS8_jjjS8_jjjj
                                        ; -- End function
	.section	.AMDGPU.csdata,"",@progbits
; Kernel info:
; codeLenInByte = 12592
; NumSgprs: 42
; NumVgprs: 142
; NumAgprs: 0
; TotalNumVgprs: 142
; ScratchSize: 80
; MemoryBound: 0
; FloatMode: 240
; IeeeMode: 1
; LDSByteSize: 0 bytes/workgroup (compile time only)
; SGPRBlocks: 5
; VGPRBlocks: 17
; NumSGPRsForWavesPerEU: 42
; NumVGPRsForWavesPerEU: 142
; AccumOffset: 144
; Occupancy: 3
; WaveLimiterHint : 0
; COMPUTE_PGM_RSRC2:SCRATCH_EN: 1
; COMPUTE_PGM_RSRC2:USER_SGPR: 2
; COMPUTE_PGM_RSRC2:TRAP_HANDLER: 0
; COMPUTE_PGM_RSRC2:TGID_X_EN: 1
; COMPUTE_PGM_RSRC2:TGID_Y_EN: 1
; COMPUTE_PGM_RSRC2:TGID_Z_EN: 1
; COMPUTE_PGM_RSRC2:TIDIG_COMP_CNT: 1
; COMPUTE_PGM_RSRC3_GFX90A:ACCUM_OFFSET: 35
; COMPUTE_PGM_RSRC3_GFX90A:TG_SPLIT: 0
	.section	.text._ZL17mul_mat_vec_q_moeIL9ggml_type12ELi2EEvPKvS2_PKiPfj15HIP_vector_typeIjLj3EEjjjjjjjjj,"axG",@progbits,_ZL17mul_mat_vec_q_moeIL9ggml_type12ELi2EEvPKvS2_PKiPfj15HIP_vector_typeIjLj3EEjjjjjjjjj,comdat
	.globl	_ZL17mul_mat_vec_q_moeIL9ggml_type12ELi2EEvPKvS2_PKiPfj15HIP_vector_typeIjLj3EEjjjjjjjjj ; -- Begin function _ZL17mul_mat_vec_q_moeIL9ggml_type12ELi2EEvPKvS2_PKiPfj15HIP_vector_typeIjLj3EEjjjjjjjjj
	.p2align	8
	.type	_ZL17mul_mat_vec_q_moeIL9ggml_type12ELi2EEvPKvS2_PKiPfj15HIP_vector_typeIjLj3EEjjjjjjjjj,@function
_ZL17mul_mat_vec_q_moeIL9ggml_type12ELi2EEvPKvS2_PKiPfj15HIP_vector_typeIjLj3EEjjjjjjjjj: ; @_ZL17mul_mat_vec_q_moeIL9ggml_type12ELi2EEvPKvS2_PKiPfj15HIP_vector_typeIjLj3EEjjjjjjjjj
; %bb.0:
	s_load_dwordx8 s[4:11], s[0:1], 0x30
	v_bfe_u32 v18, v0, 10, 10
	s_waitcnt lgkmcnt(0)
	v_cmp_gt_u32_e32 vcc, s11, v18
	s_and_saveexec_b64 s[12:13], vcc
	s_cbranch_execz .LBB120_15
; %bb.1:
	s_load_dword s11, s[0:1], 0x20
	s_load_dword s20, s[0:1], 0x50
	s_load_dwordx8 s[12:19], s[0:1], 0x0
	v_and_b32_e32 v19, 0x3ff, v0
	v_lshrrev_b32_e32 v3, 4, v19
	s_waitcnt lgkmcnt(0)
	s_lshr_b32 s11, s11, 8
	s_lshl_b32 s2, s2, 1
	v_cmp_gt_u32_e32 vcc, s11, v3
	v_mov_b32_e32 v5, 0
	v_mov_b32_e32 v2, 0
	s_and_saveexec_b64 s[24:25], vcc
	s_cbranch_execz .LBB120_13
; %bb.2:
	v_mul_lo_u32 v0, v18, s20
	v_mov_b32_e32 v4, s16
	v_mov_b32_e32 v5, s17
	v_add_u32_e32 v0, s3, v0
	v_mov_b32_e32 v1, 0
	v_lshl_add_u64 v[4:5], v[0:1], 2, v[4:5]
	global_load_dword v14, v[4:5], off
	s_load_dwordx4 s[20:23], s[0:1], 0x24
	v_bfe_u32 v11, v19, 2, 2
	v_lshlrev_b32_e32 v0, 1, v19
	v_lshrrev_b32_e32 v10, 4, v19
	s_movk_i32 s0, 0x120
	v_mul_hi_u32_u24_e32 v13, 0x48, v11
	v_mul_u32_u24_e32 v12, 0x48, v11
	v_mul_lo_u32 v5, v18, s6
	v_bfe_u32 v4, v0, 3, 2
	v_mad_u64_u32 v[12:13], s[0:1], v10, s0, v[12:13]
	v_and_b32_e32 v15, 30, v0
	v_lshlrev_b32_e32 v0, 5, v4
	v_lshlrev_b32_e32 v10, 1, v4
	v_mad_u64_u32 v[4:5], s[0:1], v5, 36, v[12:13]
	s_waitcnt lgkmcnt(0)
	s_mul_hi_u32 s0, s20, s3
	s_add_i32 s0, s3, s0
	s_lshr_b32 s0, s0, s21
	s_mul_i32 s0, s0, s22
	s_sub_i32 s0, s3, s0
	s_mul_i32 s0, s0, s9
	s_mul_hi_u32 s1, s0, 36
	s_mul_i32 s0, s0, 36
	s_add_u32 s0, s14, s0
	s_addc_u32 s1, s15, s1
	s_add_i32 s9, s2, 1
	v_lshl_add_u64 v[4:5], s[0:1], 0, v[4:5]
	v_and_b32_e32 v2, 3, v19
	s_mul_i32 s29, s2, s5
	s_mul_i32 s0, s5, s9
	v_lshl_add_u64 v[12:13], v[4:5], 0, 36
	s_mov_b64 s[16:17], 0
	s_movk_i32 s6, 0x90
	v_mov_b64_e32 v[6:7], s[12:13]
	s_mov_b32 s23, 0x5040100
	s_mov_b32 s26, 0x20004
	;; [unrolled: 1-line block ×4, first 2 shown]
	s_mov_b64 s[12:13], 0x480
	v_lshlrev_b32_e32 v8, 2, v2
	v_mov_b32_e32 v9, v1
	v_mov_b32_e32 v11, v1
	;; [unrolled: 1-line block ×3, first 2 shown]
	v_cmp_lt_u32_e32 vcc, 15, v15
	v_mov_b32_e32 v5, v1
	s_waitcnt vmcnt(0)
	v_mul_lo_u32 v4, v14, s8
	v_add_u32_e32 v20, s29, v4
	v_add_u32_e32 v21, s0, v4
	s_branch .LBB120_4
.LBB120_3:                              ;   in Loop: Header=BB120_4 Depth=1
	s_or_b64 exec, exec, s[0:1]
	global_load_dword v34, v[14:15], off
	s_waitcnt vmcnt(11)
	v_cvt_f32_f16_e32 v14, v25
	v_mov_b32_e32 v15, 0
	s_waitcnt vmcnt(5)
	v_and_b32_e32 v25, 0xf0f0f0f, v27
	v_mov_b32_e32 v36, 0
	v_lshrrev_b32_e32 v37, 4, v27
	s_waitcnt vmcnt(2)
	v_and_b32_e32 v40, 0xf0f0f0f, v31
	v_mov_b32_e32 v42, 0
	v_lshrrev_b32_e32 v31, 4, v31
	v_cvt_f32_f16_e32 v16, v26
	v_mov_b32_e32 v17, 0
	v_and_b32_e32 v35, 0xf0f0f0f, v28
	v_lshrrev_b32_e32 v28, 4, v28
	v_mov_b32_e32 v38, 0
	v_pk_lshrrev_b16 v39, 8, v29 op_sel_hi:[0,1]
	v_and_b32_e32 v29, 0xff00ff, v29
	v_cvt_f32_f16_sdwa v26, v32 dst_sel:DWORD dst_unused:UNUSED_PAD src0_sel:WORD_1
	v_cvt_f32_f16_e32 v27, v32
	v_pk_lshrrev_b16 v32, 8, v33 op_sel_hi:[0,1]
	s_waitcnt vmcnt(1)
	v_and_b32_e32 v41, 0xf0f0f0f, v30
	v_and_b32_e32 v33, 0xff00ff, v33
	v_lshrrev_b32_e32 v30, 4, v30
	v_mov_b32_e32 v43, 0
	v_dot4c_i32_i8_e32 v15, 0x1010101, v24
	v_dot4c_i32_i8_e32 v36, v25, v24
	v_and_b32_e32 v25, 0xf0f0f0f, v37
	v_dot4c_i32_i8_e32 v42, v40, v24
	v_and_b32_e32 v24, 0xf0f0f0f, v31
	;; [unrolled: 2-line block ×3, first 2 shown]
	v_and_b32_e32 v44, 0xff, v29
	v_lshrrev_b32_e32 v29, 16, v29
	v_and_b32_e32 v30, 0xf0f0f0f, v30
	v_lshrrev_b32_e32 v40, 16, v33
	v_and_b32_e32 v33, 0xff, v33
	v_dot4c_i32_i8_e32 v15, 0x1010101, v22
	v_dot4c_i32_i8_e32 v36, v35, v22
	;; [unrolled: 1-line block ×5, first 2 shown]
	v_and_b32_e32 v37, 0xff, v39
	v_lshrrev_b32_e32 v39, 16, v39
	v_lshrrev_b32_e32 v31, 16, v32
	v_and_b32_e32 v32, 0xff, v32
	v_dot4c_i32_i8_e32 v17, 0x1010101, v4
	v_dot4c_i32_i8_e32 v38, v28, v4
	v_mul_lo_u32 v23, v36, v29
	v_mul_lo_u32 v22, v15, v44
	v_dot4c_i32_i8_e32 v43, v30, v4
	v_mul_lo_u32 v4, v42, v33
	v_mul_lo_u32 v15, v15, v40
	;; [unrolled: 1-line block ×4, first 2 shown]
	v_cvt_f32_i32_e32 v22, v22
	v_cvt_f32_i32_e32 v23, v23
	v_mul_lo_u32 v25, v38, v39
	v_cvt_f32_i32_e32 v29, v15
	v_cvt_f32_i32_e32 v28, v4
	v_mul_lo_u32 v4, v43, v32
	v_cvt_f32_i32_e32 v24, v24
	v_cvt_f32_i32_e32 v31, v17
	;; [unrolled: 1-line block ×4, first 2 shown]
	v_pk_fma_f32 v[22:23], v[14:15], v[22:23], 0 op_sel_hi:[0,1,0]
	v_pk_fma_f32 v[14:15], v[14:15], v[28:29], 0 op_sel_hi:[0,1,0]
	;; [unrolled: 1-line block ×4, first 2 shown]
	v_pk_mul_f32 v[22:23], v[22:23], v[26:27]
	v_add_u32_e32 v3, 4, v3
	v_sub_f32_e32 v4, v23, v22
	v_add_f32_e32 v2, v2, v4
	v_cmp_le_u32_e64 s[0:1], s11, v3
	s_or_b64 s[16:17], s[0:1], s[16:17]
	v_lshl_add_u64 v[12:13], v[12:13], 0, s[12:13]
	s_waitcnt vmcnt(0)
	v_cvt_f32_f16_sdwa v17, v34 dst_sel:DWORD dst_unused:UNUSED_PAD src0_sel:WORD_1
	v_cvt_f32_f16_e32 v16, v34
	v_pk_mul_f32 v[22:23], v[14:15], v[16:17]
	s_nop 0
	v_mov_b32_e32 v4, v23
	v_pk_fma_f32 v[14:15], v[14:15], v[16:17], v[4:5] neg_lo:[0,0,1] neg_hi:[0,0,1]
	s_nop 0
	v_mov_b32_e32 v15, v14
	v_pk_add_f32 v[4:5], v[4:5], v[14:15]
	s_andn2_b64 exec, exec, s[16:17]
	s_cbranch_execz .LBB120_12
.LBB120_4:                              ; =>This Inner Loop Header: Depth=1
	v_lshl_add_u64 v[14:15], v[12:13], 0, v[8:9]
	global_load_dword v25, v[12:13], off offset:-36
	global_load_dword v26, v[12:13], off
	global_load_dword v24, v[14:15], off offset:-32
	global_load_dword v22, v[14:15], off offset:-16
	global_load_dword v23, v[14:15], off offset:4
	global_load_dword v4, v[14:15], off offset:20
	v_add_u32_e32 v14, v20, v3
	v_mad_i64_i32 v[16:17], s[0:1], v14, s6, v[6:7]
	v_lshl_add_u64 v[14:15], v[16:17], 0, v[0:1]
	v_lshl_add_u64 v[14:15], v[14:15], 0, v[8:9]
	global_load_dword v27, v[14:15], off offset:16
	global_load_dword v28, v[14:15], off offset:32
	v_lshl_add_u64 v[14:15], v[16:17], 0, v[10:11]
                                        ; implicit-def: $vgpr29
	s_and_saveexec_b64 s[0:1], vcc
	s_xor_b64 s[0:1], exec, s[0:1]
	s_cbranch_execz .LBB120_6
; %bb.5:                                ;   in Loop: Header=BB120_4 Depth=1
	global_load_ushort v29, v[14:15], off offset:8
	global_load_ushort v30, v[14:15], off offset:4
	global_load_ushort v31, v[14:15], off
	s_waitcnt vmcnt(1)
	v_lshrrev_b16_e32 v14, 2, v30
	s_waitcnt vmcnt(0)
	v_perm_b32 v15, v31, v29, s23
	v_perm_b32 v14, v29, v14, s23
	v_pk_lshrrev_b16 v15, s26, v15
	v_and_b32_e32 v14, 0xf0f3030, v14
	v_and_or_b32 v29, v15, s27, v14
                                        ; implicit-def: $vgpr14_vgpr15
.LBB120_6:                              ;   in Loop: Header=BB120_4 Depth=1
	s_andn2_saveexec_b64 s[0:1], s[0:1]
	s_cbranch_execz .LBB120_8
; %bb.7:                                ;   in Loop: Header=BB120_4 Depth=1
	global_load_ushort v29, v[14:15], off offset:4
	global_load_ushort v30, v[14:15], off offset:8
	s_waitcnt vmcnt(0)
	v_perm_b32 v14, v29, v30, s23
	v_and_b32_e32 v29, 0x3f3f3f3f, v14
.LBB120_8:                              ;   in Loop: Header=BB120_4 Depth=1
	s_or_b64 exec, exec, s[0:1]
	v_add_u32_e32 v14, v21, v3
	v_mad_i64_i32 v[14:15], s[0:1], v14, s6, v[6:7]
	v_lshl_add_u64 v[30:31], v[14:15], 0, v[0:1]
	v_lshl_add_u64 v[34:35], v[30:31], 0, v[8:9]
	global_load_dword v32, v[16:17], off
	global_load_dword v31, v[34:35], off offset:16
	global_load_dword v30, v[34:35], off offset:32
	v_lshl_add_u64 v[16:17], v[14:15], 0, v[10:11]
                                        ; implicit-def: $vgpr33
	s_and_saveexec_b64 s[0:1], vcc
	s_xor_b64 s[0:1], exec, s[0:1]
	s_cbranch_execz .LBB120_10
; %bb.9:                                ;   in Loop: Header=BB120_4 Depth=1
	global_load_ushort v33, v[16:17], off
	global_load_ushort v34, v[16:17], off offset:8
	global_load_ushort v35, v[16:17], off offset:4
	s_waitcnt vmcnt(1)
	v_lshrrev_b16_e32 v16, 4, v34
	s_waitcnt vmcnt(0)
	v_perm_b32 v17, v35, v33, s23
	v_perm_b32 v16, v16, v34, s23
	v_and_b32_e32 v16, 0xf0f0f0f, v16
	v_pk_lshrrev_b16 v17, 2, v17 op_sel_hi:[0,1]
	v_and_or_b32 v33, v17, s28, v16
                                        ; implicit-def: $vgpr16_vgpr17
.LBB120_10:                             ;   in Loop: Header=BB120_4 Depth=1
	s_andn2_saveexec_b64 s[0:1], s[0:1]
	s_cbranch_execz .LBB120_3
; %bb.11:                               ;   in Loop: Header=BB120_4 Depth=1
	global_load_ushort v33, v[16:17], off offset:4
	global_load_ushort v34, v[16:17], off offset:8
	s_waitcnt vmcnt(0)
	v_perm_b32 v16, v34, v33, s23
	v_and_b32_e32 v33, 0x3f3f3f3f, v16
	s_branch .LBB120_3
.LBB120_12:
	s_or_b64 exec, exec, s[16:17]
.LBB120_13:
	s_or_b64 exec, exec, s[24:25]
	v_mbcnt_lo_u32_b32 v0, -1, 0
	v_mbcnt_hi_u32_b32 v4, -1, v0
	v_and_b32_e32 v0, 64, v4
	v_add_u32_e32 v6, 64, v0
	v_xor_b32_e32 v0, 32, v4
	v_cmp_lt_i32_e32 vcc, v0, v6
	v_mov_b32_e32 v3, v5
	s_nop 0
	v_cndmask_b32_e32 v0, v4, v0, vcc
	v_lshlrev_b32_e32 v1, 2, v0
	ds_bpermute_b32 v0, v1, v2
	ds_bpermute_b32 v1, v1, v5
	v_xor_b32_e32 v5, 16, v4
	v_cmp_lt_i32_e32 vcc, v5, v6
	s_waitcnt lgkmcnt(0)
	v_pk_add_f32 v[0:1], v[2:3], v[0:1]
	v_cndmask_b32_e32 v5, v4, v5, vcc
	v_lshlrev_b32_e32 v5, 2, v5
	ds_bpermute_b32 v2, v5, v0
	ds_bpermute_b32 v3, v5, v1
	v_xor_b32_e32 v5, 8, v4
	v_cmp_lt_i32_e32 vcc, v5, v6
	s_waitcnt lgkmcnt(0)
	v_pk_add_f32 v[0:1], v[0:1], v[2:3]
	;; [unrolled: 8-line block ×5, first 2 shown]
	v_cndmask_b32_e32 v4, v4, v5, vcc
	v_lshlrev_b32_e32 v4, 2, v4
	ds_bpermute_b32 v2, v4, v0
	ds_bpermute_b32 v3, v4, v1
	v_add_u32_e32 v4, s2, v19
	v_cmp_gt_u32_e32 vcc, 2, v19
	v_cmp_gt_u32_e64 s[0:1], s4, v4
	s_and_b64 s[0:1], vcc, s[0:1]
	s_and_b64 exec, exec, s[0:1]
	s_cbranch_execz .LBB120_15
; %bb.14:
	v_cmp_eq_u32_e32 vcc, 1, v19
	s_mul_i32 s3, s3, s10
	v_mov_b32_e32 v4, s18
	s_waitcnt lgkmcnt(0)
	v_cndmask_b32_e32 v2, v2, v3, vcc
	v_cndmask_b32_e32 v0, v0, v1, vcc
	v_add_f32_e32 v2, v0, v2
	v_mul_lo_u32 v0, v18, s7
	v_or_b32_e32 v1, s2, v19
	v_mov_b32_e32 v5, s19
	v_add3_u32 v0, v1, v0, s3
	v_mov_b32_e32 v1, 0
	v_lshl_add_u64 v[0:1], v[0:1], 2, v[4:5]
	global_store_dword v[0:1], v2, off
.LBB120_15:
	s_endpgm
	.section	.rodata,"a",@progbits
	.p2align	6, 0x0
	.amdhsa_kernel _ZL17mul_mat_vec_q_moeIL9ggml_type12ELi2EEvPKvS2_PKiPfj15HIP_vector_typeIjLj3EEjjjjjjjjj
		.amdhsa_group_segment_fixed_size 0
		.amdhsa_private_segment_fixed_size 0
		.amdhsa_kernarg_size 84
		.amdhsa_user_sgpr_count 2
		.amdhsa_user_sgpr_dispatch_ptr 0
		.amdhsa_user_sgpr_queue_ptr 0
		.amdhsa_user_sgpr_kernarg_segment_ptr 1
		.amdhsa_user_sgpr_dispatch_id 0
		.amdhsa_user_sgpr_kernarg_preload_length 0
		.amdhsa_user_sgpr_kernarg_preload_offset 0
		.amdhsa_user_sgpr_private_segment_size 0
		.amdhsa_uses_dynamic_stack 0
		.amdhsa_enable_private_segment 0
		.amdhsa_system_sgpr_workgroup_id_x 1
		.amdhsa_system_sgpr_workgroup_id_y 1
		.amdhsa_system_sgpr_workgroup_id_z 0
		.amdhsa_system_sgpr_workgroup_info 0
		.amdhsa_system_vgpr_workitem_id 1
		.amdhsa_next_free_vgpr 45
		.amdhsa_next_free_sgpr 30
		.amdhsa_accum_offset 48
		.amdhsa_reserve_vcc 1
		.amdhsa_float_round_mode_32 0
		.amdhsa_float_round_mode_16_64 0
		.amdhsa_float_denorm_mode_32 3
		.amdhsa_float_denorm_mode_16_64 3
		.amdhsa_dx10_clamp 1
		.amdhsa_ieee_mode 1
		.amdhsa_fp16_overflow 0
		.amdhsa_tg_split 0
		.amdhsa_exception_fp_ieee_invalid_op 0
		.amdhsa_exception_fp_denorm_src 0
		.amdhsa_exception_fp_ieee_div_zero 0
		.amdhsa_exception_fp_ieee_overflow 0
		.amdhsa_exception_fp_ieee_underflow 0
		.amdhsa_exception_fp_ieee_inexact 0
		.amdhsa_exception_int_div_zero 0
	.end_amdhsa_kernel
	.section	.text._ZL17mul_mat_vec_q_moeIL9ggml_type12ELi2EEvPKvS2_PKiPfj15HIP_vector_typeIjLj3EEjjjjjjjjj,"axG",@progbits,_ZL17mul_mat_vec_q_moeIL9ggml_type12ELi2EEvPKvS2_PKiPfj15HIP_vector_typeIjLj3EEjjjjjjjjj,comdat
.Lfunc_end120:
	.size	_ZL17mul_mat_vec_q_moeIL9ggml_type12ELi2EEvPKvS2_PKiPfj15HIP_vector_typeIjLj3EEjjjjjjjjj, .Lfunc_end120-_ZL17mul_mat_vec_q_moeIL9ggml_type12ELi2EEvPKvS2_PKiPfj15HIP_vector_typeIjLj3EEjjjjjjjjj
                                        ; -- End function
	.section	.AMDGPU.csdata,"",@progbits
; Kernel info:
; codeLenInByte = 1768
; NumSgprs: 36
; NumVgprs: 45
; NumAgprs: 0
; TotalNumVgprs: 45
; ScratchSize: 0
; MemoryBound: 0
; FloatMode: 240
; IeeeMode: 1
; LDSByteSize: 0 bytes/workgroup (compile time only)
; SGPRBlocks: 4
; VGPRBlocks: 5
; NumSGPRsForWavesPerEU: 36
; NumVGPRsForWavesPerEU: 45
; AccumOffset: 48
; Occupancy: 8
; WaveLimiterHint : 1
; COMPUTE_PGM_RSRC2:SCRATCH_EN: 0
; COMPUTE_PGM_RSRC2:USER_SGPR: 2
; COMPUTE_PGM_RSRC2:TRAP_HANDLER: 0
; COMPUTE_PGM_RSRC2:TGID_X_EN: 1
; COMPUTE_PGM_RSRC2:TGID_Y_EN: 1
; COMPUTE_PGM_RSRC2:TGID_Z_EN: 0
; COMPUTE_PGM_RSRC2:TIDIG_COMP_CNT: 1
; COMPUTE_PGM_RSRC3_GFX90A:ACCUM_OFFSET: 11
; COMPUTE_PGM_RSRC3_GFX90A:TG_SPLIT: 0
	.section	.text._ZL13mul_mat_vec_qIL9ggml_type12ELi1ELb1ELb1EEvPKvS2_PKi31ggml_cuda_mm_fusion_args_devicePfj15HIP_vector_typeIjLj3EEjjjS8_jjjS8_jjjj,"axG",@progbits,_ZL13mul_mat_vec_qIL9ggml_type12ELi1ELb1ELb1EEvPKvS2_PKi31ggml_cuda_mm_fusion_args_devicePfj15HIP_vector_typeIjLj3EEjjjS8_jjjS8_jjjj,comdat
	.globl	_ZL13mul_mat_vec_qIL9ggml_type12ELi1ELb1ELb1EEvPKvS2_PKi31ggml_cuda_mm_fusion_args_devicePfj15HIP_vector_typeIjLj3EEjjjS8_jjjS8_jjjj ; -- Begin function _ZL13mul_mat_vec_qIL9ggml_type12ELi1ELb1ELb1EEvPKvS2_PKi31ggml_cuda_mm_fusion_args_devicePfj15HIP_vector_typeIjLj3EEjjjS8_jjjS8_jjjj
	.p2align	8
	.type	_ZL13mul_mat_vec_qIL9ggml_type12ELi1ELb1ELb1EEvPKvS2_PKi31ggml_cuda_mm_fusion_args_devicePfj15HIP_vector_typeIjLj3EEjjjS8_jjjS8_jjjj,@function
_ZL13mul_mat_vec_qIL9ggml_type12ELi1ELb1ELb1EEvPKvS2_PKi31ggml_cuda_mm_fusion_args_devicePfj15HIP_vector_typeIjLj3EEjjjS8_jjjS8_jjjj: ; @_ZL13mul_mat_vec_qIL9ggml_type12ELi1ELb1ELb1EEvPKvS2_PKi31ggml_cuda_mm_fusion_args_devicePfj15HIP_vector_typeIjLj3EEjjjS8_jjjS8_jjjj
; %bb.0:
	s_load_dwordx8 s[16:23], s[2:3], 0x0
	s_load_dwordx4 s[36:39], s[2:3], 0x20
	s_load_dwordx4 s[40:43], s[2:3], 0x40
	;; [unrolled: 1-line block ×3, first 2 shown]
	s_mov_b32 s14, s5
	s_waitcnt lgkmcnt(0)
	s_cmp_lg_u64 s[20:21], 0
	s_cselect_b64 s[8:9], -1, 0
	s_cmp_eq_u64 s[20:21], 0
	s_mov_b64 s[10:11], 0
	s_cbranch_scc1 .LBB121_5
; %bb.1:
	s_mov_b32 s15, 0
	s_lshl_b64 s[12:13], s[14:15], 2
	s_add_u32 s12, s20, s12
	s_addc_u32 s13, s21, s13
	s_load_dword s44, s[12:13], 0x0
	s_load_dword s33, s[2:3], 0x50
	;; [unrolled: 1-line block ×3, first 2 shown]
	s_andn2_b64 vcc, exec, s[10:11]
	s_cbranch_vccnz .LBB121_3
.LBB121_2:
	s_load_dwordx2 s[10:11], s[2:3], 0x5c
	s_waitcnt lgkmcnt(0)
	s_mul_hi_u32 s5, s10, s14
	s_add_i32 s5, s14, s5
	s_lshr_b32 s44, s5, s11
.LBB121_3:
	s_andn2_b64 vcc, exec, s[8:9]
	s_cbranch_vccnz .LBB121_6
; %bb.4:
	s_mul_hi_u32 s5, s41, s14
	s_add_i32 s5, s14, s5
	s_lshr_b32 s5, s5, s42
	s_mul_i32 s5, s5, s43
	s_sub_i32 s41, s14, s5
	s_waitcnt lgkmcnt(0)
	s_mov_b32 s15, s44
	s_branch .LBB121_7
.LBB121_5:
                                        ; implicit-def: $sgpr44
	s_load_dword s33, s[2:3], 0x50
	s_load_dword s45, s[2:3], 0x78
	s_branch .LBB121_2
.LBB121_6:
	s_mov_b32 s15, s14
	s_mov_b32 s41, s14
.LBB121_7:
	s_load_dword s7, s[2:3], 0x58
	s_load_dwordx4 s[28:31], s[2:3], 0x80
	s_lshl_b32 s20, s4, 1
	s_cmp_eq_u64 s[22:23], 0
	v_and_b32_e32 v18, 0x3ff, v0
	v_bfe_u32 v23, v0, 10, 10
	s_cselect_b64 s[10:11], -1, 0
	s_and_b64 vcc, exec, s[10:11]
	v_mov_b32_e32 v19, 0
	v_cmp_gt_u32_e64 s[4:5], 2, v18
	v_cmp_eq_u32_e64 s[8:9], 0, v23
	v_or_b32_e32 v1, s20, v18
	v_mov_b32_e32 v20, 0
	s_cbranch_vccnz .LBB121_11
; %bb.8:
	s_waitcnt lgkmcnt(0)
	v_cmp_gt_u32_e32 vcc, s7, v1
	s_and_b64 s[4:5], s[4:5], vcc
	s_mov_b32 s13, 0
	s_and_b64 s[8:9], s[4:5], s[8:9]
	v_mov_b32_e32 v20, 0
	s_and_saveexec_b64 s[4:5], s[8:9]
	s_cbranch_execz .LBB121_10
; %bb.9:
	s_mul_i32 s12, s6, s30
	s_lshl_b64 s[8:9], s[12:13], 2
	s_add_u32 s21, s22, s8
	s_mul_i32 s12, s15, s26
	s_addc_u32 s22, s23, s9
	s_lshl_b64 s[8:9], s[12:13], 2
	s_add_u32 s12, s21, s8
	s_addc_u32 s13, s22, s9
	s_ashr_i32 s21, s20, 31
	s_lshl_b64 s[8:9], s[20:21], 2
	s_add_u32 s8, s12, s8
	s_addc_u32 s9, s13, s9
	v_lshlrev_b32_e32 v2, 2, v18
	global_load_dword v20, v2, s[8:9]
.LBB121_10:
	s_or_b64 exec, exec, s[4:5]
.LBB121_11:
	s_cmp_lg_u64 s[36:37], 0
	s_cselect_b64 s[22:23], -1, 0
	s_cmp_lg_u64 s[38:39], 0
	s_cselect_b64 s[4:5], -1, 0
	s_and_b64 s[8:9], s[4:5], s[22:23]
	s_andn2_b64 vcc, exec, s[8:9]
	s_cbranch_vccnz .LBB121_15
; %bb.12:
	v_cmp_gt_u32_e32 vcc, 2, v18
	s_waitcnt lgkmcnt(0)
	v_cmp_gt_u32_e64 s[12:13], s7, v1
	v_cmp_eq_u32_e64 s[8:9], 0, v23
	s_and_b64 s[12:13], vcc, s[12:13]
	s_mov_b32 s35, 0
	s_and_b64 s[12:13], s[12:13], s[8:9]
	v_mov_b32_e32 v19, 0
	s_and_saveexec_b64 s[8:9], s[12:13]
	s_cbranch_execz .LBB121_14
; %bb.13:
	s_mul_i32 s34, s6, s30
	s_lshl_b64 s[12:13], s[34:35], 2
	s_add_u32 s21, s38, s12
	s_mul_i32 s34, s15, s26
	s_addc_u32 s31, s39, s13
	s_lshl_b64 s[12:13], s[34:35], 2
	s_add_u32 s15, s21, s12
	s_addc_u32 s31, s31, s13
	s_ashr_i32 s21, s20, 31
	s_lshl_b64 s[12:13], s[20:21], 2
	s_add_u32 s12, s15, s12
	s_addc_u32 s13, s31, s13
	v_lshlrev_b32_e32 v1, 2, v18
	global_load_dword v19, v1, s[12:13]
.LBB121_14:
	s_or_b64 exec, exec, s[8:9]
.LBB121_15:
	s_load_dwordx2 s[0:1], s[0:1], 0x4
	v_bfe_u32 v0, v0, 20, 10
	v_lshl_add_u32 v2, v23, 6, v18
	s_lshr_b32 s15, s40, 8
	v_lshrrev_b32_e32 v25, 4, v2
	s_waitcnt lgkmcnt(0)
	s_lshr_b32 s0, s0, 16
	v_mul_u32_u24_e32 v1, s1, v23
	s_mul_i32 s0, s0, s1
	v_mad_u32_u24 v1, s0, v18, v1
	v_add_lshl_u32 v0, v1, v0, 3
	v_add_u32_e32 v22, 0x800, v0
	v_add_u32_e32 v21, 0x400, v0
	v_mov_b32_e32 v28, 0
	v_cmp_gt_u32_e32 vcc, s15, v25
	v_cndmask_b32_e64 v24, 0, 1, s[22:23]
	v_mov_b32_e32 v29, 0
	v_mov_b32_e32 v27, 0
	v_mov_b32_e32 v26, 0
	ds_write2_b32 v22, v28, v28 offset1:1
	ds_write2_b32 v21, v28, v28 offset1:1
	s_and_saveexec_b64 s[12:13], vcc
	s_cbranch_execz .LBB121_39
; %bb.16:
	s_mul_hi_u32 s0, s27, s6
	s_add_i32 s0, s6, s0
	v_lshlrev_b32_e32 v0, 1, v18
	s_lshr_b32 s0, s0, s45
	v_and_b32_e32 v6, 30, v0
	s_mul_i32 s21, s44, s24
	s_mul_i32 s24, s0, s28
	v_cmp_lt_u32_e64 s[0:1], 15, v6
	v_bfe_u32 v6, v18, 2, 2
	v_lshrrev_b32_e32 v2, 4, v2
	v_mul_hi_u32_u24_e32 v7, 0x48, v6
	v_mul_u32_u24_e32 v6, 0x48, v6
	s_movk_i32 s8, 0x120
	s_mul_i32 s27, s6, s29
	v_mad_u64_u32 v[6:7], s[8:9], v2, s8, v[6:7]
	s_mul_hi_u32 s8, s27, 36
	s_mul_i32 s27, s27, 36
	s_mul_i32 s25, s41, s25
	s_add_u32 s18, s18, s27
	s_mul_hi_u32 s9, s25, 36
	s_mul_i32 s25, s25, 36
	s_addc_u32 s19, s19, s8
	s_add_u32 s8, s18, s25
	s_addc_u32 s9, s19, s9
	v_lshl_add_u64 v[6:7], s[8:9], 0, v[6:7]
	s_add_i32 s8, s20, 1
	v_bfe_u32 v10, v0, 3, 2
	v_mov_b32_e32 v3, 0
	v_and_b32_e32 v4, 3, v18
	s_mul_i32 s28, s20, s33
	s_add_i32 s27, s24, s21
	s_mul_i32 s33, s33, s8
	v_lshlrev_b32_e32 v0, 5, v10
	v_mov_b32_e32 v1, v3
	v_lshlrev_b32_e32 v4, 2, v4
	v_mov_b32_e32 v5, v3
	v_lshl_add_u64 v[6:7], v[6:7], 0, 36
	s_add_i32 s21, s27, s28
	s_add_i32 s27, s27, s33
	s_mov_b64 s[18:19], 0
	s_movk_i32 s31, 0x90
	v_mov_b64_e32 v[8:9], s[16:17]
	v_lshlrev_b32_e32 v2, 1, v10
	s_mov_b32 s33, 0x5040100
	s_mov_b32 s34, 0x20004
	;; [unrolled: 1-line block ×4, first 2 shown]
	s_mov_b64 s[24:25], 0x900
	v_cmp_ne_u32_e64 s[8:9], 1, v24
	v_mov_b32_e32 v26, v3
	v_mov_b32_e32 v27, v3
	;; [unrolled: 1-line block ×6, first 2 shown]
	s_branch .LBB121_19
.LBB121_17:                             ;   in Loop: Header=BB121_19 Depth=1
	s_or_b64 exec, exec, s[28:29]
	global_load_dword v46, v[14:15], off
	s_waitcnt vmcnt(2)
	v_and_b32_e32 v15, 0xf0f0f0f, v44
	v_mov_b32_e32 v17, v3
	v_lshrrev_b32_e32 v44, 4, v44
	v_pk_lshrrev_b16 v14, 8, v45 op_sel_hi:[0,1]
	s_waitcnt vmcnt(1)
	v_and_b32_e32 v16, 0xf0f0f0f, v38
	v_and_b32_e32 v45, 0xff00ff, v45
	v_lshrrev_b32_e32 v38, 4, v38
	v_mov_b32_e32 v47, v3
	v_dot4c_i32_i8_e32 v17, v15, v35
	v_and_b32_e32 v15, 0xf0f0f0f, v44
	v_and_b32_e32 v38, 0xf0f0f0f, v38
	v_lshrrev_b32_e32 v44, 16, v14
	v_and_b32_e32 v48, 0xff, v14
	v_lshrrev_b32_e32 v14, 16, v45
	v_and_b32_e32 v45, 0xff, v45
	v_dot4c_i32_i8_e32 v17, v16, v34
	v_dot4c_i32_i8_e32 v47, v15, v31
	v_mul_lo_u32 v14, v39, v14
	v_mul_lo_u32 v16, v13, v44
	v_dot4c_i32_i8_e32 v47, v38, v30
	v_mul_lo_u32 v38, v17, v45
	v_cvt_f32_i32_e32 v15, v14
	v_cvt_f32_i32_e32 v17, v16
	;; [unrolled: 1-line block ×3, first 2 shown]
	v_mul_lo_u32 v16, v47, v48
	v_cvt_f32_i32_e32 v16, v16
	v_pk_fma_f32 v[14:15], v[12:13], v[14:15], 0 op_sel_hi:[0,1,0]
	v_pk_fma_f32 v[14:15], v[10:11], v[16:17], v[14:15] op_sel_hi:[0,1,1]
	s_waitcnt vmcnt(0)
	v_cvt_f32_f16_sdwa v45, v46 dst_sel:DWORD dst_unused:UNUSED_PAD src0_sel:WORD_1
	v_cvt_f32_f16_e32 v44, v46
	v_pk_mul_f32 v[14:15], v[14:15], v[44:45]
	s_nop 0
	v_sub_f32_e32 v14, v14, v15
	v_add_f32_e32 v26, v26, v14
	v_mov_b32_e32 v38, v26
.LBB121_18:                             ;   in Loop: Header=BB121_19 Depth=1
	s_waitcnt vmcnt(2)
	v_and_b32_e32 v14, 0xf0f0f0f, v41
	v_mov_b32_e32 v16, v3
	s_waitcnt vmcnt(1)
	v_and_b32_e32 v15, 0xf0f0f0f, v40
	v_dot4c_i32_i8_e32 v16, v14, v35
	v_dot4c_i32_i8_e32 v16, v15, v34
	v_bfe_u32 v14, v43, 16, 8
	v_lshrrev_b32_e32 v41, 4, v41
	v_lshrrev_b16_e32 v15, 8, v43
	v_mul_lo_u32 v14, v16, v14
	v_lshrrev_b32_e32 v16, 24, v43
	v_and_b32_e32 v17, 0xff, v43
	v_and_b32_e32 v41, 0xf0f0f0f, v41
	v_lshrrev_b32_e32 v40, 4, v40
	v_mov_b32_e32 v43, v3
	v_mul_lo_u32 v17, v39, v17
	v_and_b32_e32 v40, 0xf0f0f0f, v40
	v_dot4c_i32_i8_e32 v43, v41, v31
	v_cvt_f32_i32_e32 v17, v17
	v_dot4c_i32_i8_e32 v43, v40, v30
	v_mul_lo_u32 v15, v13, v15
	v_cvt_f32_i32_e32 v14, v14
	v_cvt_f32_i32_e32 v15, v15
	v_mul_lo_u32 v16, v43, v16
	v_cvt_f32_i32_e32 v16, v16
	s_waitcnt vmcnt(0)
	v_cvt_f32_f16_sdwa v40, v42 dst_sel:DWORD dst_unused:UNUSED_PAD src0_sel:WORD_1
	v_fma_f32 v17, v12, v17, 0
	v_fma_f32 v14, v12, v14, 0
	v_fmac_f32_e32 v17, v10, v15
	v_fmac_f32_e32 v14, v10, v16
	v_mul_f32_e32 v15, v17, v40
	v_fma_mix_f32 v14, v14, v42, -v15 op_sel_hi:[0,1,0]
	v_and_b32_e32 v15, 0xf0f0f0f, v33
	v_mov_b32_e32 v17, v3
	v_and_b32_e32 v16, 0xf0f0f0f, v32
	v_dot4c_i32_i8_e32 v17, v15, v35
	v_dot4c_i32_i8_e32 v17, v16, v34
	v_bfe_u32 v15, v36, 16, 8
	v_lshrrev_b32_e32 v33, 4, v33
	v_and_b32_e32 v33, 0xf0f0f0f, v33
	v_mul_lo_u32 v15, v17, v15
	v_and_b32_e32 v17, 0xff, v36
	v_lshrrev_b32_e32 v32, 4, v32
	v_mov_b32_e32 v34, v3
	v_add_f32_e32 v27, v27, v14
	v_lshrrev_b16_e32 v14, 8, v36
	v_mul_lo_u32 v17, v39, v17
	v_and_b32_e32 v32, 0xf0f0f0f, v32
	v_dot4c_i32_i8_e32 v34, v33, v31
	v_cvt_f32_i32_e32 v15, v15
	v_lshrrev_b32_e32 v16, 24, v36
	v_cvt_f32_i32_e32 v17, v17
	v_dot4c_i32_i8_e32 v34, v32, v30
	v_mul_lo_u32 v13, v13, v14
	v_cvt_f32_i32_e32 v13, v13
	v_cvt_f32_f16_sdwa v14, v11 dst_sel:DWORD dst_unused:UNUSED_PAD src0_sel:WORD_1
	v_mul_lo_u32 v16, v34, v16
	v_cvt_f32_i32_e32 v16, v16
	v_fma_f32 v15, v12, v15, 0
	v_fma_f32 v12, v12, v17, 0
	v_fmac_f32_e32 v12, v10, v13
	v_fmac_f32_e32 v15, v10, v16
	v_mul_f32_e32 v10, v12, v14
	v_add_u32_e32 v25, 8, v25
	v_fma_mix_f32 v10, v15, v11, -v10 op_sel_hi:[0,1,0]
	v_cmp_le_u32_e32 vcc, s15, v25
	v_add_f32_e32 v28, v28, v10
	s_or_b64 s[18:19], vcc, s[18:19]
	v_lshl_add_u64 v[6:7], v[6:7], 0, s[24:25]
	s_andn2_b64 exec, exec, s[18:19]
	s_cbranch_execz .LBB121_38
.LBB121_19:                             ; =>This Inner Loop Header: Depth=1
	v_lshl_add_u64 v[10:11], v[6:7], 0, v[4:5]
	global_load_dword v15, v[6:7], off offset:-36
	global_load_dword v16, v[6:7], off
	global_load_dword v35, v[10:11], off offset:-32
	global_load_dword v34, v[10:11], off offset:-16
	global_load_dword v31, v[10:11], off offset:4
	global_load_dword v30, v[10:11], off offset:20
	v_add_u32_e32 v14, s21, v25
	v_mad_i64_i32 v[10:11], s[28:29], v14, s31, v[8:9]
	v_lshl_add_u64 v[12:13], v[10:11], 0, v[0:1]
	v_lshl_add_u64 v[12:13], v[12:13], 0, v[4:5]
	global_load_dword v33, v[12:13], off offset:16
	global_load_dword v32, v[12:13], off offset:32
	v_lshl_add_u64 v[12:13], v[10:11], 0, v[2:3]
                                        ; implicit-def: $vgpr36
	s_and_saveexec_b64 s[28:29], s[0:1]
	s_xor_b64 s[28:29], exec, s[28:29]
	s_cbranch_execz .LBB121_21
; %bb.20:                               ;   in Loop: Header=BB121_19 Depth=1
	global_load_ushort v17, v[12:13], off offset:8
	global_load_ushort v36, v[12:13], off offset:4
	global_load_ushort v39, v[12:13], off
	s_waitcnt vmcnt(1)
	v_lshrrev_b16_e32 v12, 2, v36
	s_waitcnt vmcnt(0)
	v_perm_b32 v13, v39, v17, s33
	v_perm_b32 v12, v17, v12, s33
	v_pk_lshrrev_b16 v13, s34, v13
	v_and_b32_e32 v12, 0xf0f3030, v12
	v_and_or_b32 v36, v13, s35, v12
                                        ; implicit-def: $vgpr12_vgpr13
.LBB121_21:                             ;   in Loop: Header=BB121_19 Depth=1
	s_andn2_saveexec_b64 s[28:29], s[28:29]
	s_cbranch_execz .LBB121_23
; %bb.22:                               ;   in Loop: Header=BB121_19 Depth=1
	global_load_ushort v17, v[12:13], off offset:4
	global_load_ushort v36, v[12:13], off offset:8
	s_waitcnt vmcnt(0)
	v_perm_b32 v12, v17, v36, s33
	v_and_b32_e32 v36, 0x3f3f3f3f, v12
.LBB121_23:                             ;   in Loop: Header=BB121_19 Depth=1
	s_or_b64 exec, exec, s[28:29]
	global_load_dword v11, v[10:11], off
	s_waitcnt vmcnt(8)
	v_cvt_f32_f16_e32 v12, v15
	s_waitcnt vmcnt(7)
	v_cvt_f32_f16_e32 v10, v16
	v_mov_b32_e32 v39, 0
	v_mov_b32_e32 v13, 0
	s_waitcnt vmcnt(6)
	v_dot4c_i32_i8_e32 v39, 0x1010101, v35
	s_waitcnt vmcnt(4)
	v_dot4c_i32_i8_e32 v13, 0x1010101, v31
	v_dot4c_i32_i8_e32 v39, 0x1010101, v34
	s_and_b64 vcc, exec, s[8:9]
	s_waitcnt vmcnt(3)
	v_dot4c_i32_i8_e32 v13, 0x1010101, v30
	s_cbranch_vccnz .LBB121_29
; %bb.24:                               ;   in Loop: Header=BB121_19 Depth=1
	v_mov_b64_e32 v[16:17], s[36:37]
	v_mad_i64_i32 v[14:15], s[28:29], v14, s31, v[16:17]
	v_lshl_add_u64 v[16:17], v[14:15], 0, v[0:1]
	v_lshl_add_u64 v[16:17], v[16:17], 0, v[4:5]
	global_load_dword v40, v[16:17], off offset:16
	global_load_dword v37, v[16:17], off offset:32
	v_lshl_add_u64 v[16:17], v[14:15], 0, v[2:3]
                                        ; implicit-def: $vgpr41
	s_and_saveexec_b64 s[28:29], s[0:1]
	s_xor_b64 s[28:29], exec, s[28:29]
	s_cbranch_execz .LBB121_26
; %bb.25:                               ;   in Loop: Header=BB121_19 Depth=1
	global_load_ushort v41, v[16:17], off
	global_load_ushort v42, v[16:17], off offset:8
	global_load_ushort v43, v[16:17], off offset:4
	s_waitcnt vmcnt(1)
	v_lshrrev_b16_e32 v16, 4, v42
	s_waitcnt vmcnt(0)
	v_perm_b32 v17, v43, v41, s33
	v_perm_b32 v16, v16, v42, s33
	v_and_b32_e32 v16, 0xf0f0f0f, v16
	v_pk_lshrrev_b16 v17, 2, v17 op_sel_hi:[0,1]
	v_and_or_b32 v41, v17, s38, v16
                                        ; implicit-def: $vgpr16_vgpr17
.LBB121_26:                             ;   in Loop: Header=BB121_19 Depth=1
	s_andn2_saveexec_b64 s[28:29], s[28:29]
	s_cbranch_execz .LBB121_28
; %bb.27:                               ;   in Loop: Header=BB121_19 Depth=1
	global_load_ushort v41, v[16:17], off offset:4
	global_load_ushort v42, v[16:17], off offset:8
	s_waitcnt vmcnt(0)
	v_perm_b32 v16, v42, v41, s33
	v_and_b32_e32 v41, 0x3f3f3f3f, v16
.LBB121_28:                             ;   in Loop: Header=BB121_19 Depth=1
	s_or_b64 exec, exec, s[28:29]
	global_load_dword v42, v[14:15], off
	s_waitcnt vmcnt(2)
	v_and_b32_e32 v15, 0xf0f0f0f, v40
	v_mov_b32_e32 v17, v3
	v_lshrrev_b32_e32 v40, 4, v40
	v_pk_lshrrev_b16 v14, 8, v41 op_sel_hi:[0,1]
	s_waitcnt vmcnt(1)
	v_and_b32_e32 v16, 0xf0f0f0f, v37
	v_and_b32_e32 v41, 0xff00ff, v41
	v_lshrrev_b32_e32 v37, 4, v37
	v_mov_b32_e32 v43, v3
	v_dot4c_i32_i8_e32 v17, v15, v35
	v_and_b32_e32 v15, 0xf0f0f0f, v40
	v_and_b32_e32 v37, 0xf0f0f0f, v37
	v_lshrrev_b32_e32 v40, 16, v14
	v_and_b32_e32 v44, 0xff, v14
	v_lshrrev_b32_e32 v14, 16, v41
	v_and_b32_e32 v41, 0xff, v41
	v_dot4c_i32_i8_e32 v17, v16, v34
	v_dot4c_i32_i8_e32 v43, v15, v31
	v_mul_lo_u32 v14, v39, v14
	v_mul_lo_u32 v16, v13, v40
	v_dot4c_i32_i8_e32 v43, v37, v30
	v_mul_lo_u32 v37, v17, v41
	v_cvt_f32_i32_e32 v15, v14
	v_cvt_f32_i32_e32 v17, v16
	;; [unrolled: 1-line block ×3, first 2 shown]
	v_mul_lo_u32 v16, v43, v44
	v_cvt_f32_i32_e32 v16, v16
	v_pk_fma_f32 v[14:15], v[12:13], v[14:15], 0 op_sel_hi:[0,1,0]
	v_pk_fma_f32 v[14:15], v[10:11], v[16:17], v[14:15] op_sel_hi:[0,1,1]
	s_waitcnt vmcnt(0)
	v_cvt_f32_f16_sdwa v41, v42 dst_sel:DWORD dst_unused:UNUSED_PAD src0_sel:WORD_1
	v_cvt_f32_f16_e32 v40, v42
	v_pk_mul_f32 v[14:15], v[14:15], v[40:41]
	s_nop 0
	v_sub_f32_e32 v14, v14, v15
	v_add_f32_e32 v29, v29, v14
	v_mov_b32_e32 v37, v29
.LBB121_29:                             ;   in Loop: Header=BB121_19 Depth=1
	v_add_u32_e32 v44, s27, v25
	v_mov_b64_e32 v[14:15], s[16:17]
	v_mad_i64_i32 v[14:15], s[28:29], v44, s31, v[14:15]
	v_lshl_add_u64 v[16:17], v[14:15], 0, v[0:1]
	v_lshl_add_u64 v[16:17], v[16:17], 0, v[4:5]
	global_load_dword v41, v[16:17], off offset:16
	global_load_dword v40, v[16:17], off offset:32
	v_lshl_add_u64 v[16:17], v[14:15], 0, v[2:3]
                                        ; implicit-def: $vgpr43
	s_and_saveexec_b64 s[28:29], s[0:1]
	s_xor_b64 s[28:29], exec, s[28:29]
	s_cbranch_execnz .LBB121_32
; %bb.30:                               ;   in Loop: Header=BB121_19 Depth=1
	s_andn2_saveexec_b64 s[28:29], s[28:29]
	s_cbranch_execnz .LBB121_33
.LBB121_31:                             ;   in Loop: Header=BB121_19 Depth=1
	s_or_b64 exec, exec, s[28:29]
	global_load_dword v42, v[14:15], off
	s_and_b64 vcc, exec, s[8:9]
	s_cbranch_vccz .LBB121_34
	s_branch .LBB121_18
.LBB121_32:                             ;   in Loop: Header=BB121_19 Depth=1
	global_load_ushort v42, v[16:17], off offset:8
	global_load_ushort v43, v[16:17], off offset:4
	global_load_ushort v45, v[16:17], off
	s_waitcnt vmcnt(1)
	v_lshrrev_b16_e32 v16, 2, v43
	s_waitcnt vmcnt(0)
	v_perm_b32 v17, v45, v42, s33
	v_perm_b32 v16, v42, v16, s33
	v_pk_lshrrev_b16 v17, s34, v17
	v_and_b32_e32 v16, 0xf0f3030, v16
	v_and_or_b32 v43, v17, s35, v16
                                        ; implicit-def: $vgpr16_vgpr17
	s_andn2_saveexec_b64 s[28:29], s[28:29]
	s_cbranch_execz .LBB121_31
.LBB121_33:                             ;   in Loop: Header=BB121_19 Depth=1
	global_load_ushort v42, v[16:17], off offset:4
	global_load_ushort v43, v[16:17], off offset:8
	s_waitcnt vmcnt(0)
	v_perm_b32 v16, v42, v43, s33
	v_and_b32_e32 v43, 0x3f3f3f3f, v16
	s_or_b64 exec, exec, s[28:29]
	global_load_dword v42, v[14:15], off
	s_and_b64 vcc, exec, s[8:9]
	s_cbranch_vccnz .LBB121_18
.LBB121_34:                             ;   in Loop: Header=BB121_19 Depth=1
	v_mov_b64_e32 v[14:15], s[36:37]
	v_mad_i64_i32 v[14:15], s[28:29], v44, s31, v[14:15]
	v_lshl_add_u64 v[16:17], v[14:15], 0, v[0:1]
	v_lshl_add_u64 v[16:17], v[16:17], 0, v[4:5]
	global_load_dword v44, v[16:17], off offset:16
	global_load_dword v38, v[16:17], off offset:32
	v_lshl_add_u64 v[16:17], v[14:15], 0, v[2:3]
                                        ; implicit-def: $vgpr45
	s_and_saveexec_b64 s[28:29], s[0:1]
	s_xor_b64 s[28:29], exec, s[28:29]
	s_cbranch_execz .LBB121_36
; %bb.35:                               ;   in Loop: Header=BB121_19 Depth=1
	global_load_ushort v45, v[16:17], off
	global_load_ushort v46, v[16:17], off offset:8
	global_load_ushort v47, v[16:17], off offset:4
	s_waitcnt vmcnt(1)
	v_lshrrev_b16_e32 v16, 4, v46
	s_waitcnt vmcnt(0)
	v_perm_b32 v17, v47, v45, s33
	v_perm_b32 v16, v16, v46, s33
	v_and_b32_e32 v16, 0xf0f0f0f, v16
	v_pk_lshrrev_b16 v17, 2, v17 op_sel_hi:[0,1]
	v_and_or_b32 v45, v17, s38, v16
                                        ; implicit-def: $vgpr16_vgpr17
.LBB121_36:                             ;   in Loop: Header=BB121_19 Depth=1
	s_andn2_saveexec_b64 s[28:29], s[28:29]
	s_cbranch_execz .LBB121_17
; %bb.37:                               ;   in Loop: Header=BB121_19 Depth=1
	global_load_ushort v45, v[16:17], off offset:4
	global_load_ushort v46, v[16:17], off offset:8
	s_waitcnt vmcnt(0)
	v_perm_b32 v16, v46, v45, s33
	v_and_b32_e32 v45, 0x3f3f3f3f, v16
	s_branch .LBB121_17
.LBB121_38:
	s_or_b64 exec, exec, s[18:19]
	ds_write2_b32 v22, v28, v27 offset1:1
	ds_write2_b32 v21, v37, v38 offset1:1
.LBB121_39:
	s_or_b64 exec, exec, s[12:13]
	s_load_dword s12, s[2:3], 0x30
	s_mov_b32 s13, 0
	v_cmp_eq_u32_e64 s[0:1], 0, v23
	v_cmp_ne_u32_e32 vcc, 0, v23
	v_lshlrev_b32_e32 v0, 2, v18
	s_and_saveexec_b64 s[8:9], vcc
	s_cbranch_execz .LBB121_44
; %bb.40:
	v_add_u32_e32 v1, -1, v23
	v_lshl_or_b32 v2, v1, 9, v0
	s_and_b64 vcc, exec, s[22:23]
	ds_write_b32 v2, v28
	s_cbranch_vccz .LBB121_42
; %bb.41:
	s_movk_i32 s13, 0x200
	ds_write2st64_b32 v2, v27, v29 offset0:1 offset1:2
	s_branch .LBB121_43
.LBB121_42:
	v_mov_b32_e32 v26, v27
.LBB121_43:
	v_lshlrev_b32_e32 v1, 9, v1
	v_add3_u32 v1, s13, v1, v0
	ds_write_b32 v1, v26 offset:256
.LBB121_44:
	s_or_b64 exec, exec, s[8:9]
	s_waitcnt lgkmcnt(0)
	s_barrier
	s_and_saveexec_b64 s[8:9], s[0:1]
	s_cbranch_execz .LBB121_77
; %bb.45:
	ds_read_b32 v2, v0
	ds_read_b32 v3, v22
	v_cmp_ne_u32_e64 s[0:1], 1, v24
	s_and_b64 vcc, exec, s[0:1]
	s_cbranch_vccnz .LBB121_47
; %bb.46:
	ds_read_b32 v1, v0 offset:512
	ds_read_b32 v4, v21
	s_waitcnt lgkmcnt(0)
	v_add_f32_e32 v1, v1, v4
	ds_write_b32 v21, v1
.LBB121_47:
	v_mbcnt_lo_u32_b32 v1, -1, 0
	v_mbcnt_hi_u32_b32 v6, -1, v1
	v_and_b32_e32 v1, 64, v6
	v_add_u32_e32 v7, 64, v1
	v_xor_b32_e32 v1, 32, v6
	v_cmp_lt_i32_e32 vcc, v1, v7
	s_waitcnt lgkmcnt(0)
	v_add_f32_e32 v3, v2, v3
	v_xor_b32_e32 v2, 16, v6
	v_cndmask_b32_e32 v1, v6, v1, vcc
	v_lshlrev_b32_e32 v1, 2, v1
	ds_bpermute_b32 v4, v1, v3
	v_cmp_lt_i32_e32 vcc, v2, v7
	v_xor_b32_e32 v10, 1, v6
	s_waitcnt lgkmcnt(0)
	v_add_f32_e32 v4, v3, v4
	v_cndmask_b32_e32 v2, v6, v2, vcc
	v_lshlrev_b32_e32 v2, 2, v2
	ds_bpermute_b32 v5, v2, v4
	v_xor_b32_e32 v3, 8, v6
	v_cmp_lt_i32_e32 vcc, v3, v7
	s_waitcnt lgkmcnt(0)
	v_add_f32_e32 v5, v4, v5
	v_cndmask_b32_e32 v3, v6, v3, vcc
	v_lshlrev_b32_e32 v3, 2, v3
	ds_bpermute_b32 v8, v3, v5
	v_xor_b32_e32 v4, 4, v6
	v_cmp_lt_i32_e32 vcc, v4, v7
	;; [unrolled: 7-line block ×3, first 2 shown]
	s_waitcnt lgkmcnt(0)
	v_add_f32_e32 v8, v8, v9
	v_cndmask_b32_e32 v5, v6, v5, vcc
	v_lshlrev_b32_e32 v5, 2, v5
	ds_bpermute_b32 v9, v5, v8
	v_cmp_lt_i32_e32 vcc, v10, v7
	s_waitcnt lgkmcnt(0)
	v_add_f32_e32 v7, v8, v9
	v_cndmask_b32_e32 v6, v6, v10, vcc
	v_lshlrev_b32_e32 v6, 2, v6
	ds_bpermute_b32 v8, v6, v7
	s_and_b64 vcc, exec, s[0:1]
	s_waitcnt lgkmcnt(0)
	v_add_f32_e32 v7, v7, v8
	ds_write_b32 v22, v7
	s_cbranch_vccnz .LBB121_49
; %bb.48:
	ds_read_b32 v7, v21
	s_waitcnt lgkmcnt(0)
	ds_bpermute_b32 v8, v1, v7
	s_waitcnt lgkmcnt(0)
	v_add_f32_e32 v7, v7, v8
	ds_bpermute_b32 v8, v2, v7
	s_waitcnt lgkmcnt(0)
	v_add_f32_e32 v7, v7, v8
	;; [unrolled: 3-line block ×6, first 2 shown]
	ds_write_b32 v21, v7
.LBB121_49:
	ds_read_b32 v7, v0 offset:256
	ds_read_b32 v8, v22 offset:4
	s_and_b64 vcc, exec, s[0:1]
	s_cbranch_vccnz .LBB121_51
; %bb.50:
	ds_read_b32 v9, v0 offset:768
	ds_read_b32 v10, v21 offset:4
	s_waitcnt lgkmcnt(0)
	v_add_f32_e32 v9, v9, v10
	ds_write_b32 v21, v9 offset:4
.LBB121_51:
	s_waitcnt lgkmcnt(0)
	v_add_f32_e32 v7, v7, v8
	ds_bpermute_b32 v8, v1, v7
	s_and_b64 vcc, exec, s[0:1]
	s_waitcnt lgkmcnt(0)
	v_add_f32_e32 v7, v7, v8
	ds_bpermute_b32 v8, v2, v7
	s_waitcnt lgkmcnt(0)
	v_add_f32_e32 v7, v7, v8
	ds_bpermute_b32 v8, v3, v7
	;; [unrolled: 3-line block ×5, first 2 shown]
	s_waitcnt lgkmcnt(0)
	v_add_f32_e32 v7, v7, v8
	ds_write_b32 v22, v7 offset:4
	s_cbranch_vccnz .LBB121_53
; %bb.52:
	ds_read_b32 v7, v21 offset:4
	s_waitcnt lgkmcnt(0)
	ds_bpermute_b32 v1, v1, v7
	s_waitcnt lgkmcnt(0)
	v_add_f32_e32 v1, v7, v1
	ds_bpermute_b32 v2, v2, v1
	s_waitcnt lgkmcnt(0)
	v_add_f32_e32 v1, v1, v2
	;; [unrolled: 3-line block ×6, first 2 shown]
	ds_write_b32 v21, v1 offset:4
.LBB121_53:
	v_add_u32_e32 v1, s20, v18
	v_cmp_gt_u32_e32 vcc, 2, v18
	v_cmp_gt_u32_e64 s[8:9], s7, v1
	s_and_b64 s[8:9], vcc, s[8:9]
	s_and_b64 exec, exec, s[8:9]
	s_cbranch_execz .LBB121_77
; %bb.54:
	v_lshl_add_u32 v1, v18, 2, v22
	ds_read_b32 v1, v1
	s_and_b64 vcc, exec, s[0:1]
	s_waitcnt vmcnt(0) lgkmcnt(0)
	v_add_f32_e32 v2, v20, v1
	v_cndmask_b32_e64 v1, v2, v1, s[10:11]
	s_cbranch_vccnz .LBB121_76
; %bb.55:
	v_lshl_add_u32 v2, v18, 2, v21
	ds_read_b32 v2, v2
	s_cmp_lt_i32 s12, 2
	s_mov_b64 s[0:1], 0
	s_waitcnt lgkmcnt(0)
	v_add_f32_e32 v3, v19, v2
	v_cndmask_b32_e64 v2, v2, v3, s[4:5]
	s_cbranch_scc1 .LBB121_59
; %bb.56:
	s_cmp_gt_i32 s12, 2
	s_cbranch_scc0 .LBB121_60
; %bb.57:
	s_cmp_eq_u32 s12, 3
	s_cbranch_scc0 .LBB121_61
; %bb.58:
	v_max_f32_e32 v3, v2, v2
	v_min_f32_e32 v3, 0x40e00000, v3
	v_mul_f32_e32 v5, 0xbfd9db23, v3
	s_mov_b32 s4, 0x3fb8aa3b
	v_mul_f32_e32 v4, 0x3fb8aa3b, v5
	v_fma_f32 v6, v5, s4, -v4
	v_rndne_f32_e32 v7, v4
	v_fmamk_f32 v6, v5, 0x32a5705f, v6
	v_sub_f32_e32 v4, v4, v7
	v_add_f32_e32 v4, v4, v6
	v_exp_f32_e32 v6, v4
	v_cvt_i32_f32_e32 v7, v7
	s_mov_b32 s4, 0xc2ce8ed0
	v_max_f32_e32 v4, v1, v1
	v_cmp_ngt_f32_e32 vcc, s4, v5
	v_ldexp_f32 v6, v6, v7
	s_mov_b32 s4, 0x42b17218
	v_min_f32_e32 v4, 0x40e00000, v4
	v_cndmask_b32_e32 v6, 0, v6, vcc
	v_mov_b32_e32 v7, 0x7f800000
	v_cmp_nlt_f32_e32 vcc, s4, v5
	v_max_f32_e32 v4, 0xc0e00000, v4
	s_nop 0
	v_cndmask_b32_e32 v5, v7, v6, vcc
	v_pk_add_f32 v[4:5], v[4:5], 1.0 op_sel_hi:[1,0]
	s_nop 0
	v_div_scale_f32 v6, s[4:5], v5, v5, v3
	v_rcp_f32_e32 v7, v6
	s_mov_b64 s[4:5], 0
	v_fma_f32 v8, -v6, v7, 1.0
	v_fmac_f32_e32 v7, v8, v7
	v_div_scale_f32 v8, vcc, v3, v5, v3
	v_mul_f32_e32 v9, v8, v7
	v_fma_f32 v10, -v6, v9, v8
	v_fmac_f32_e32 v9, v10, v7
	v_fma_f32 v6, -v6, v9, v8
	v_div_fmas_f32 v6, v6, v7, v9
	v_div_fixup_f32 v3, v6, v5, v3
	v_mul_f32_e32 v3, v4, v3
	s_branch .LBB121_62
.LBB121_59:
                                        ; implicit-def: $vgpr3
	s_mov_b64 s[4:5], 0
	s_cbranch_execnz .LBB121_66
	s_branch .LBB121_67
.LBB121_60:
	s_mov_b64 s[8:9], -1
	s_mov_b64 s[4:5], 0
                                        ; implicit-def: $vgpr3
	s_branch .LBB121_63
.LBB121_61:
	s_mov_b64 s[4:5], -1
                                        ; implicit-def: $vgpr3
.LBB121_62:
	s_mov_b64 s[8:9], 0
.LBB121_63:
	s_and_b64 vcc, exec, s[8:9]
	s_cbranch_vccz .LBB121_65
; %bb.64:
	v_mul_f32_e32 v3, 0xbfb8aa3b, v2
	s_mov_b32 s7, 0xbfb8aa3b
	v_rndne_f32_e32 v4, v3
	v_sub_f32_e32 v5, v3, v4
	v_fma_f32 v3, v2, s7, -v3
	v_fmamk_f32 v3, v2, 0xb2a5705f, v3
	v_add_f32_e32 v3, v5, v3
	v_exp_f32_e32 v3, v3
	v_cvt_i32_f32_e32 v4, v4
	s_mov_b32 s7, 0x42ce8ed0
	v_cmp_nlt_f32_e32 vcc, s7, v2
	s_mov_b32 s7, 0xc2b17218
	v_ldexp_f32 v3, v3, v4
	v_cndmask_b32_e32 v3, 0, v3, vcc
	v_mov_b32_e32 v4, 0x7f800000
	v_cmp_ngt_f32_e32 vcc, s7, v2
	s_nop 1
	v_cndmask_b32_e32 v3, v4, v3, vcc
	v_add_f32_e32 v3, 1.0, v3
	v_div_scale_f32 v4, s[8:9], v3, v3, v2
	v_rcp_f32_e32 v5, v4
	s_nop 0
	v_fma_f32 v6, -v4, v5, 1.0
	v_fmac_f32_e32 v5, v6, v5
	v_div_scale_f32 v6, vcc, v2, v3, v2
	v_mul_f32_e32 v7, v6, v5
	v_fma_f32 v8, -v4, v7, v6
	v_fmac_f32_e32 v7, v8, v5
	v_fma_f32 v4, -v4, v7, v6
	v_div_fmas_f32 v4, v4, v5, v7
	v_div_fixup_f32 v3, v4, v3, v2
	v_mul_f32_e32 v3, v1, v3
.LBB121_65:
	s_branch .LBB121_67
.LBB121_66:
	s_cmp_lg_u32 s12, 1
	s_mov_b64 s[0:1], -1
	s_cselect_b64 s[4:5], -1, 0
                                        ; implicit-def: $vgpr3
.LBB121_67:
	s_andn2_b64 vcc, exec, s[4:5]
	s_cbranch_vccz .LBB121_69
; %bb.68:
	s_andn2_b64 vcc, exec, s[0:1]
	s_cbranch_vccz .LBB121_70
	s_branch .LBB121_75
.LBB121_69:
	v_mul_f32_e32 v3, v1, v2
	s_cbranch_execnz .LBB121_75
.LBB121_70:
	v_mul_f32_e32 v4, 0x3d372713, v2
	v_mul_f32_e32 v3, 0x3f4c422a, v2
	v_fma_f32 v4, v2, v4, 1.0
	v_mul_f32_e32 v3, v3, v4
	s_mov_b32 s0, 0x3f200000
	v_cmp_nlt_f32_e64 s[0:1], |v3|, s0
                                        ; implicit-def: $vgpr4
	s_and_saveexec_b64 s[4:5], s[0:1]
	s_xor_b64 s[0:1], exec, s[4:5]
	s_cbranch_execz .LBB121_72
; %bb.71:
	v_add_f32_e64 v4, |v3|, |v3|
	v_mul_f32_e32 v5, 0x3fb8aa3b, v4
	s_mov_b32 s4, 0x3fb8aa3b
	v_rndne_f32_e32 v6, v5
	v_sub_f32_e32 v7, v5, v6
	v_fma_f32 v5, v4, s4, -v5
	v_fmamk_f32 v5, v4, 0x32a5705f, v5
	v_add_f32_e32 v5, v7, v5
	v_exp_f32_e32 v5, v5
	v_cvt_i32_f32_e32 v6, v6
	s_mov_b32 s4, 0xc2ce8ed0
	v_cmp_ngt_f32_e32 vcc, s4, v4
	s_mov_b32 s4, 0x42b17218
	v_ldexp_f32 v5, v5, v6
	v_cndmask_b32_e32 v5, 0, v5, vcc
	v_mov_b32_e32 v6, 0x7f800000
	v_cmp_nlt_f32_e32 vcc, s4, v4
	s_nop 1
	v_cndmask_b32_e32 v4, v6, v5, vcc
	v_add_f32_e32 v4, 1.0, v4
	v_rcp_f32_e32 v4, v4
	s_nop 0
	v_fma_f32 v4, v4, -2.0, 1.0
.LBB121_72:
	s_andn2_saveexec_b64 s[0:1], s[0:1]
; %bb.73:
	v_mul_f32_e32 v4, v3, v3
	v_mov_b32_e32 v5, 0x3ca908c9
	v_fmac_f32_e32 v5, 0xbbbac73d, v4
	v_fmaak_f32 v5, v4, v5, 0xbd5c1c4e
	v_fmaak_f32 v5, v4, v5, 0x3e088382
	;; [unrolled: 1-line block ×3, first 2 shown]
	v_mul_f32_e64 v5, |v3|, v5
	v_fma_f32 v4, v4, v5, |v3|
; %bb.74:
	s_or_b64 exec, exec, s[0:1]
	s_brev_b32 s0, -2
	v_bfi_b32 v3, s0, v4, v3
	v_mul_f32_e32 v2, 0.5, v2
	v_add_f32_e32 v3, 1.0, v3
	v_mul_f32_e32 v2, v2, v3
	v_mul_f32_e32 v3, v1, v2
.LBB121_75:
	v_mov_b32_e32 v1, v3
.LBB121_76:
	s_load_dwordx2 s[0:1], s[2:3], 0x38
	s_mul_i32 s4, s14, s26
	s_mul_i32 s6, s6, s30
	s_add_i32 s2, s4, s20
	s_add_i32 s2, s2, s6
	s_mov_b32 s3, 0
	s_lshl_b64 s[2:3], s[2:3], 2
	s_waitcnt lgkmcnt(0)
	s_add_u32 s0, s0, s2
	s_addc_u32 s1, s1, s3
	global_store_dword v0, v1, s[0:1]
.LBB121_77:
	s_endpgm
	.section	.rodata,"a",@progbits
	.p2align	6, 0x0
	.amdhsa_kernel _ZL13mul_mat_vec_qIL9ggml_type12ELi1ELb1ELb1EEvPKvS2_PKi31ggml_cuda_mm_fusion_args_devicePfj15HIP_vector_typeIjLj3EEjjjS8_jjjS8_jjjj
		.amdhsa_group_segment_fixed_size 3072
		.amdhsa_private_segment_fixed_size 0
		.amdhsa_kernarg_size 144
		.amdhsa_user_sgpr_count 4
		.amdhsa_user_sgpr_dispatch_ptr 1
		.amdhsa_user_sgpr_queue_ptr 0
		.amdhsa_user_sgpr_kernarg_segment_ptr 1
		.amdhsa_user_sgpr_dispatch_id 0
		.amdhsa_user_sgpr_kernarg_preload_length 0
		.amdhsa_user_sgpr_kernarg_preload_offset 0
		.amdhsa_user_sgpr_private_segment_size 0
		.amdhsa_uses_dynamic_stack 0
		.amdhsa_enable_private_segment 0
		.amdhsa_system_sgpr_workgroup_id_x 1
		.amdhsa_system_sgpr_workgroup_id_y 1
		.amdhsa_system_sgpr_workgroup_id_z 1
		.amdhsa_system_sgpr_workgroup_info 0
		.amdhsa_system_vgpr_workitem_id 2
		.amdhsa_next_free_vgpr 49
		.amdhsa_next_free_sgpr 46
		.amdhsa_accum_offset 52
		.amdhsa_reserve_vcc 1
		.amdhsa_float_round_mode_32 0
		.amdhsa_float_round_mode_16_64 0
		.amdhsa_float_denorm_mode_32 3
		.amdhsa_float_denorm_mode_16_64 3
		.amdhsa_dx10_clamp 1
		.amdhsa_ieee_mode 1
		.amdhsa_fp16_overflow 0
		.amdhsa_tg_split 0
		.amdhsa_exception_fp_ieee_invalid_op 0
		.amdhsa_exception_fp_denorm_src 0
		.amdhsa_exception_fp_ieee_div_zero 0
		.amdhsa_exception_fp_ieee_overflow 0
		.amdhsa_exception_fp_ieee_underflow 0
		.amdhsa_exception_fp_ieee_inexact 0
		.amdhsa_exception_int_div_zero 0
	.end_amdhsa_kernel
	.section	.text._ZL13mul_mat_vec_qIL9ggml_type12ELi1ELb1ELb1EEvPKvS2_PKi31ggml_cuda_mm_fusion_args_devicePfj15HIP_vector_typeIjLj3EEjjjS8_jjjS8_jjjj,"axG",@progbits,_ZL13mul_mat_vec_qIL9ggml_type12ELi1ELb1ELb1EEvPKvS2_PKi31ggml_cuda_mm_fusion_args_devicePfj15HIP_vector_typeIjLj3EEjjjS8_jjjS8_jjjj,comdat
.Lfunc_end121:
	.size	_ZL13mul_mat_vec_qIL9ggml_type12ELi1ELb1ELb1EEvPKvS2_PKi31ggml_cuda_mm_fusion_args_devicePfj15HIP_vector_typeIjLj3EEjjjS8_jjjS8_jjjj, .Lfunc_end121-_ZL13mul_mat_vec_qIL9ggml_type12ELi1ELb1ELb1EEvPKvS2_PKi31ggml_cuda_mm_fusion_args_devicePfj15HIP_vector_typeIjLj3EEjjjS8_jjjS8_jjjj
                                        ; -- End function
	.section	.AMDGPU.csdata,"",@progbits
; Kernel info:
; codeLenInByte = 4576
; NumSgprs: 52
; NumVgprs: 49
; NumAgprs: 0
; TotalNumVgprs: 49
; ScratchSize: 0
; MemoryBound: 0
; FloatMode: 240
; IeeeMode: 1
; LDSByteSize: 3072 bytes/workgroup (compile time only)
; SGPRBlocks: 6
; VGPRBlocks: 6
; NumSGPRsForWavesPerEU: 52
; NumVGPRsForWavesPerEU: 49
; AccumOffset: 52
; Occupancy: 8
; WaveLimiterHint : 0
; COMPUTE_PGM_RSRC2:SCRATCH_EN: 0
; COMPUTE_PGM_RSRC2:USER_SGPR: 4
; COMPUTE_PGM_RSRC2:TRAP_HANDLER: 0
; COMPUTE_PGM_RSRC2:TGID_X_EN: 1
; COMPUTE_PGM_RSRC2:TGID_Y_EN: 1
; COMPUTE_PGM_RSRC2:TGID_Z_EN: 1
; COMPUTE_PGM_RSRC2:TIDIG_COMP_CNT: 2
; COMPUTE_PGM_RSRC3_GFX90A:ACCUM_OFFSET: 12
; COMPUTE_PGM_RSRC3_GFX90A:TG_SPLIT: 0
	.section	.text._ZL13mul_mat_vec_qIL9ggml_type12ELi1ELb0ELb1EEvPKvS2_PKi31ggml_cuda_mm_fusion_args_devicePfj15HIP_vector_typeIjLj3EEjjjS8_jjjS8_jjjj,"axG",@progbits,_ZL13mul_mat_vec_qIL9ggml_type12ELi1ELb0ELb1EEvPKvS2_PKi31ggml_cuda_mm_fusion_args_devicePfj15HIP_vector_typeIjLj3EEjjjS8_jjjS8_jjjj,comdat
	.globl	_ZL13mul_mat_vec_qIL9ggml_type12ELi1ELb0ELb1EEvPKvS2_PKi31ggml_cuda_mm_fusion_args_devicePfj15HIP_vector_typeIjLj3EEjjjS8_jjjS8_jjjj ; -- Begin function _ZL13mul_mat_vec_qIL9ggml_type12ELi1ELb0ELb1EEvPKvS2_PKi31ggml_cuda_mm_fusion_args_devicePfj15HIP_vector_typeIjLj3EEjjjS8_jjjS8_jjjj
	.p2align	8
	.type	_ZL13mul_mat_vec_qIL9ggml_type12ELi1ELb0ELb1EEvPKvS2_PKi31ggml_cuda_mm_fusion_args_devicePfj15HIP_vector_typeIjLj3EEjjjS8_jjjS8_jjjj,@function
_ZL13mul_mat_vec_qIL9ggml_type12ELi1ELb0ELb1EEvPKvS2_PKi31ggml_cuda_mm_fusion_args_devicePfj15HIP_vector_typeIjLj3EEjjjS8_jjjS8_jjjj: ; @_ZL13mul_mat_vec_qIL9ggml_type12ELi1ELb0ELb1EEvPKvS2_PKi31ggml_cuda_mm_fusion_args_devicePfj15HIP_vector_typeIjLj3EEjjjS8_jjjS8_jjjj
; %bb.0:
	s_load_dwordx2 s[8:9], s[2:3], 0x10
	s_load_dwordx4 s[16:19], s[2:3], 0x40
	s_mov_b32 s20, s5
	s_mov_b64 s[14:15], 0
	s_waitcnt lgkmcnt(0)
	s_cmp_lg_u64 s[8:9], 0
	s_cselect_b64 s[12:13], -1, 0
	s_cmp_eq_u64 s[8:9], 0
	s_cbranch_scc1 .LBB122_5
; %bb.1:
	s_mov_b32 s21, 0
	s_lshl_b64 s[10:11], s[20:21], 2
	s_add_u32 s8, s8, s10
	s_addc_u32 s9, s9, s11
	s_load_dword s22, s[8:9], 0x0
	s_nop 0
	s_load_dwordx4 s[8:11], s[2:3], 0x68
	s_load_dword s21, s[2:3], 0x50
	s_andn2_b64 vcc, exec, s[14:15]
	s_cbranch_vccnz .LBB122_3
.LBB122_2:
	s_load_dwordx2 s[14:15], s[2:3], 0x5c
	s_waitcnt lgkmcnt(0)
	s_mul_hi_u32 s5, s14, s20
	s_add_i32 s5, s20, s5
	s_lshr_b32 s22, s5, s15
.LBB122_3:
	s_load_dword s23, s[2:3], 0x78
	s_andn2_b64 vcc, exec, s[12:13]
	s_cbranch_vccnz .LBB122_6
; %bb.4:
	s_mul_hi_u32 s5, s17, s20
	s_add_i32 s5, s20, s5
	s_lshr_b32 s5, s5, s18
	s_mul_i32 s5, s5, s19
	s_sub_i32 s24, s20, s5
	s_branch .LBB122_7
.LBB122_5:
                                        ; implicit-def: $sgpr22
	s_load_dwordx4 s[8:11], s[2:3], 0x68
	s_load_dword s21, s[2:3], 0x50
	s_branch .LBB122_2
.LBB122_6:
	s_mov_b32 s24, s20
.LBB122_7:
	s_load_dwordx2 s[18:19], s[0:1], 0x4
	s_load_dwordx4 s[12:15], s[2:3], 0x80
	v_bfe_u32 v16, v0, 10, 10
	v_and_b32_e32 v15, 0x3ff, v0
	v_bfe_u32 v0, v0, 20, 10
	s_waitcnt lgkmcnt(0)
	s_lshr_b32 s0, s18, 16
	v_mul_u32_u24_e32 v1, s19, v16
	s_mul_i32 s0, s0, s19
	v_mad_u32_u24 v1, s0, v15, v1
	v_lshl_add_u32 v4, v16, 6, v15
	v_add_lshl_u32 v0, v1, v0, 3
	s_lshr_b32 s15, s16, 8
	v_lshrrev_b32_e32 v17, 4, v4
	v_add_u32_e32 v14, 0x200, v0
	s_lshl_b32 s7, s4, 1
	v_mov_b32_e32 v18, 0
	v_cmp_gt_u32_e32 vcc, s15, v17
	v_mov_b32_e32 v19, 0
	ds_write2_b32 v0, v18, v18 offset0:128 offset1:129
	s_and_saveexec_b64 s[4:5], vcc
	s_cbranch_execz .LBB122_19
; %bb.8:
	s_mul_hi_u32 s0, s11, s6
	s_load_dwordx4 s[16:19], s[2:3], 0x0
	s_add_i32 s0, s6, s0
	v_lshlrev_b32_e32 v0, 1, v15
	s_lshr_b32 s0, s0, s23
	v_and_b32_e32 v5, 30, v0
	v_lshrrev_b32_e32 v6, 4, v4
	v_bfe_u32 v4, v15, 2, 2
	s_mul_i32 s11, s0, s12
	v_cmp_lt_u32_e32 vcc, 15, v5
	v_mul_hi_u32_u24_e32 v5, 0x48, v4
	v_mul_u32_u24_e32 v4, 0x48, v4
	s_movk_i32 s0, 0x120
	s_mul_i32 s12, s6, s13
	v_mad_u64_u32 v[4:5], s[0:1], v6, s0, v[4:5]
	s_mul_hi_u32 s0, s12, 36
	s_mul_i32 s12, s12, 36
	s_mul_i32 s9, s24, s9
	s_waitcnt lgkmcnt(0)
	s_add_u32 s12, s18, s12
	s_mul_hi_u32 s1, s9, 36
	s_mul_i32 s9, s9, 36
	s_addc_u32 s18, s19, s0
	s_add_u32 s0, s12, s9
	s_addc_u32 s1, s18, s1
	s_mul_i32 s8, s22, s8
	v_lshl_add_u64 v[4:5], s[0:1], 0, v[4:5]
	s_add_i32 s0, s7, 1
	v_bfe_u32 v8, v0, 3, 2
	v_mov_b32_e32 v1, 0
	v_and_b32_e32 v2, 3, v15
	s_mul_i32 s13, s7, s21
	s_add_i32 s18, s11, s8
	s_mul_i32 s21, s21, s0
	v_lshlrev_b32_e32 v0, 5, v8
	v_lshlrev_b32_e32 v2, 2, v2
	v_mov_b32_e32 v3, v1
	v_lshl_add_u64 v[4:5], v[4:5], 0, 36
	s_add_i32 s11, s18, s13
	s_add_i32 s18, s18, s21
	s_mov_b64 s[8:9], 0
	s_movk_i32 s19, 0x90
	v_mov_b64_e32 v[6:7], s[16:17]
	v_lshlrev_b32_e32 v8, 1, v8
	v_mov_b32_e32 v9, v1
	s_mov_b32 s16, 0x5040100
	s_mov_b32 s17, 0x20004
	;; [unrolled: 1-line block ×3, first 2 shown]
	s_mov_b64 s[12:13], 0x900
	v_mov_b32_e32 v19, v1
	v_mov_b32_e32 v18, v1
	s_branch .LBB122_10
.LBB122_9:                              ;   in Loop: Header=BB122_10 Depth=1
	s_or_b64 exec, exec, s[0:1]
	global_load_dword v13, v[10:11], off
	v_mov_b32_e32 v11, 0
	s_waitcnt vmcnt(5)
	v_and_b32_e32 v36, 0xf0f0f0f, v27
	v_mov_b32_e32 v38, 0
	s_waitcnt vmcnt(2)
	v_and_b32_e32 v42, 0xf0f0f0f, v31
	v_mov_b32_e32 v44, 0
	v_lshrrev_b32_e32 v31, 4, v31
	v_mov_b32_e32 v33, 0
	v_and_b32_e32 v37, 0xf0f0f0f, v28
	v_lshrrev_b32_e32 v27, 4, v27
	s_waitcnt vmcnt(1)
	v_and_b32_e32 v43, 0xf0f0f0f, v30
	v_lshrrev_b32_e32 v30, 4, v30
	v_mov_b32_e32 v45, 0
	v_pk_lshrrev_b16 v46, 8, v32 op_sel_hi:[0,1]
	v_and_b32_e32 v32, 0xff00ff, v32
	v_dot4c_i32_i8_e32 v11, 0x1010101, v25
	v_dot4c_i32_i8_e32 v38, v36, v25
	v_dot4c_i32_i8_e32 v44, v42, v25
	v_and_b32_e32 v25, 0xf0f0f0f, v31
	v_lshrrev_b16_e32 v34, 8, v29
	v_lshrrev_b32_e32 v35, 24, v29
	v_bfe_u32 v39, v29, 16, 8
	v_and_b32_e32 v29, 0xff, v29
	v_lshrrev_b32_e32 v28, 4, v28
	v_mov_b32_e32 v40, 0
	v_dot4c_i32_i8_e32 v33, 0x1010101, v24
	v_and_b32_e32 v27, 0xf0f0f0f, v27
	v_and_b32_e32 v30, 0xf0f0f0f, v30
	;; [unrolled: 1-line block ×3, first 2 shown]
	v_lshrrev_b32_e32 v32, 16, v32
	v_dot4c_i32_i8_e32 v11, 0x1010101, v23
	v_dot4c_i32_i8_e32 v38, v37, v23
	;; [unrolled: 1-line block ×4, first 2 shown]
	v_and_b32_e32 v28, 0xf0f0f0f, v28
	v_and_b32_e32 v31, 0xff, v46
	v_lshrrev_b32_e32 v36, 16, v46
	v_dot4c_i32_i8_e32 v33, 0x1010101, v22
	v_dot4c_i32_i8_e32 v40, v27, v24
	v_mul_lo_u32 v23, v38, v39
	v_mul_lo_u32 v24, v11, v29
	v_dot4c_i32_i8_e32 v45, v30, v22
	v_mul_lo_u32 v27, v44, v32
	v_mul_lo_u32 v11, v11, v42
	v_cvt_f32_f16_e32 v10, v20
	v_dot4c_i32_i8_e32 v40, v28, v22
	v_mul_lo_u32 v25, v33, v34
	v_mul_lo_u32 v28, v33, v31
	v_cvt_f32_i32_e32 v29, v23
	v_cvt_f32_i32_e32 v22, v11
	;; [unrolled: 1-line block ×3, first 2 shown]
	v_mul_lo_u32 v11, v45, v36
	v_cvt_f32_f16_e32 v12, v21
	v_cvt_f32_i32_e32 v30, v24
	v_cvt_f32_i32_e32 v32, v25
	;; [unrolled: 1-line block ×4, first 2 shown]
	v_mul_lo_u32 v31, v40, v35
	v_pk_fma_f32 v[10:11], v[10:11], v[22:23], 0 op_sel_hi:[0,1,0]
	v_cvt_f32_f16_sdwa v41, v26 dst_sel:DWORD dst_unused:UNUSED_PAD src0_sel:WORD_1
	v_cvt_f32_i32_e32 v27, v31
	v_fma_mix_f32 v28, v20, v29, 0 op_sel_hi:[1,0,0]
	v_fma_mix_f32 v20, v20, v30, 0 op_sel_hi:[1,0,0]
	v_add_u32_e32 v17, 8, v17
	v_fma_mix_f32 v20, v21, v32, v20 op_sel_hi:[1,0,0]
	v_fma_mix_f32 v22, v21, v27, v28 op_sel_hi:[1,0,0]
	v_mul_f32_e32 v20, v20, v41
	v_cmp_le_u32_e64 s[0:1], s15, v17
	v_fma_mix_f32 v20, v22, v26, -v20 op_sel_hi:[0,1,0]
	s_or_b64 s[8:9], s[0:1], s[8:9]
	v_add_f32_e32 v18, v18, v20
	v_lshl_add_u64 v[4:5], v[4:5], 0, s[12:13]
	s_waitcnt vmcnt(0)
	v_pk_fma_f32 v[10:11], v[12:13], v[24:25], v[10:11] op_sel_hi:[0,1,1]
	v_cvt_f32_f16_sdwa v12, v13 dst_sel:DWORD dst_unused:UNUSED_PAD src0_sel:WORD_1
	v_cvt_f32_f16_e32 v13, v13
	v_pk_mul_f32 v[10:11], v[10:11], v[12:13]
	s_nop 0
	v_sub_f32_e32 v10, v11, v10
	v_add_f32_e32 v19, v19, v10
	s_andn2_b64 exec, exec, s[8:9]
	s_cbranch_execz .LBB122_18
.LBB122_10:                             ; =>This Inner Loop Header: Depth=1
	v_lshl_add_u64 v[10:11], v[4:5], 0, v[2:3]
	global_load_dword v20, v[4:5], off offset:-36
	global_load_dword v21, v[4:5], off
	global_load_dword v25, v[10:11], off offset:-32
	global_load_dword v23, v[10:11], off offset:-16
	global_load_dword v24, v[10:11], off offset:4
	global_load_dword v22, v[10:11], off offset:20
	v_add_u32_e32 v10, s11, v17
	v_mad_i64_i32 v[12:13], s[0:1], v10, s19, v[6:7]
	v_lshl_add_u64 v[10:11], v[12:13], 0, v[0:1]
	v_lshl_add_u64 v[10:11], v[10:11], 0, v[2:3]
	global_load_dword v27, v[10:11], off offset:16
	global_load_dword v28, v[10:11], off offset:32
	v_lshl_add_u64 v[10:11], v[12:13], 0, v[8:9]
                                        ; implicit-def: $vgpr29
	s_and_saveexec_b64 s[0:1], vcc
	s_xor_b64 s[0:1], exec, s[0:1]
	s_cbranch_execz .LBB122_12
; %bb.11:                               ;   in Loop: Header=BB122_10 Depth=1
	global_load_ushort v26, v[10:11], off offset:8
	global_load_ushort v29, v[10:11], off offset:4
	global_load_ushort v30, v[10:11], off
	s_waitcnt vmcnt(1)
	v_lshrrev_b16_e32 v10, 2, v29
	s_waitcnt vmcnt(0)
	v_perm_b32 v11, v30, v26, s16
	v_perm_b32 v10, v26, v10, s16
	v_pk_lshrrev_b16 v11, s17, v11
	v_and_b32_e32 v10, 0xf0f3030, v10
	v_and_or_b32 v29, v11, s21, v10
                                        ; implicit-def: $vgpr10_vgpr11
.LBB122_12:                             ;   in Loop: Header=BB122_10 Depth=1
	s_andn2_saveexec_b64 s[0:1], s[0:1]
	s_cbranch_execz .LBB122_14
; %bb.13:                               ;   in Loop: Header=BB122_10 Depth=1
	global_load_ushort v26, v[10:11], off offset:4
	global_load_ushort v29, v[10:11], off offset:8
	s_waitcnt vmcnt(0)
	v_perm_b32 v10, v26, v29, s16
	v_and_b32_e32 v29, 0x3f3f3f3f, v10
.LBB122_14:                             ;   in Loop: Header=BB122_10 Depth=1
	s_or_b64 exec, exec, s[0:1]
	v_add_u32_e32 v10, s18, v17
	v_mad_i64_i32 v[10:11], s[0:1], v10, s19, v[6:7]
	v_lshl_add_u64 v[30:31], v[10:11], 0, v[0:1]
	v_lshl_add_u64 v[32:33], v[30:31], 0, v[2:3]
	global_load_dword v26, v[12:13], off
	global_load_dword v31, v[32:33], off offset:16
	global_load_dword v30, v[32:33], off offset:32
	v_lshl_add_u64 v[12:13], v[10:11], 0, v[8:9]
                                        ; implicit-def: $vgpr32
	s_and_saveexec_b64 s[0:1], vcc
	s_xor_b64 s[0:1], exec, s[0:1]
	s_cbranch_execz .LBB122_16
; %bb.15:                               ;   in Loop: Header=BB122_10 Depth=1
	global_load_ushort v32, v[12:13], off offset:8
	global_load_ushort v33, v[12:13], off offset:4
	global_load_ushort v34, v[12:13], off
	s_waitcnt vmcnt(1)
	v_lshrrev_b16_e32 v12, 2, v33
	s_waitcnt vmcnt(0)
	v_perm_b32 v13, v34, v32, s16
	v_perm_b32 v12, v32, v12, s16
	v_pk_lshrrev_b16 v13, s17, v13
	v_and_b32_e32 v12, 0xf0f3030, v12
	v_and_or_b32 v32, v13, s21, v12
                                        ; implicit-def: $vgpr12_vgpr13
.LBB122_16:                             ;   in Loop: Header=BB122_10 Depth=1
	s_andn2_saveexec_b64 s[0:1], s[0:1]
	s_cbranch_execz .LBB122_9
; %bb.17:                               ;   in Loop: Header=BB122_10 Depth=1
	global_load_ushort v32, v[12:13], off offset:4
	global_load_ushort v33, v[12:13], off offset:8
	s_waitcnt vmcnt(0)
	v_perm_b32 v12, v32, v33, s16
	v_and_b32_e32 v32, 0x3f3f3f3f, v12
	s_branch .LBB122_9
.LBB122_18:
	s_or_b64 exec, exec, s[8:9]
	ds_write2_b32 v14, v18, v19 offset1:1
.LBB122_19:
	s_or_b64 exec, exec, s[4:5]
	v_cmp_eq_u32_e32 vcc, 0, v16
	v_cmp_ne_u32_e64 s[0:1], 0, v16
	v_lshlrev_b32_e32 v0, 2, v15
	s_and_saveexec_b64 s[4:5], s[0:1]
	s_cbranch_execz .LBB122_21
; %bb.20:
	v_lshl_or_b32 v1, v16, 9, v0
	v_add_u32_e32 v1, 0xfffffe00, v1
	ds_write2st64_b32 v1, v18, v19 offset1:1
.LBB122_21:
	s_or_b64 exec, exec, s[4:5]
	s_waitcnt lgkmcnt(0)
	s_barrier
	s_and_saveexec_b64 s[0:1], vcc
	s_cbranch_execz .LBB122_24
; %bb.22:
	v_mbcnt_lo_u32_b32 v1, -1, 0
	v_mbcnt_hi_u32_b32 v1, -1, v1
	v_and_b32_e32 v2, 64, v1
	v_add_u32_e32 v6, 64, v2
	ds_read2st64_b32 v[2:3], v0 offset1:1
	ds_read2_b32 v[4:5], v14 offset1:1
	v_xor_b32_e32 v7, 32, v1
	v_cmp_lt_i32_e32 vcc, v7, v6
	s_load_dword s0, s[2:3], 0x58
	s_mov_b32 s5, 0
	v_cndmask_b32_e32 v7, v1, v7, vcc
	v_lshlrev_b32_e32 v7, 2, v7
	s_waitcnt lgkmcnt(0)
	v_pk_add_f32 v[2:3], v[2:3], v[4:5]
	ds_bpermute_b32 v4, v7, v2
	ds_bpermute_b32 v5, v7, v3
	v_xor_b32_e32 v7, 16, v1
	v_cmp_lt_i32_e32 vcc, v7, v6
	s_waitcnt lgkmcnt(0)
	v_pk_add_f32 v[2:3], v[2:3], v[4:5]
	v_cndmask_b32_e32 v7, v1, v7, vcc
	v_lshlrev_b32_e32 v7, 2, v7
	ds_bpermute_b32 v4, v7, v2
	ds_bpermute_b32 v5, v7, v3
	v_xor_b32_e32 v7, 8, v1
	v_cmp_lt_i32_e32 vcc, v7, v6
	s_waitcnt lgkmcnt(0)
	v_pk_add_f32 v[2:3], v[2:3], v[4:5]
	v_cndmask_b32_e32 v7, v1, v7, vcc
	v_lshlrev_b32_e32 v7, 2, v7
	;; [unrolled: 8-line block ×5, first 2 shown]
	ds_bpermute_b32 v4, v1, v2
	ds_bpermute_b32 v5, v1, v3
	v_or_b32_e32 v1, s7, v15
	v_cmp_gt_u32_e32 vcc, 2, v15
	v_cmp_gt_u32_e64 s[0:1], s0, v1
	s_and_b64 s[0:1], vcc, s[0:1]
	s_waitcnt lgkmcnt(0)
	v_pk_add_f32 v[2:3], v[2:3], v[4:5]
	ds_write2_b32 v14, v2, v3 offset1:1
	s_and_b64 exec, exec, s[0:1]
	s_cbranch_execz .LBB122_24
; %bb.23:
	s_load_dwordx2 s[0:1], s[2:3], 0x38
	s_mul_i32 s2, s20, s10
	v_add_u32_e32 v1, v14, v0
	s_add_i32 s2, s2, s7
	s_mul_i32 s6, s6, s14
	ds_read_b32 v1, v1
	s_add_i32 s4, s2, s6
	s_lshl_b64 s[2:3], s[4:5], 2
	s_waitcnt lgkmcnt(0)
	s_add_u32 s0, s0, s2
	s_addc_u32 s1, s1, s3
	global_store_dword v0, v1, s[0:1]
.LBB122_24:
	s_endpgm
	.section	.rodata,"a",@progbits
	.p2align	6, 0x0
	.amdhsa_kernel _ZL13mul_mat_vec_qIL9ggml_type12ELi1ELb0ELb1EEvPKvS2_PKi31ggml_cuda_mm_fusion_args_devicePfj15HIP_vector_typeIjLj3EEjjjS8_jjjS8_jjjj
		.amdhsa_group_segment_fixed_size 1536
		.amdhsa_private_segment_fixed_size 0
		.amdhsa_kernarg_size 144
		.amdhsa_user_sgpr_count 4
		.amdhsa_user_sgpr_dispatch_ptr 1
		.amdhsa_user_sgpr_queue_ptr 0
		.amdhsa_user_sgpr_kernarg_segment_ptr 1
		.amdhsa_user_sgpr_dispatch_id 0
		.amdhsa_user_sgpr_kernarg_preload_length 0
		.amdhsa_user_sgpr_kernarg_preload_offset 0
		.amdhsa_user_sgpr_private_segment_size 0
		.amdhsa_uses_dynamic_stack 0
		.amdhsa_enable_private_segment 0
		.amdhsa_system_sgpr_workgroup_id_x 1
		.amdhsa_system_sgpr_workgroup_id_y 1
		.amdhsa_system_sgpr_workgroup_id_z 1
		.amdhsa_system_sgpr_workgroup_info 0
		.amdhsa_system_vgpr_workitem_id 2
		.amdhsa_next_free_vgpr 47
		.amdhsa_next_free_sgpr 25
		.amdhsa_accum_offset 48
		.amdhsa_reserve_vcc 1
		.amdhsa_float_round_mode_32 0
		.amdhsa_float_round_mode_16_64 0
		.amdhsa_float_denorm_mode_32 3
		.amdhsa_float_denorm_mode_16_64 3
		.amdhsa_dx10_clamp 1
		.amdhsa_ieee_mode 1
		.amdhsa_fp16_overflow 0
		.amdhsa_tg_split 0
		.amdhsa_exception_fp_ieee_invalid_op 0
		.amdhsa_exception_fp_denorm_src 0
		.amdhsa_exception_fp_ieee_div_zero 0
		.amdhsa_exception_fp_ieee_overflow 0
		.amdhsa_exception_fp_ieee_underflow 0
		.amdhsa_exception_fp_ieee_inexact 0
		.amdhsa_exception_int_div_zero 0
	.end_amdhsa_kernel
	.section	.text._ZL13mul_mat_vec_qIL9ggml_type12ELi1ELb0ELb1EEvPKvS2_PKi31ggml_cuda_mm_fusion_args_devicePfj15HIP_vector_typeIjLj3EEjjjS8_jjjS8_jjjj,"axG",@progbits,_ZL13mul_mat_vec_qIL9ggml_type12ELi1ELb0ELb1EEvPKvS2_PKi31ggml_cuda_mm_fusion_args_devicePfj15HIP_vector_typeIjLj3EEjjjS8_jjjS8_jjjj,comdat
.Lfunc_end122:
	.size	_ZL13mul_mat_vec_qIL9ggml_type12ELi1ELb0ELb1EEvPKvS2_PKi31ggml_cuda_mm_fusion_args_devicePfj15HIP_vector_typeIjLj3EEjjjS8_jjjS8_jjjj, .Lfunc_end122-_ZL13mul_mat_vec_qIL9ggml_type12ELi1ELb0ELb1EEvPKvS2_PKi31ggml_cuda_mm_fusion_args_devicePfj15HIP_vector_typeIjLj3EEjjjS8_jjjS8_jjjj
                                        ; -- End function
	.section	.AMDGPU.csdata,"",@progbits
; Kernel info:
; codeLenInByte = 2020
; NumSgprs: 31
; NumVgprs: 47
; NumAgprs: 0
; TotalNumVgprs: 47
; ScratchSize: 0
; MemoryBound: 0
; FloatMode: 240
; IeeeMode: 1
; LDSByteSize: 1536 bytes/workgroup (compile time only)
; SGPRBlocks: 3
; VGPRBlocks: 5
; NumSGPRsForWavesPerEU: 31
; NumVGPRsForWavesPerEU: 47
; AccumOffset: 48
; Occupancy: 8
; WaveLimiterHint : 0
; COMPUTE_PGM_RSRC2:SCRATCH_EN: 0
; COMPUTE_PGM_RSRC2:USER_SGPR: 4
; COMPUTE_PGM_RSRC2:TRAP_HANDLER: 0
; COMPUTE_PGM_RSRC2:TGID_X_EN: 1
; COMPUTE_PGM_RSRC2:TGID_Y_EN: 1
; COMPUTE_PGM_RSRC2:TGID_Z_EN: 1
; COMPUTE_PGM_RSRC2:TIDIG_COMP_CNT: 2
; COMPUTE_PGM_RSRC3_GFX90A:ACCUM_OFFSET: 11
; COMPUTE_PGM_RSRC3_GFX90A:TG_SPLIT: 0
	.section	.text._ZL13mul_mat_vec_qIL9ggml_type12ELi1ELb1ELb0EEvPKvS2_PKi31ggml_cuda_mm_fusion_args_devicePfj15HIP_vector_typeIjLj3EEjjjS8_jjjS8_jjjj,"axG",@progbits,_ZL13mul_mat_vec_qIL9ggml_type12ELi1ELb1ELb0EEvPKvS2_PKi31ggml_cuda_mm_fusion_args_devicePfj15HIP_vector_typeIjLj3EEjjjS8_jjjS8_jjjj,comdat
	.globl	_ZL13mul_mat_vec_qIL9ggml_type12ELi1ELb1ELb0EEvPKvS2_PKi31ggml_cuda_mm_fusion_args_devicePfj15HIP_vector_typeIjLj3EEjjjS8_jjjS8_jjjj ; -- Begin function _ZL13mul_mat_vec_qIL9ggml_type12ELi1ELb1ELb0EEvPKvS2_PKi31ggml_cuda_mm_fusion_args_devicePfj15HIP_vector_typeIjLj3EEjjjS8_jjjS8_jjjj
	.p2align	8
	.type	_ZL13mul_mat_vec_qIL9ggml_type12ELi1ELb1ELb0EEvPKvS2_PKi31ggml_cuda_mm_fusion_args_devicePfj15HIP_vector_typeIjLj3EEjjjS8_jjjS8_jjjj,@function
_ZL13mul_mat_vec_qIL9ggml_type12ELi1ELb1ELb0EEvPKvS2_PKi31ggml_cuda_mm_fusion_args_devicePfj15HIP_vector_typeIjLj3EEjjjS8_jjjS8_jjjj: ; @_ZL13mul_mat_vec_qIL9ggml_type12ELi1ELb1ELb0EEvPKvS2_PKi31ggml_cuda_mm_fusion_args_devicePfj15HIP_vector_typeIjLj3EEjjjS8_jjjS8_jjjj
; %bb.0:
	s_load_dwordx8 s[16:23], s[0:1], 0x0
	s_load_dwordx4 s[36:39], s[0:1], 0x20
	s_load_dwordx4 s[8:11], s[0:1], 0x40
	s_load_dwordx4 s[24:27], s[0:1], 0x68
	s_mov_b32 s14, s3
	s_waitcnt lgkmcnt(0)
	s_cmp_lg_u64 s[20:21], 0
	s_cselect_b64 s[6:7], -1, 0
	s_cmp_eq_u64 s[20:21], 0
	s_mov_b64 s[12:13], 0
	s_cbranch_scc1 .LBB123_5
; %bb.1:
	s_mov_b32 s15, 0
	s_lshl_b64 s[28:29], s[14:15], 2
	s_add_u32 s20, s20, s28
	s_addc_u32 s21, s21, s29
	s_load_dword s5, s[20:21], 0x0
	s_load_dword s15, s[0:1], 0x50
	s_load_dword s33, s[0:1], 0x78
	s_andn2_b64 vcc, exec, s[12:13]
	s_cbranch_vccnz .LBB123_3
.LBB123_2:
	s_load_dwordx2 s[12:13], s[0:1], 0x5c
	s_waitcnt lgkmcnt(0)
	s_mul_hi_u32 s3, s12, s14
	s_add_i32 s3, s14, s3
	s_lshr_b32 s5, s3, s13
.LBB123_3:
	s_andn2_b64 vcc, exec, s[6:7]
	s_cbranch_vccnz .LBB123_6
; %bb.4:
	s_mul_hi_u32 s3, s9, s14
	s_add_i32 s3, s14, s3
	s_lshr_b32 s3, s3, s10
	s_mul_i32 s3, s3, s11
	s_sub_i32 s34, s14, s3
	s_waitcnt lgkmcnt(0)
	s_mov_b32 s3, s5
	s_branch .LBB123_7
.LBB123_5:
                                        ; implicit-def: $sgpr5
	s_load_dword s15, s[0:1], 0x50
	s_load_dword s33, s[0:1], 0x78
	s_branch .LBB123_2
.LBB123_6:
	s_mov_b32 s3, s14
	s_mov_b32 s34, s14
.LBB123_7:
	s_load_dwordx4 s[28:31], s[0:1], 0x80
	v_bfe_u32 v22, v0, 10, 10
	v_and_b32_e32 v19, 0x3ff, v0
	s_cmp_lg_u64 s[22:23], 0
	v_or_b32_e32 v0, v22, v19
	s_cselect_b64 s[12:13], -1, 0
	v_cmp_eq_u32_e32 vcc, 0, v0
	s_mov_b32 s21, 0
	s_and_b64 s[40:41], vcc, s[12:13]
	v_mov_b32_e32 v20, 0
	s_mul_i32 s10, s3, s26
	v_lshlrev_b32_e32 v18, 2, v19
	v_mov_b32_e32 v21, 0
	s_and_saveexec_b64 s[6:7], s[40:41]
	s_cbranch_execz .LBB123_9
; %bb.8:
	s_waitcnt lgkmcnt(0)
	s_mul_i32 s20, s4, s30
	s_lshl_b64 s[40:41], s[20:21], 2
	s_add_u32 s3, s22, s40
	s_mov_b32 s11, s21
	s_addc_u32 s9, s23, s41
	s_lshl_b64 s[20:21], s[10:11], 2
	s_add_u32 s11, s3, s20
	s_addc_u32 s9, s9, s21
	s_ashr_i32 s3, s2, 31
	s_lshl_b64 s[20:21], s[2:3], 2
	s_add_u32 s20, s11, s20
	s_addc_u32 s21, s9, s21
	global_load_dword v21, v18, s[20:21]
.LBB123_9:
	s_or_b64 exec, exec, s[6:7]
	s_cmp_lg_u64 s[36:37], 0
	s_cselect_b64 s[20:21], -1, 0
	s_cmp_lg_u64 s[38:39], 0
	s_cselect_b64 s[6:7], -1, 0
	s_and_b64 s[22:23], s[6:7], s[20:21]
	s_and_b64 s[40:41], vcc, s[22:23]
	s_and_saveexec_b64 s[22:23], s[40:41]
	s_cbranch_execz .LBB123_11
; %bb.10:
	s_waitcnt lgkmcnt(0)
	s_mul_i32 s40, s4, s30
	s_mov_b32 s41, 0
	s_lshl_b64 s[42:43], s[40:41], 2
	s_add_u32 s3, s38, s42
	s_mov_b32 s11, s41
	s_addc_u32 s9, s39, s43
	s_lshl_b64 s[10:11], s[10:11], 2
	s_add_u32 s31, s3, s10
	s_addc_u32 s9, s9, s11
	s_ashr_i32 s3, s2, 31
	s_lshl_b64 s[10:11], s[2:3], 2
	s_add_u32 s10, s31, s10
	s_addc_u32 s11, s9, s11
	global_load_dword v20, v18, s[10:11]
.LBB123_11:
	s_or_b64 exec, exec, s[22:23]
	v_lshl_add_u32 v4, v22, 6, v19
	s_lshr_b32 s3, s8, 8
	v_lshrrev_b32_e32 v24, 4, v4
	v_cndmask_b32_e64 v0, 0, 1, s[20:21]
	v_cmp_gt_u32_e32 vcc, s3, v24
	v_mov_b32_e32 v25, 0
	v_cmp_ne_u32_e64 s[8:9], 1, v0
	v_mov_b32_e32 v23, 0
	s_and_saveexec_b64 s[20:21], vcc
	s_cbranch_execz .LBB123_25
; %bb.12:
	s_mul_hi_u32 s10, s27, s4
	s_add_i32 s10, s4, s10
	s_waitcnt lgkmcnt(0)
	s_lshr_b32 s10, s10, s33
	s_mul_i32 s5, s5, s24
	s_mul_i32 s22, s10, s28
	v_lshlrev_b32_e32 v0, 1, v19
	s_mul_i32 s15, s2, s15
	v_and_b32_e32 v5, 30, v0
	s_add_i32 s5, s22, s5
	v_lshrrev_b32_e32 v6, 4, v4
	v_bfe_u32 v4, v19, 2, 2
	v_cmp_lt_u32_e64 s[10:11], 15, v5
	s_add_i32 s5, s5, s15
	v_mul_hi_u32_u24_e32 v5, 0x48, v4
	v_mul_u32_u24_e32 v4, 0x48, v4
	s_movk_i32 s15, 0x120
	s_mul_i32 s24, s4, s29
	v_mad_u64_u32 v[4:5], s[22:23], v6, s15, v[4:5]
	s_mul_hi_u32 s22, s24, 36
	s_mul_i32 s24, s24, 36
	s_mul_i32 s25, s34, s25
	s_add_u32 s18, s18, s24
	s_mul_hi_u32 s15, s25, 36
	s_mul_i32 s25, s25, 36
	s_addc_u32 s19, s19, s22
	s_add_u32 s18, s18, s25
	s_addc_u32 s19, s19, s15
	v_bfe_u32 v8, v0, 3, 2
	v_mov_b32_e32 v1, 0
	v_and_b32_e32 v2, 3, v19
	v_lshl_add_u64 v[4:5], s[18:19], 0, v[4:5]
	v_lshlrev_b32_e32 v0, 5, v8
	v_lshlrev_b32_e32 v2, 2, v2
	v_mov_b32_e32 v3, v1
	v_lshl_add_u64 v[4:5], v[4:5], 0, 36
	s_mov_b64 s[18:19], 0
	s_movk_i32 s15, 0x90
	v_mov_b64_e32 v[6:7], s[16:17]
	v_lshlrev_b32_e32 v8, 1, v8
	v_mov_b32_e32 v9, v1
	s_mov_b32 s24, 0x5040100
	s_mov_b32 s25, 0x20004
	;; [unrolled: 1-line block ×4, first 2 shown]
	s_mov_b64 s[16:17], 0x900
	v_mov_b32_e32 v25, v1
	v_mov_b32_e32 v23, v1
	s_branch .LBB123_15
.LBB123_13:                             ;   in Loop: Header=BB123_15 Depth=1
	s_or_b64 exec, exec, s[22:23]
	global_load_dword v37, v[14:15], off
	s_waitcnt vmcnt(2)
	v_and_b32_e32 v15, 0xf0f0f0f, v35
	v_mov_b32_e32 v17, 0
	v_lshrrev_b32_e32 v35, 4, v35
	v_pk_lshrrev_b16 v14, 8, v36 op_sel_hi:[0,1]
	s_waitcnt vmcnt(1)
	v_and_b32_e32 v16, 0xf0f0f0f, v34
	v_and_b32_e32 v36, 0xff00ff, v36
	v_lshrrev_b32_e32 v34, 4, v34
	v_mov_b32_e32 v38, 0
	v_dot4c_i32_i8_e32 v17, v15, v32
	v_and_b32_e32 v15, 0xf0f0f0f, v35
	v_and_b32_e32 v34, 0xf0f0f0f, v34
	v_lshrrev_b32_e32 v35, 16, v14
	v_and_b32_e32 v39, 0xff, v14
	v_lshrrev_b32_e32 v14, 16, v36
	v_and_b32_e32 v36, 0xff, v36
	v_dot4c_i32_i8_e32 v17, v16, v33
	v_dot4c_i32_i8_e32 v38, v15, v29
	v_mul_lo_u32 v14, v31, v14
	v_mul_lo_u32 v16, v11, v35
	v_dot4c_i32_i8_e32 v38, v34, v30
	v_mul_lo_u32 v34, v17, v36
	v_cvt_f32_i32_e32 v15, v14
	v_cvt_f32_i32_e32 v17, v16
	;; [unrolled: 1-line block ×3, first 2 shown]
	v_mul_lo_u32 v16, v38, v39
	v_cvt_f32_i32_e32 v16, v16
	v_pk_fma_f32 v[14:15], v[12:13], v[14:15], 0 op_sel_hi:[0,1,0]
	v_pk_fma_f32 v[14:15], v[10:11], v[16:17], v[14:15] op_sel_hi:[0,1,1]
	s_waitcnt vmcnt(0)
	v_cvt_f32_f16_sdwa v35, v37 dst_sel:DWORD dst_unused:UNUSED_PAD src0_sel:WORD_1
	v_cvt_f32_f16_e32 v34, v37
	v_pk_mul_f32 v[14:15], v[14:15], v[34:35]
	s_nop 0
	v_sub_f32_e32 v14, v14, v15
	v_add_f32_e32 v23, v23, v14
.LBB123_14:                             ;   in Loop: Header=BB123_15 Depth=1
	v_and_b32_e32 v14, 0xf0f0f0f, v27
	v_mov_b32_e32 v16, 0
	v_and_b32_e32 v15, 0xf0f0f0f, v26
	v_dot4c_i32_i8_e32 v16, v14, v32
	v_dot4c_i32_i8_e32 v16, v15, v33
	v_bfe_u32 v14, v28, 16, 8
	v_lshrrev_b32_e32 v27, 4, v27
	v_lshrrev_b16_e32 v15, 8, v28
	v_mul_lo_u32 v14, v16, v14
	v_lshrrev_b32_e32 v16, 24, v28
	v_and_b32_e32 v17, 0xff, v28
	v_and_b32_e32 v27, 0xf0f0f0f, v27
	v_lshrrev_b32_e32 v26, 4, v26
	v_mov_b32_e32 v28, 0
	v_mul_lo_u32 v17, v31, v17
	v_and_b32_e32 v26, 0xf0f0f0f, v26
	v_dot4c_i32_i8_e32 v28, v27, v29
	v_cvt_f32_i32_e32 v14, v14
	v_cvt_f32_i32_e32 v17, v17
	v_dot4c_i32_i8_e32 v28, v26, v30
	v_mul_lo_u32 v11, v11, v15
	v_cvt_f32_i32_e32 v11, v11
	s_waitcnt vmcnt(0)
	v_cvt_f32_f16_sdwa v15, v13 dst_sel:DWORD dst_unused:UNUSED_PAD src0_sel:WORD_1
	v_mul_lo_u32 v16, v28, v16
	v_cvt_f32_i32_e32 v16, v16
	v_fma_f32 v14, v12, v14, 0
	v_fma_f32 v12, v12, v17, 0
	v_fmac_f32_e32 v12, v10, v11
	v_fmac_f32_e32 v14, v10, v16
	v_mul_f32_e32 v10, v12, v15
	v_add_u32_e32 v24, 8, v24
	v_fma_mix_f32 v10, v14, v13, -v10 op_sel_hi:[0,1,0]
	v_cmp_le_u32_e32 vcc, s3, v24
	v_add_f32_e32 v25, v25, v10
	s_or_b64 s[18:19], vcc, s[18:19]
	v_lshl_add_u64 v[4:5], v[4:5], 0, s[16:17]
	s_andn2_b64 exec, exec, s[18:19]
	s_cbranch_execz .LBB123_24
.LBB123_15:                             ; =>This Inner Loop Header: Depth=1
	v_add_u32_e32 v14, s5, v24
	v_mad_i64_i32 v[10:11], s[22:23], v14, s15, v[6:7]
	v_lshl_add_u64 v[12:13], v[10:11], 0, v[0:1]
	v_lshl_add_u64 v[12:13], v[12:13], 0, v[2:3]
	global_load_dword v27, v[12:13], off offset:16
	global_load_dword v26, v[12:13], off offset:32
	v_lshl_add_u64 v[12:13], v[10:11], 0, v[8:9]
                                        ; implicit-def: $vgpr28
	s_and_saveexec_b64 s[22:23], s[10:11]
	s_xor_b64 s[22:23], exec, s[22:23]
	s_cbranch_execz .LBB123_17
; %bb.16:                               ;   in Loop: Header=BB123_15 Depth=1
	global_load_ushort v15, v[12:13], off offset:8
	global_load_ushort v16, v[12:13], off offset:4
	global_load_ushort v17, v[12:13], off
	s_waitcnt vmcnt(1)
	v_lshrrev_b16_e32 v12, 2, v16
	s_waitcnt vmcnt(0)
	v_perm_b32 v13, v17, v15, s24
	v_perm_b32 v12, v15, v12, s24
	v_pk_lshrrev_b16 v13, s25, v13
	v_and_b32_e32 v12, 0xf0f3030, v12
	v_and_or_b32 v28, v13, s27, v12
                                        ; implicit-def: $vgpr12_vgpr13
.LBB123_17:                             ;   in Loop: Header=BB123_15 Depth=1
	s_andn2_saveexec_b64 s[22:23], s[22:23]
	s_cbranch_execz .LBB123_19
; %bb.18:                               ;   in Loop: Header=BB123_15 Depth=1
	global_load_ushort v15, v[12:13], off offset:4
	global_load_ushort v16, v[12:13], off offset:8
	s_waitcnt vmcnt(0)
	v_perm_b32 v12, v15, v16, s24
	v_and_b32_e32 v28, 0x3f3f3f3f, v12
.LBB123_19:                             ;   in Loop: Header=BB123_15 Depth=1
	s_or_b64 exec, exec, s[22:23]
	v_lshl_add_u64 v[16:17], v[4:5], 0, v[2:3]
	global_load_dword v12, v[4:5], off offset:-36
	global_load_dword v15, v[4:5], off
	global_load_dword v32, v[16:17], off offset:-32
	global_load_dword v29, v[16:17], off offset:4
	global_load_dword v33, v[16:17], off offset:-16
	global_load_dword v30, v[16:17], off offset:20
	global_load_dword v13, v[10:11], off
	v_mov_b32_e32 v31, 0
	v_mov_b32_e32 v11, 0
	s_and_b64 vcc, exec, s[8:9]
	s_waitcnt vmcnt(6)
	v_cvt_f32_f16_e32 v12, v12
	s_waitcnt vmcnt(5)
	v_cvt_f32_f16_e32 v10, v15
	s_waitcnt vmcnt(4)
	v_dot4c_i32_i8_e32 v31, 0x1010101, v32
	s_waitcnt vmcnt(3)
	v_dot4c_i32_i8_e32 v11, 0x1010101, v29
	;; [unrolled: 2-line block ×4, first 2 shown]
	s_cbranch_vccnz .LBB123_14
; %bb.20:                               ;   in Loop: Header=BB123_15 Depth=1
	v_mov_b64_e32 v[16:17], s[36:37]
	v_mad_i64_i32 v[14:15], s[22:23], v14, s15, v[16:17]
	v_lshl_add_u64 v[16:17], v[14:15], 0, v[0:1]
	v_lshl_add_u64 v[16:17], v[16:17], 0, v[2:3]
	global_load_dword v35, v[16:17], off offset:16
	global_load_dword v34, v[16:17], off offset:32
	v_lshl_add_u64 v[16:17], v[14:15], 0, v[8:9]
                                        ; implicit-def: $vgpr36
	s_and_saveexec_b64 s[22:23], s[10:11]
	s_xor_b64 s[22:23], exec, s[22:23]
	s_cbranch_execz .LBB123_22
; %bb.21:                               ;   in Loop: Header=BB123_15 Depth=1
	global_load_ushort v36, v[16:17], off
	global_load_ushort v37, v[16:17], off offset:8
	global_load_ushort v38, v[16:17], off offset:4
	s_waitcnt vmcnt(1)
	v_lshrrev_b16_e32 v16, 4, v37
	s_waitcnt vmcnt(0)
	v_perm_b32 v17, v38, v36, s24
	v_perm_b32 v16, v16, v37, s24
	v_and_b32_e32 v16, 0xf0f0f0f, v16
	v_pk_lshrrev_b16 v17, 2, v17 op_sel_hi:[0,1]
	v_and_or_b32 v36, v17, s28, v16
                                        ; implicit-def: $vgpr16_vgpr17
.LBB123_22:                             ;   in Loop: Header=BB123_15 Depth=1
	s_andn2_saveexec_b64 s[22:23], s[22:23]
	s_cbranch_execz .LBB123_13
; %bb.23:                               ;   in Loop: Header=BB123_15 Depth=1
	global_load_ushort v36, v[16:17], off offset:4
	global_load_ushort v37, v[16:17], off offset:8
	s_waitcnt vmcnt(0)
	v_perm_b32 v16, v37, v36, s24
	v_and_b32_e32 v36, 0x3f3f3f3f, v16
	s_branch .LBB123_13
.LBB123_24:
	s_or_b64 exec, exec, s[18:19]
.LBB123_25:
	s_or_b64 exec, exec, s[20:21]
	s_load_dword s3, s[0:1], 0x30
	v_cmp_eq_u32_e64 s[10:11], 0, v22
	v_cmp_ne_u32_e32 vcc, 0, v22
	s_and_saveexec_b64 s[16:17], vcc
	s_cbranch_execz .LBB123_28
; %bb.26:
	v_add_u32_e32 v0, -1, v22
	v_lshl_add_u32 v0, v0, 8, v18
	s_and_b64 vcc, exec, s[8:9]
	ds_write_b32 v0, v25
	s_cbranch_vccnz .LBB123_28
; %bb.27:
	ds_write_b32 v0, v23 offset:256
.LBB123_28:
	s_or_b64 exec, exec, s[16:17]
	s_waitcnt lgkmcnt(0)
	s_barrier
	s_and_saveexec_b64 s[16:17], s[10:11]
	s_cbranch_execz .LBB123_57
; %bb.29:
	ds_read_b32 v0, v18
	s_and_b64 vcc, exec, s[8:9]
	s_cbranch_vccnz .LBB123_31
; %bb.30:
	ds_read_b32 v1, v18 offset:256
	s_waitcnt lgkmcnt(0)
	v_add_f32_e32 v23, v23, v1
.LBB123_31:
	s_waitcnt lgkmcnt(0)
	v_add_f32_e32 v1, v25, v0
	v_mbcnt_lo_u32_b32 v0, -1, 0
	v_mbcnt_hi_u32_b32 v4, -1, v0
	v_and_b32_e32 v0, 64, v4
	v_add_u32_e32 v7, 64, v0
	v_xor_b32_e32 v0, 32, v4
	v_cmp_lt_i32_e32 vcc, v0, v7
	v_xor_b32_e32 v3, 16, v4
	v_xor_b32_e32 v5, 8, v4
	v_cndmask_b32_e32 v0, v4, v0, vcc
	v_lshlrev_b32_e32 v0, 2, v0
	ds_bpermute_b32 v2, v0, v1
	v_cmp_lt_i32_e32 vcc, v3, v7
	v_xor_b32_e32 v6, 4, v4
	v_xor_b32_e32 v8, 2, v4
	;; [unrolled: 1-line block ×3, first 2 shown]
	s_waitcnt lgkmcnt(0)
	v_add_f32_e32 v2, v1, v2
	v_cndmask_b32_e32 v1, v4, v3, vcc
	v_lshlrev_b32_e32 v1, 2, v1
	ds_bpermute_b32 v3, v1, v2
	v_cmp_lt_i32_e32 vcc, v5, v7
	s_waitcnt lgkmcnt(0)
	v_add_f32_e32 v2, v2, v3
	v_cndmask_b32_e32 v3, v4, v5, vcc
	v_lshlrev_b32_e32 v3, 2, v3
	ds_bpermute_b32 v5, v3, v2
	v_cmp_lt_i32_e32 vcc, v6, v7
	;; [unrolled: 6-line block ×4, first 2 shown]
	s_waitcnt lgkmcnt(0)
	v_add_f32_e32 v2, v2, v8
	v_cndmask_b32_e32 v4, v4, v9, vcc
	v_lshlrev_b32_e32 v7, 2, v4
	ds_bpermute_b32 v4, v7, v2
	s_and_b64 vcc, exec, s[8:9]
	s_cbranch_vccnz .LBB123_33
; %bb.32:
	ds_bpermute_b32 v0, v0, v23
	s_waitcnt lgkmcnt(0)
	v_add_f32_e32 v0, v23, v0
	ds_bpermute_b32 v1, v1, v0
	s_waitcnt lgkmcnt(0)
	v_add_f32_e32 v0, v0, v1
	;; [unrolled: 3-line block ×6, first 2 shown]
.LBB123_33:
	v_cmp_eq_u32_e32 vcc, 0, v19
	s_and_b64 exec, exec, vcc
	s_cbranch_execz .LBB123_57
; %bb.34:
	s_waitcnt lgkmcnt(0)
	v_add_f32_e32 v0, v2, v4
	s_waitcnt vmcnt(0)
	v_add_f32_e32 v1, v21, v0
	s_and_b64 vcc, exec, s[8:9]
	v_cndmask_b32_e64 v0, v0, v1, s[12:13]
	s_cbranch_vccnz .LBB123_56
; %bb.35:
	v_add_f32_e32 v1, v20, v23
	v_cndmask_b32_e64 v1, v23, v1, s[6:7]
	s_cmp_lt_i32 s3, 2
	s_mov_b64 s[6:7], 0
	s_cbranch_scc1 .LBB123_39
; %bb.36:
	s_cmp_gt_i32 s3, 2
	s_cbranch_scc0 .LBB123_40
; %bb.37:
	s_cmp_eq_u32 s3, 3
	s_cbranch_scc0 .LBB123_41
; %bb.38:
	v_max_f32_e32 v2, v1, v1
	v_min_f32_e32 v4, 0x40e00000, v2
	v_mul_f32_e32 v3, 0xbfd9db23, v4
	s_mov_b32 s5, 0x3fb8aa3b
	v_mul_f32_e32 v2, 0x3fb8aa3b, v3
	v_fma_f32 v5, v3, s5, -v2
	v_rndne_f32_e32 v6, v2
	v_fmamk_f32 v5, v3, 0x32a5705f, v5
	v_sub_f32_e32 v2, v2, v6
	v_add_f32_e32 v2, v2, v5
	v_exp_f32_e32 v5, v2
	v_cvt_i32_f32_e32 v6, v6
	s_mov_b32 s5, 0xc2ce8ed0
	v_max_f32_e32 v2, v0, v0
	v_cmp_ngt_f32_e32 vcc, s5, v3
	v_ldexp_f32 v5, v5, v6
	s_mov_b32 s5, 0x42b17218
	v_min_f32_e32 v2, 0x40e00000, v2
	v_cndmask_b32_e32 v5, 0, v5, vcc
	v_mov_b32_e32 v6, 0x7f800000
	v_cmp_nlt_f32_e32 vcc, s5, v3
	v_max_f32_e32 v2, 0xc0e00000, v2
	s_nop 0
	v_cndmask_b32_e32 v3, v6, v5, vcc
	v_pk_add_f32 v[2:3], v[2:3], 1.0 op_sel_hi:[1,0]
	s_nop 0
	v_div_scale_f32 v5, s[8:9], v3, v3, v4
	v_rcp_f32_e32 v6, v5
	s_mov_b64 s[8:9], 0
	v_fma_f32 v7, -v5, v6, 1.0
	v_fmac_f32_e32 v6, v7, v6
	v_div_scale_f32 v7, vcc, v4, v3, v4
	v_mul_f32_e32 v8, v7, v6
	v_fma_f32 v9, -v5, v8, v7
	v_fmac_f32_e32 v8, v9, v6
	v_fma_f32 v5, -v5, v8, v7
	v_div_fmas_f32 v5, v5, v6, v8
	v_div_fixup_f32 v3, v5, v3, v4
	v_mul_f32_e32 v2, v2, v3
	s_branch .LBB123_42
.LBB123_39:
                                        ; implicit-def: $vgpr2
	s_mov_b64 s[8:9], 0
	s_cbranch_execnz .LBB123_46
	s_branch .LBB123_47
.LBB123_40:
	s_mov_b64 s[10:11], -1
	s_mov_b64 s[8:9], 0
                                        ; implicit-def: $vgpr2
	s_branch .LBB123_43
.LBB123_41:
	s_mov_b64 s[8:9], -1
                                        ; implicit-def: $vgpr2
.LBB123_42:
	s_mov_b64 s[10:11], 0
.LBB123_43:
	s_and_b64 vcc, exec, s[10:11]
	s_cbranch_vccz .LBB123_45
; %bb.44:
	v_mul_f32_e32 v2, 0xbfb8aa3b, v1
	s_mov_b32 s5, 0xbfb8aa3b
	v_rndne_f32_e32 v3, v2
	v_sub_f32_e32 v4, v2, v3
	v_fma_f32 v2, v1, s5, -v2
	v_fmamk_f32 v2, v1, 0xb2a5705f, v2
	v_add_f32_e32 v2, v4, v2
	v_exp_f32_e32 v2, v2
	v_cvt_i32_f32_e32 v3, v3
	s_mov_b32 s5, 0x42ce8ed0
	v_cmp_nlt_f32_e32 vcc, s5, v1
	s_mov_b32 s5, 0xc2b17218
	v_ldexp_f32 v2, v2, v3
	v_cndmask_b32_e32 v2, 0, v2, vcc
	v_mov_b32_e32 v3, 0x7f800000
	v_cmp_ngt_f32_e32 vcc, s5, v1
	s_nop 1
	v_cndmask_b32_e32 v2, v3, v2, vcc
	v_add_f32_e32 v2, 1.0, v2
	v_div_scale_f32 v3, s[10:11], v2, v2, v1
	v_rcp_f32_e32 v4, v3
	s_nop 0
	v_fma_f32 v5, -v3, v4, 1.0
	v_fmac_f32_e32 v4, v5, v4
	v_div_scale_f32 v5, vcc, v1, v2, v1
	v_mul_f32_e32 v6, v5, v4
	v_fma_f32 v7, -v3, v6, v5
	v_fmac_f32_e32 v6, v7, v4
	v_fma_f32 v3, -v3, v6, v5
	v_div_fmas_f32 v3, v3, v4, v6
	v_div_fixup_f32 v2, v3, v2, v1
	v_mul_f32_e32 v2, v0, v2
.LBB123_45:
	s_branch .LBB123_47
.LBB123_46:
	s_cmp_lg_u32 s3, 1
	s_mov_b64 s[6:7], -1
	s_cselect_b64 s[8:9], -1, 0
                                        ; implicit-def: $vgpr2
.LBB123_47:
	s_andn2_b64 vcc, exec, s[8:9]
	s_cbranch_vccz .LBB123_49
; %bb.48:
	s_andn2_b64 vcc, exec, s[6:7]
	s_cbranch_vccz .LBB123_50
	s_branch .LBB123_55
.LBB123_49:
	v_mul_f32_e32 v2, v0, v1
	s_cbranch_execnz .LBB123_55
.LBB123_50:
	v_mul_f32_e32 v3, 0x3d372713, v1
	v_mul_f32_e32 v2, 0x3f4c422a, v1
	v_fma_f32 v3, v1, v3, 1.0
	v_mul_f32_e32 v2, v2, v3
	s_mov_b32 s3, 0x3f200000
	v_cmp_nlt_f32_e64 s[6:7], |v2|, s3
                                        ; implicit-def: $vgpr3
	s_and_saveexec_b64 s[8:9], s[6:7]
	s_xor_b64 s[6:7], exec, s[8:9]
	s_cbranch_execz .LBB123_52
; %bb.51:
	v_add_f32_e64 v3, |v2|, |v2|
	v_mul_f32_e32 v4, 0x3fb8aa3b, v3
	s_mov_b32 s3, 0x3fb8aa3b
	v_rndne_f32_e32 v5, v4
	v_sub_f32_e32 v6, v4, v5
	v_fma_f32 v4, v3, s3, -v4
	v_fmamk_f32 v4, v3, 0x32a5705f, v4
	v_add_f32_e32 v4, v6, v4
	v_exp_f32_e32 v4, v4
	v_cvt_i32_f32_e32 v5, v5
	s_mov_b32 s3, 0xc2ce8ed0
	v_cmp_ngt_f32_e32 vcc, s3, v3
	s_mov_b32 s3, 0x42b17218
	v_ldexp_f32 v4, v4, v5
	v_cndmask_b32_e32 v4, 0, v4, vcc
	v_mov_b32_e32 v5, 0x7f800000
	v_cmp_nlt_f32_e32 vcc, s3, v3
	s_nop 1
	v_cndmask_b32_e32 v3, v5, v4, vcc
	v_add_f32_e32 v3, 1.0, v3
	v_rcp_f32_e32 v3, v3
	s_nop 0
	v_fma_f32 v3, v3, -2.0, 1.0
.LBB123_52:
	s_andn2_saveexec_b64 s[6:7], s[6:7]
; %bb.53:
	v_mul_f32_e32 v3, v2, v2
	v_mov_b32_e32 v4, 0x3ca908c9
	v_fmac_f32_e32 v4, 0xbbbac73d, v3
	v_fmaak_f32 v4, v3, v4, 0xbd5c1c4e
	v_fmaak_f32 v4, v3, v4, 0x3e088382
	;; [unrolled: 1-line block ×3, first 2 shown]
	v_mul_f32_e64 v4, |v2|, v4
	v_fma_f32 v3, v3, v4, |v2|
; %bb.54:
	s_or_b64 exec, exec, s[6:7]
	s_brev_b32 s3, -2
	v_bfi_b32 v2, s3, v3, v2
	v_mul_f32_e32 v1, 0.5, v1
	v_add_f32_e32 v2, 1.0, v2
	v_mul_f32_e32 v1, v1, v2
	v_mul_f32_e32 v2, v0, v1
.LBB123_55:
	v_mov_b32_e32 v0, v2
.LBB123_56:
	s_load_dwordx2 s[0:1], s[0:1], 0x38
	s_mul_i32 s3, s14, s26
	s_mul_i32 s4, s4, s30
	s_add_i32 s2, s3, s2
	s_add_i32 s2, s2, s4
	s_mov_b32 s3, 0
	s_lshl_b64 s[2:3], s[2:3], 2
	s_waitcnt lgkmcnt(0)
	s_add_u32 s0, s0, s2
	s_addc_u32 s1, s1, s3
	global_store_dword v18, v0, s[0:1]
.LBB123_57:
	s_endpgm
	.section	.rodata,"a",@progbits
	.p2align	6, 0x0
	.amdhsa_kernel _ZL13mul_mat_vec_qIL9ggml_type12ELi1ELb1ELb0EEvPKvS2_PKi31ggml_cuda_mm_fusion_args_devicePfj15HIP_vector_typeIjLj3EEjjjS8_jjjS8_jjjj
		.amdhsa_group_segment_fixed_size 512
		.amdhsa_private_segment_fixed_size 0
		.amdhsa_kernarg_size 144
		.amdhsa_user_sgpr_count 2
		.amdhsa_user_sgpr_dispatch_ptr 0
		.amdhsa_user_sgpr_queue_ptr 0
		.amdhsa_user_sgpr_kernarg_segment_ptr 1
		.amdhsa_user_sgpr_dispatch_id 0
		.amdhsa_user_sgpr_kernarg_preload_length 0
		.amdhsa_user_sgpr_kernarg_preload_offset 0
		.amdhsa_user_sgpr_private_segment_size 0
		.amdhsa_uses_dynamic_stack 0
		.amdhsa_enable_private_segment 0
		.amdhsa_system_sgpr_workgroup_id_x 1
		.amdhsa_system_sgpr_workgroup_id_y 1
		.amdhsa_system_sgpr_workgroup_id_z 1
		.amdhsa_system_sgpr_workgroup_info 0
		.amdhsa_system_vgpr_workitem_id 1
		.amdhsa_next_free_vgpr 40
		.amdhsa_next_free_sgpr 44
		.amdhsa_accum_offset 40
		.amdhsa_reserve_vcc 1
		.amdhsa_float_round_mode_32 0
		.amdhsa_float_round_mode_16_64 0
		.amdhsa_float_denorm_mode_32 3
		.amdhsa_float_denorm_mode_16_64 3
		.amdhsa_dx10_clamp 1
		.amdhsa_ieee_mode 1
		.amdhsa_fp16_overflow 0
		.amdhsa_tg_split 0
		.amdhsa_exception_fp_ieee_invalid_op 0
		.amdhsa_exception_fp_denorm_src 0
		.amdhsa_exception_fp_ieee_div_zero 0
		.amdhsa_exception_fp_ieee_overflow 0
		.amdhsa_exception_fp_ieee_underflow 0
		.amdhsa_exception_fp_ieee_inexact 0
		.amdhsa_exception_int_div_zero 0
	.end_amdhsa_kernel
	.section	.text._ZL13mul_mat_vec_qIL9ggml_type12ELi1ELb1ELb0EEvPKvS2_PKi31ggml_cuda_mm_fusion_args_devicePfj15HIP_vector_typeIjLj3EEjjjS8_jjjS8_jjjj,"axG",@progbits,_ZL13mul_mat_vec_qIL9ggml_type12ELi1ELb1ELb0EEvPKvS2_PKi31ggml_cuda_mm_fusion_args_devicePfj15HIP_vector_typeIjLj3EEjjjS8_jjjS8_jjjj,comdat
.Lfunc_end123:
	.size	_ZL13mul_mat_vec_qIL9ggml_type12ELi1ELb1ELb0EEvPKvS2_PKi31ggml_cuda_mm_fusion_args_devicePfj15HIP_vector_typeIjLj3EEjjjS8_jjjS8_jjjj, .Lfunc_end123-_ZL13mul_mat_vec_qIL9ggml_type12ELi1ELb1ELb0EEvPKvS2_PKi31ggml_cuda_mm_fusion_args_devicePfj15HIP_vector_typeIjLj3EEjjjS8_jjjS8_jjjj
                                        ; -- End function
	.section	.AMDGPU.csdata,"",@progbits
; Kernel info:
; codeLenInByte = 3080
; NumSgprs: 50
; NumVgprs: 40
; NumAgprs: 0
; TotalNumVgprs: 40
; ScratchSize: 0
; MemoryBound: 0
; FloatMode: 240
; IeeeMode: 1
; LDSByteSize: 512 bytes/workgroup (compile time only)
; SGPRBlocks: 6
; VGPRBlocks: 4
; NumSGPRsForWavesPerEU: 50
; NumVGPRsForWavesPerEU: 40
; AccumOffset: 40
; Occupancy: 8
; WaveLimiterHint : 0
; COMPUTE_PGM_RSRC2:SCRATCH_EN: 0
; COMPUTE_PGM_RSRC2:USER_SGPR: 2
; COMPUTE_PGM_RSRC2:TRAP_HANDLER: 0
; COMPUTE_PGM_RSRC2:TGID_X_EN: 1
; COMPUTE_PGM_RSRC2:TGID_Y_EN: 1
; COMPUTE_PGM_RSRC2:TGID_Z_EN: 1
; COMPUTE_PGM_RSRC2:TIDIG_COMP_CNT: 1
; COMPUTE_PGM_RSRC3_GFX90A:ACCUM_OFFSET: 9
; COMPUTE_PGM_RSRC3_GFX90A:TG_SPLIT: 0
	.section	.text._ZL13mul_mat_vec_qIL9ggml_type12ELi1ELb0ELb0EEvPKvS2_PKi31ggml_cuda_mm_fusion_args_devicePfj15HIP_vector_typeIjLj3EEjjjS8_jjjS8_jjjj,"axG",@progbits,_ZL13mul_mat_vec_qIL9ggml_type12ELi1ELb0ELb0EEvPKvS2_PKi31ggml_cuda_mm_fusion_args_devicePfj15HIP_vector_typeIjLj3EEjjjS8_jjjS8_jjjj,comdat
	.globl	_ZL13mul_mat_vec_qIL9ggml_type12ELi1ELb0ELb0EEvPKvS2_PKi31ggml_cuda_mm_fusion_args_devicePfj15HIP_vector_typeIjLj3EEjjjS8_jjjS8_jjjj ; -- Begin function _ZL13mul_mat_vec_qIL9ggml_type12ELi1ELb0ELb0EEvPKvS2_PKi31ggml_cuda_mm_fusion_args_devicePfj15HIP_vector_typeIjLj3EEjjjS8_jjjS8_jjjj
	.p2align	8
	.type	_ZL13mul_mat_vec_qIL9ggml_type12ELi1ELb0ELb0EEvPKvS2_PKi31ggml_cuda_mm_fusion_args_devicePfj15HIP_vector_typeIjLj3EEjjjS8_jjjS8_jjjj,@function
_ZL13mul_mat_vec_qIL9ggml_type12ELi1ELb0ELb0EEvPKvS2_PKi31ggml_cuda_mm_fusion_args_devicePfj15HIP_vector_typeIjLj3EEjjjS8_jjjS8_jjjj: ; @_ZL13mul_mat_vec_qIL9ggml_type12ELi1ELb0ELb0EEvPKvS2_PKi31ggml_cuda_mm_fusion_args_devicePfj15HIP_vector_typeIjLj3EEjjjS8_jjjS8_jjjj
; %bb.0:
	s_load_dwordx2 s[8:9], s[0:1], 0x10
	s_load_dwordx4 s[16:19], s[0:1], 0x40
	s_mov_b32 s20, s3
	s_mov_b64 s[12:13], 0
	s_waitcnt lgkmcnt(0)
	s_cmp_lg_u64 s[8:9], 0
	s_cselect_b64 s[6:7], -1, 0
	s_cmp_eq_u64 s[8:9], 0
	s_cbranch_scc1 .LBB124_5
; %bb.1:
	s_mov_b32 s21, 0
	s_lshl_b64 s[10:11], s[20:21], 2
	s_add_u32 s8, s8, s10
	s_addc_u32 s9, s9, s11
	s_load_dword s5, s[8:9], 0x0
	s_nop 0
	s_load_dwordx4 s[8:11], s[0:1], 0x68
	s_load_dword s21, s[0:1], 0x50
	s_andn2_b64 vcc, exec, s[12:13]
	s_cbranch_vccnz .LBB124_3
.LBB124_2:
	s_load_dwordx2 s[12:13], s[0:1], 0x5c
	s_waitcnt lgkmcnt(0)
	s_mul_hi_u32 s3, s12, s20
	s_add_i32 s3, s20, s3
	s_lshr_b32 s5, s3, s13
.LBB124_3:
	s_load_dword s24, s[0:1], 0x78
	s_andn2_b64 vcc, exec, s[6:7]
	s_cbranch_vccnz .LBB124_6
; %bb.4:
	s_mul_hi_u32 s3, s17, s20
	s_add_i32 s3, s20, s3
	s_lshr_b32 s3, s3, s18
	s_mul_i32 s3, s3, s19
	s_sub_i32 s6, s20, s3
	s_branch .LBB124_7
.LBB124_5:
                                        ; implicit-def: $sgpr5
	s_load_dwordx4 s[8:11], s[0:1], 0x68
	s_load_dword s21, s[0:1], 0x50
	s_branch .LBB124_2
.LBB124_6:
	s_mov_b32 s6, s20
.LBB124_7:
	s_load_dwordx4 s[12:15], s[0:1], 0x80
	v_bfe_u32 v15, v0, 10, 10
	v_and_b32_e32 v14, 0x3ff, v0
	v_lshl_add_u32 v4, v15, 6, v14
	s_lshr_b32 s3, s16, 8
	v_lshrrev_b32_e32 v16, 4, v4
	v_cmp_gt_u32_e32 vcc, s3, v16
	v_mov_b32_e32 v17, 0
	s_and_saveexec_b64 s[22:23], vcc
	s_cbranch_execz .LBB124_15
; %bb.8:
	s_waitcnt lgkmcnt(0)
	s_mul_i32 s5, s5, s8
	s_mul_hi_u32 s8, s11, s4
	s_add_i32 s8, s4, s8
	s_load_dwordx4 s[16:19], s[0:1], 0x0
	s_lshr_b32 s8, s8, s24
	v_lshlrev_b32_e32 v0, 1, v14
	s_mul_i32 s8, s8, s12
	v_and_b32_e32 v5, 30, v0
	v_lshrrev_b32_e32 v6, 4, v4
	v_bfe_u32 v4, v14, 2, 2
	s_mul_i32 s7, s2, s21
	s_mul_i32 s9, s6, s9
	v_cmp_lt_u32_e32 vcc, 15, v5
	s_add_i32 s5, s8, s5
	v_mul_hi_u32_u24_e32 v5, 0x48, v4
	v_mul_u32_u24_e32 v4, 0x48, v4
	s_movk_i32 s6, 0x120
	s_mul_i32 s11, s4, s13
	s_add_i32 s5, s5, s7
	v_mad_u64_u32 v[4:5], s[6:7], v6, s6, v[4:5]
	s_mul_hi_u32 s6, s11, 36
	s_mul_i32 s11, s11, 36
	s_waitcnt lgkmcnt(0)
	s_add_u32 s8, s18, s11
	s_mul_hi_u32 s7, s9, 36
	s_mul_i32 s9, s9, 36
	s_addc_u32 s11, s19, s6
	s_add_u32 s6, s8, s9
	s_addc_u32 s7, s11, s7
	v_bfe_u32 v8, v0, 3, 2
	v_mov_b32_e32 v1, 0
	v_and_b32_e32 v2, 3, v14
	v_lshl_add_u64 v[4:5], s[6:7], 0, v[4:5]
	v_lshlrev_b32_e32 v0, 5, v8
	v_lshlrev_b32_e32 v2, 2, v2
	v_mov_b32_e32 v3, v1
	v_lshl_add_u64 v[4:5], v[4:5], 0, 36
	s_mov_b64 s[8:9], 0
	s_movk_i32 s11, 0x90
	v_mov_b64_e32 v[6:7], s[16:17]
	v_lshlrev_b32_e32 v8, 1, v8
	v_mov_b32_e32 v9, v1
	s_mov_b32 s15, 0x5040100
	s_mov_b32 s16, 0x30303030
	s_mov_b64 s[12:13], 0x900
	v_mov_b32_e32 v17, v1
	s_branch .LBB124_10
.LBB124_9:                              ;   in Loop: Header=BB124_10 Depth=1
	s_or_b64 exec, exec, s[6:7]
	v_lshl_add_u64 v[12:13], v[4:5], 0, v[2:3]
	global_load_dword v21, v[4:5], off offset:-36
	global_load_dword v22, v[4:5], off
	global_load_dword v24, v[10:11], off
	global_load_dword v23, v[12:13], off offset:-32
	global_load_dword v25, v[12:13], off offset:4
	global_load_dword v26, v[12:13], off offset:-16
	global_load_dword v27, v[12:13], off offset:20
	s_waitcnt vmcnt(8)
	v_and_b32_e32 v11, 0xf0f0f0f, v19
	v_mov_b32_e32 v28, 0
	v_mov_b32_e32 v29, 0
	v_lshrrev_b32_e32 v19, 4, v19
	v_pk_lshrrev_b16 v10, 8, v20 op_sel_hi:[0,1]
	s_waitcnt vmcnt(7)
	v_and_b32_e32 v13, 0xf0f0f0f, v18
	v_and_b32_e32 v12, 0xff00ff, v20
	v_lshrrev_b32_e32 v18, 4, v18
	v_mov_b32_e32 v20, 0
	v_mov_b32_e32 v30, 0
	v_and_b32_e32 v31, 0xf0f0f0f, v19
	v_and_b32_e32 v18, 0xf0f0f0f, v18
	v_lshrrev_b32_e32 v34, 16, v12
	v_and_b32_e32 v35, 0xff, v12
	v_lshrrev_b32_e32 v32, 16, v10
	v_and_b32_e32 v33, 0xff, v10
	v_add_u32_e32 v16, 8, v16
	v_cmp_le_u32_e64 s[6:7], s3, v16
	s_or_b64 s[8:9], s[6:7], s[8:9]
	v_lshl_add_u64 v[4:5], v[4:5], 0, s[12:13]
	s_waitcnt vmcnt(6)
	v_cvt_f32_f16_e32 v10, v21
	s_waitcnt vmcnt(5)
	v_cvt_f32_f16_e32 v12, v22
	s_waitcnt vmcnt(4)
	v_cvt_f32_f16_sdwa v19, v24 dst_sel:DWORD dst_unused:UNUSED_PAD src0_sel:WORD_1
	s_waitcnt vmcnt(3)
	v_dot4c_i32_i8_e32 v28, v11, v23
	v_dot4c_i32_i8_e32 v29, 0x1010101, v23
	s_waitcnt vmcnt(2)
	v_dot4c_i32_i8_e32 v20, v31, v25
	v_dot4c_i32_i8_e32 v30, 0x1010101, v25
	;; [unrolled: 3-line block ×4, first 2 shown]
	v_mul_lo_u32 v11, v28, v35
	v_mul_lo_u32 v13, v29, v34
	;; [unrolled: 1-line block ×4, first 2 shown]
	v_cvt_f32_i32_e32 v21, v13
	v_cvt_f32_i32_e32 v20, v11
	v_cvt_f32_i32_e32 v23, v22
	v_cvt_f32_i32_e32 v22, v18
	v_cvt_f32_f16_e32 v18, v24
	v_pk_fma_f32 v[10:11], v[10:11], v[20:21], 0 op_sel_hi:[0,1,0]
	v_pk_fma_f32 v[10:11], v[12:13], v[22:23], v[10:11] op_sel_hi:[0,1,1]
	v_pk_mul_f32 v[10:11], v[10:11], v[18:19]
	s_nop 0
	v_sub_f32_e32 v10, v10, v11
	v_add_f32_e32 v17, v17, v10
	s_andn2_b64 exec, exec, s[8:9]
	s_cbranch_execz .LBB124_14
.LBB124_10:                             ; =>This Inner Loop Header: Depth=1
	v_add_u32_e32 v10, s5, v16
	v_mad_i64_i32 v[10:11], s[6:7], v10, s11, v[6:7]
	v_lshl_add_u64 v[12:13], v[10:11], 0, v[0:1]
	v_lshl_add_u64 v[12:13], v[12:13], 0, v[2:3]
	global_load_dword v19, v[12:13], off offset:16
	global_load_dword v18, v[12:13], off offset:32
	v_lshl_add_u64 v[12:13], v[10:11], 0, v[8:9]
                                        ; implicit-def: $vgpr20
	s_and_saveexec_b64 s[6:7], vcc
	s_xor_b64 s[6:7], exec, s[6:7]
	s_cbranch_execz .LBB124_12
; %bb.11:                               ;   in Loop: Header=BB124_10 Depth=1
	global_load_ushort v20, v[12:13], off
	global_load_ushort v21, v[12:13], off offset:8
	global_load_ushort v22, v[12:13], off offset:4
	s_waitcnt vmcnt(1)
	v_lshrrev_b16_e32 v12, 4, v21
	s_waitcnt vmcnt(0)
	v_perm_b32 v13, v22, v20, s15
	v_perm_b32 v12, v12, v21, s15
	v_and_b32_e32 v12, 0xf0f0f0f, v12
	v_pk_lshrrev_b16 v13, 2, v13 op_sel_hi:[0,1]
	v_and_or_b32 v20, v13, s16, v12
                                        ; implicit-def: $vgpr12_vgpr13
.LBB124_12:                             ;   in Loop: Header=BB124_10 Depth=1
	s_andn2_saveexec_b64 s[6:7], s[6:7]
	s_cbranch_execz .LBB124_9
; %bb.13:                               ;   in Loop: Header=BB124_10 Depth=1
	global_load_ushort v20, v[12:13], off offset:4
	global_load_ushort v21, v[12:13], off offset:8
	s_waitcnt vmcnt(0)
	v_perm_b32 v12, v21, v20, s15
	v_and_b32_e32 v20, 0x3f3f3f3f, v12
	s_branch .LBB124_9
.LBB124_14:
	s_or_b64 exec, exec, s[8:9]
.LBB124_15:
	s_or_b64 exec, exec, s[22:23]
	v_cmp_eq_u32_e32 vcc, 0, v15
	v_cmp_ne_u32_e64 s[6:7], 0, v15
	v_lshlrev_b32_e32 v0, 2, v14
	s_waitcnt lgkmcnt(0)
	s_and_saveexec_b64 s[8:9], s[6:7]
	s_cbranch_execz .LBB124_17
; %bb.16:
	v_lshlrev_b32_e32 v1, 8, v15
	s_movk_i32 s3, 0xff00
	v_add3_u32 v1, v1, v0, s3
	ds_write_b32 v1, v17
.LBB124_17:
	s_or_b64 exec, exec, s[8:9]
	s_waitcnt lgkmcnt(0)
	s_barrier
	s_and_saveexec_b64 s[6:7], vcc
	s_cbranch_execz .LBB124_20
; %bb.18:
	v_mbcnt_lo_u32_b32 v1, -1, 0
	ds_read_b32 v0, v0
	v_mbcnt_hi_u32_b32 v1, -1, v1
	v_and_b32_e32 v2, 64, v1
	v_add_u32_e32 v2, 64, v2
	v_xor_b32_e32 v3, 32, v1
	v_cmp_lt_i32_e32 vcc, v3, v2
	s_waitcnt lgkmcnt(0)
	v_add_f32_e32 v0, v17, v0
	s_mov_b32 s3, 0
	v_cndmask_b32_e32 v3, v1, v3, vcc
	v_lshlrev_b32_e32 v3, 2, v3
	ds_bpermute_b32 v3, v3, v0
	s_waitcnt lgkmcnt(0)
	v_add_f32_e32 v0, v0, v3
	v_xor_b32_e32 v3, 16, v1
	v_cmp_lt_i32_e32 vcc, v3, v2
	s_nop 1
	v_cndmask_b32_e32 v3, v1, v3, vcc
	v_lshlrev_b32_e32 v3, 2, v3
	ds_bpermute_b32 v3, v3, v0
	s_waitcnt lgkmcnt(0)
	v_add_f32_e32 v0, v0, v3
	v_xor_b32_e32 v3, 8, v1
	v_cmp_lt_i32_e32 vcc, v3, v2
	s_nop 1
	v_cndmask_b32_e32 v3, v1, v3, vcc
	v_lshlrev_b32_e32 v3, 2, v3
	ds_bpermute_b32 v3, v3, v0
	s_waitcnt lgkmcnt(0)
	v_add_f32_e32 v0, v0, v3
	v_xor_b32_e32 v3, 4, v1
	v_cmp_lt_i32_e32 vcc, v3, v2
	s_nop 1
	v_cndmask_b32_e32 v3, v1, v3, vcc
	v_lshlrev_b32_e32 v3, 2, v3
	ds_bpermute_b32 v3, v3, v0
	s_waitcnt lgkmcnt(0)
	v_add_f32_e32 v0, v0, v3
	v_xor_b32_e32 v3, 2, v1
	v_cmp_lt_i32_e32 vcc, v3, v2
	s_nop 1
	v_cndmask_b32_e32 v3, v1, v3, vcc
	v_lshlrev_b32_e32 v3, 2, v3
	ds_bpermute_b32 v3, v3, v0
	s_waitcnt lgkmcnt(0)
	v_add_f32_e32 v0, v0, v3
	v_xor_b32_e32 v3, 1, v1
	v_cmp_lt_i32_e32 vcc, v3, v2
	s_nop 1
	v_cndmask_b32_e32 v1, v1, v3, vcc
	v_lshlrev_b32_e32 v1, 2, v1
	ds_bpermute_b32 v1, v1, v0
	v_cmp_eq_u32_e32 vcc, 0, v14
	s_and_b64 exec, exec, vcc
	s_cbranch_execz .LBB124_20
; %bb.19:
	s_load_dwordx2 s[0:1], s[0:1], 0x38
	s_mul_i32 s5, s20, s10
	s_mul_i32 s4, s4, s14
	s_add_i32 s2, s5, s2
	s_add_i32 s2, s2, s4
	s_lshl_b64 s[2:3], s[2:3], 2
	s_waitcnt lgkmcnt(0)
	s_add_u32 s0, s0, s2
	s_addc_u32 s1, s1, s3
	v_mov_b32_e32 v2, 0
	v_add_f32_e32 v0, v0, v1
	global_store_dword v2, v0, s[0:1]
.LBB124_20:
	s_endpgm
	.section	.rodata,"a",@progbits
	.p2align	6, 0x0
	.amdhsa_kernel _ZL13mul_mat_vec_qIL9ggml_type12ELi1ELb0ELb0EEvPKvS2_PKi31ggml_cuda_mm_fusion_args_devicePfj15HIP_vector_typeIjLj3EEjjjS8_jjjS8_jjjj
		.amdhsa_group_segment_fixed_size 256
		.amdhsa_private_segment_fixed_size 0
		.amdhsa_kernarg_size 144
		.amdhsa_user_sgpr_count 2
		.amdhsa_user_sgpr_dispatch_ptr 0
		.amdhsa_user_sgpr_queue_ptr 0
		.amdhsa_user_sgpr_kernarg_segment_ptr 1
		.amdhsa_user_sgpr_dispatch_id 0
		.amdhsa_user_sgpr_kernarg_preload_length 0
		.amdhsa_user_sgpr_kernarg_preload_offset 0
		.amdhsa_user_sgpr_private_segment_size 0
		.amdhsa_uses_dynamic_stack 0
		.amdhsa_enable_private_segment 0
		.amdhsa_system_sgpr_workgroup_id_x 1
		.amdhsa_system_sgpr_workgroup_id_y 1
		.amdhsa_system_sgpr_workgroup_id_z 1
		.amdhsa_system_sgpr_workgroup_info 0
		.amdhsa_system_vgpr_workitem_id 1
		.amdhsa_next_free_vgpr 36
		.amdhsa_next_free_sgpr 25
		.amdhsa_accum_offset 36
		.amdhsa_reserve_vcc 1
		.amdhsa_float_round_mode_32 0
		.amdhsa_float_round_mode_16_64 0
		.amdhsa_float_denorm_mode_32 3
		.amdhsa_float_denorm_mode_16_64 3
		.amdhsa_dx10_clamp 1
		.amdhsa_ieee_mode 1
		.amdhsa_fp16_overflow 0
		.amdhsa_tg_split 0
		.amdhsa_exception_fp_ieee_invalid_op 0
		.amdhsa_exception_fp_denorm_src 0
		.amdhsa_exception_fp_ieee_div_zero 0
		.amdhsa_exception_fp_ieee_overflow 0
		.amdhsa_exception_fp_ieee_underflow 0
		.amdhsa_exception_fp_ieee_inexact 0
		.amdhsa_exception_int_div_zero 0
	.end_amdhsa_kernel
	.section	.text._ZL13mul_mat_vec_qIL9ggml_type12ELi1ELb0ELb0EEvPKvS2_PKi31ggml_cuda_mm_fusion_args_devicePfj15HIP_vector_typeIjLj3EEjjjS8_jjjS8_jjjj,"axG",@progbits,_ZL13mul_mat_vec_qIL9ggml_type12ELi1ELb0ELb0EEvPKvS2_PKi31ggml_cuda_mm_fusion_args_devicePfj15HIP_vector_typeIjLj3EEjjjS8_jjjS8_jjjj,comdat
.Lfunc_end124:
	.size	_ZL13mul_mat_vec_qIL9ggml_type12ELi1ELb0ELb0EEvPKvS2_PKi31ggml_cuda_mm_fusion_args_devicePfj15HIP_vector_typeIjLj3EEjjjS8_jjjS8_jjjj, .Lfunc_end124-_ZL13mul_mat_vec_qIL9ggml_type12ELi1ELb0ELb0EEvPKvS2_PKi31ggml_cuda_mm_fusion_args_devicePfj15HIP_vector_typeIjLj3EEjjjS8_jjjS8_jjjj
                                        ; -- End function
	.section	.AMDGPU.csdata,"",@progbits
; Kernel info:
; codeLenInByte = 1448
; NumSgprs: 31
; NumVgprs: 36
; NumAgprs: 0
; TotalNumVgprs: 36
; ScratchSize: 0
; MemoryBound: 0
; FloatMode: 240
; IeeeMode: 1
; LDSByteSize: 256 bytes/workgroup (compile time only)
; SGPRBlocks: 3
; VGPRBlocks: 4
; NumSGPRsForWavesPerEU: 31
; NumVGPRsForWavesPerEU: 36
; AccumOffset: 36
; Occupancy: 8
; WaveLimiterHint : 0
; COMPUTE_PGM_RSRC2:SCRATCH_EN: 0
; COMPUTE_PGM_RSRC2:USER_SGPR: 2
; COMPUTE_PGM_RSRC2:TRAP_HANDLER: 0
; COMPUTE_PGM_RSRC2:TGID_X_EN: 1
; COMPUTE_PGM_RSRC2:TGID_Y_EN: 1
; COMPUTE_PGM_RSRC2:TGID_Z_EN: 1
; COMPUTE_PGM_RSRC2:TIDIG_COMP_CNT: 1
; COMPUTE_PGM_RSRC3_GFX90A:ACCUM_OFFSET: 8
; COMPUTE_PGM_RSRC3_GFX90A:TG_SPLIT: 0
	.section	.text._ZL13mul_mat_vec_qIL9ggml_type12ELi2ELb0ELb0EEvPKvS2_PKi31ggml_cuda_mm_fusion_args_devicePfj15HIP_vector_typeIjLj3EEjjjS8_jjjS8_jjjj,"axG",@progbits,_ZL13mul_mat_vec_qIL9ggml_type12ELi2ELb0ELb0EEvPKvS2_PKi31ggml_cuda_mm_fusion_args_devicePfj15HIP_vector_typeIjLj3EEjjjS8_jjjS8_jjjj,comdat
	.globl	_ZL13mul_mat_vec_qIL9ggml_type12ELi2ELb0ELb0EEvPKvS2_PKi31ggml_cuda_mm_fusion_args_devicePfj15HIP_vector_typeIjLj3EEjjjS8_jjjS8_jjjj ; -- Begin function _ZL13mul_mat_vec_qIL9ggml_type12ELi2ELb0ELb0EEvPKvS2_PKi31ggml_cuda_mm_fusion_args_devicePfj15HIP_vector_typeIjLj3EEjjjS8_jjjS8_jjjj
	.p2align	8
	.type	_ZL13mul_mat_vec_qIL9ggml_type12ELi2ELb0ELb0EEvPKvS2_PKi31ggml_cuda_mm_fusion_args_devicePfj15HIP_vector_typeIjLj3EEjjjS8_jjjS8_jjjj,@function
_ZL13mul_mat_vec_qIL9ggml_type12ELi2ELb0ELb0EEvPKvS2_PKi31ggml_cuda_mm_fusion_args_devicePfj15HIP_vector_typeIjLj3EEjjjS8_jjjS8_jjjj: ; @_ZL13mul_mat_vec_qIL9ggml_type12ELi2ELb0ELb0EEvPKvS2_PKi31ggml_cuda_mm_fusion_args_devicePfj15HIP_vector_typeIjLj3EEjjjS8_jjjS8_jjjj
; %bb.0:
	s_load_dwordx2 s[20:21], s[0:1], 0x4
	s_load_dword s7, s[2:3], 0x40
	s_load_dwordx4 s[8:11], s[2:3], 0x50
	s_load_dword s27, s[2:3], 0x60
	s_load_dwordx4 s[12:15], s[2:3], 0x68
	;; [unrolled: 2-line block ×3, first 2 shown]
	s_waitcnt lgkmcnt(0)
	s_lshr_b32 s0, s20, 16
	v_bfe_u32 v26, v0, 10, 10
	v_and_b32_e32 v24, 0x3ff, v0
	s_mul_i32 s0, s0, s21
	v_mul_u32_u24_e32 v1, s21, v26
	v_mad_u32_u24 v1, s0, v24, v1
	v_bfe_u32 v0, v0, 20, 10
	v_lshl_add_u32 v5, v26, 6, v24
	v_add_lshl_u32 v4, v1, v0, 4
	s_lshr_b32 s7, s7, 8
	v_mov_b32_e32 v0, 0
	v_lshrrev_b32_e32 v27, 4, v5
	v_add_u32_e32 v25, 0x400, v4
	s_lshl_b32 s4, s4, 1
	v_mov_b32_e32 v1, v0
	v_mov_b32_e32 v2, v0
	;; [unrolled: 1-line block ×3, first 2 shown]
	v_cmp_gt_u32_e32 vcc, s7, v27
	ds_write_b128 v4, v[0:3] offset:1024
	s_and_saveexec_b64 s[24:25], vcc
	s_cbranch_execz .LBB125_20
; %bb.1:
	s_mul_hi_u32 s0, s11, s5
	s_add_i32 s0, s5, s0
	s_lshr_b32 s0, s0, s27
	s_load_dwordx4 s[20:23], s[2:3], 0x0
	s_mul_i32 s11, s0, s12
	s_mul_hi_u32 s0, s15, s6
	s_add_i32 s0, s6, s0
	s_lshr_b32 s0, s0, s26
	s_mul_i32 s15, s0, s16
	s_mul_i32 s0, s6, s17
	s_mul_hi_u32 s1, s0, 36
	s_mul_i32 s0, s0, 36
	s_waitcnt lgkmcnt(0)
	s_add_u32 s0, s22, s0
	s_mul_i32 s12, s5, s13
	s_addc_u32 s1, s23, s1
	s_mul_hi_u32 s13, s12, 36
	s_mul_i32 s12, s12, 36
	v_lshlrev_b32_e32 v0, 1, v24
	s_add_u32 s0, s0, s12
	v_and_b32_e32 v1, 30, v0
	v_bfe_u32 v0, v0, 3, 2
	s_addc_u32 s1, s1, s13
	v_cmp_lt_u32_e32 vcc, 15, v1
	v_lshlrev_b32_e32 v1, 1, v0
	v_mad_u64_u32 v[10:11], s[12:13], v1, 36, s[0:1]
	v_bfe_u32 v1, v24, 2, 2
	v_mul_hi_u32_u24_e32 v13, 0x48, v1
	v_mul_u32_u24_e32 v12, 0x48, v1
	s_movk_i32 s12, 0x120
	v_mad_u64_u32 v[12:13], s[12:13], v27, s12, v[12:13]
	v_lshl_add_u64 v[12:13], s[0:1], 0, v[12:13]
	s_add_i32 s0, s4, 1
	v_mov_b32_e32 v7, 0
	v_and_b32_e32 v2, 3, v24
	s_mul_i32 s16, s4, s8
	s_add_i32 s15, s15, s11
	s_mul_i32 s0, s8, s0
	v_lshlrev_b32_e32 v4, 5, v0
	v_mov_b32_e32 v5, v7
	v_lshlrev_b32_e32 v8, 2, v2
	v_mov_b32_e32 v9, v7
	v_lshl_add_u64 v[12:13], v[12:13], 0, 36
	s_add_i32 s11, s15, s16
	v_lshl_add_u32 v28, v27, 3, s9
	s_add_i32 s15, s15, s0
	s_mov_b64 s[8:9], 0
	s_movk_i32 s16, 0x90
	v_mov_b64_e32 v[14:15], s[20:21]
	v_lshlrev_b32_e32 v6, 1, v0
	s_mov_b32 s17, 0x5040100
	s_mov_b32 s19, 0x20004
	;; [unrolled: 1-line block ×4, first 2 shown]
	v_lshlrev_b32_e32 v16, 2, v2
	s_mov_b32 s26, 0xffff
	s_mov_b32 s27, 0x40002
	s_mov_b64 s[12:13], 0x900
	v_mov_b32_e32 v3, v7
	v_mov_b32_e32 v2, v7
	;; [unrolled: 1-line block ×4, first 2 shown]
	s_branch .LBB125_3
.LBB125_2:                              ;   in Loop: Header=BB125_3 Depth=1
	s_or_b64 exec, exec, s[0:1]
	s_waitcnt vmcnt(11)
	v_and_b32_e32 v47, 0xf0f0f0f, v40
	v_mov_b32_e32 v53, v7
	v_mov_b32_e32 v19, v7
	s_waitcnt vmcnt(10)
	v_and_b32_e32 v49, 0xf0f0f0f, v39
	s_waitcnt vmcnt(1)
	v_dot4c_i32_i8_e32 v53, v47, v41
	v_dot4c_i32_i8_e32 v19, 0x1010101, v41
	v_mov_b32_e32 v21, v7
	v_lshrrev_b32_e32 v40, 4, v40
	v_lshrrev_b32_e32 v39, 4, v39
	v_dot4c_i32_i8_e32 v53, v49, v22
	v_and_b32_e32 v54, 0xff, v48
	v_dot4c_i32_i8_e32 v19, 0x1010101, v22
	v_dot4c_i32_i8_e32 v21, 0x1010101, v23
	v_and_b32_e32 v40, 0xf0f0f0f, v40
	v_and_b32_e32 v50, 0xf0f0f0f, v39
	v_lshrrev_b32_e32 v39, 24, v48
	v_lshrrev_b16_e32 v52, 8, v48
	v_mul_lo_u32 v53, v53, v54
	v_bfe_u32 v48, v48, 16, 8
	v_mov_b32_e32 v54, v7
	v_dot4c_i32_i8_e32 v21, 0x1010101, v17
	v_mul_lo_u32 v48, v19, v48
	v_dot4c_i32_i8_e32 v54, v40, v23
	v_cvt_f32_i32_e32 v53, v53
	v_cvt_f32_i32_e32 v48, v48
	v_dot4c_i32_i8_e32 v54, v50, v17
	v_mul_lo_u32 v39, v21, v39
	v_cvt_f32_i32_e32 v39, v39
	v_cvt_f32_f16_sdwa v51, v35 dst_sel:DWORD dst_unused:UNUSED_PAD src0_sel:WORD_1
	v_mul_lo_u32 v52, v54, v52
	v_cvt_f32_i32_e32 v52, v52
	v_cvt_f32_f16_e32 v20, v45
	v_fma_mix_f32 v53, v45, v53, 0 op_sel_hi:[1,0,0]
	v_fma_mix_f32 v45, v45, v48, 0 op_sel_hi:[1,0,0]
	s_waitcnt vmcnt(0)
	v_fma_mix_f32 v48, v46, v52, v53 op_sel_hi:[1,0,0]
	v_fma_mix_f32 v39, v46, v39, v45 op_sel_hi:[1,0,0]
	v_and_b32_e32 v52, 0xf0f0f0f, v37
	v_mul_f32_e32 v39, v39, v51
	v_fma_mix_f32 v39, v48, v35, -v39 op_sel_hi:[0,1,0]
	v_add_f32_e32 v2, v2, v39
	v_and_b32_e32 v48, 0xf0f0f0f, v38
	v_mov_b32_e32 v39, v7
	v_dot4c_i32_i8_e32 v39, v48, v34
	v_dot4c_i32_i8_e32 v39, v52, v33
	v_bfe_u32 v53, v42, 16, 8
	v_mov_b32_e32 v45, v7
	v_dot4c_i32_i8_e32 v45, 0x1010101, v34
	v_mul_lo_u32 v39, v39, v53
	v_cvt_f32_i32_e32 v39, v39
	v_dot4c_i32_i8_e32 v45, 0x1010101, v33
	v_cvt_f32_f16_e32 v44, v46
	v_mov_b32_e32 v46, v7
	v_fma_mix_f32 v55, v29, v39, 0 op_sel_hi:[1,0,0]
	v_and_b32_e32 v39, 0xff, v42
	v_mul_lo_u32 v39, v45, v39
	v_lshrrev_b32_e32 v38, 4, v38
	v_dot4c_i32_i8_e32 v46, 0x1010101, v32
	v_lshrrev_b16_e32 v53, 8, v42
	v_lshrrev_b32_e32 v54, 24, v42
	v_cvt_f32_i32_e32 v39, v39
	v_and_b32_e32 v42, 0xf0f0f0f, v38
	v_lshrrev_b32_e32 v37, 4, v37
	v_mov_b32_e32 v38, v7
	v_dot4c_i32_i8_e32 v46, 0x1010101, v31
	v_and_b32_e32 v37, 0xf0f0f0f, v37
	v_dot4c_i32_i8_e32 v38, v42, v32
	v_dot4c_i32_i8_e32 v38, v37, v31
	v_mul_lo_u32 v53, v46, v53
	v_cvt_f32_i32_e32 v53, v53
	v_add_u32_e32 v27, 8, v27
	v_mul_lo_u32 v38, v38, v54
	v_cvt_f32_i32_e32 v38, v38
	v_fma_mix_f32 v54, v29, v39, 0 op_sel_hi:[1,0,0]
	v_cvt_f32_f16_sdwa v39, v43 dst_sel:DWORD dst_unused:UNUSED_PAD src0_sel:WORD_1
	v_fma_mix_f32 v53, v30, v53, v54 op_sel_hi:[1,0,0]
	v_fma_mix_f32 v55, v30, v38, v55 op_sel_hi:[1,0,0]
	v_mov_b32_e32 v54, v7
	v_mul_f32_e32 v53, v53, v39
	v_cvt_f32_f16_e32 v38, v43
	v_fma_mix_f32 v43, v55, v43, -v53 op_sel_hi:[0,1,0]
	v_dot4c_i32_i8_e32 v54, v47, v34
	v_add_f32_e32 v1, v1, v43
	v_lshrrev_b16_e32 v43, 8, v36
	v_lshrrev_b32_e32 v53, 24, v36
	v_dot4c_i32_i8_e32 v54, v49, v33
	v_bfe_u32 v33, v36, 16, 8
	v_and_b32_e32 v34, 0xff, v36
	v_mov_b32_e32 v36, v7
	v_dot4c_i32_i8_e32 v36, v40, v32
	v_mul_lo_u32 v33, v54, v33
	v_mul_lo_u32 v34, v45, v34
	v_dot4c_i32_i8_e32 v36, v50, v31
	v_cvt_f32_i32_e32 v33, v33
	v_cvt_f32_i32_e32 v34, v34
	v_mul_lo_u32 v32, v46, v43
	v_mul_lo_u32 v31, v36, v53
	v_cvt_f32_i32_e32 v31, v31
	v_cvt_f32_i32_e32 v32, v32
	v_fma_mix_f32 v33, v29, v33, 0 op_sel_hi:[1,0,0]
	v_fma_mix_f32 v29, v29, v34, 0 op_sel_hi:[1,0,0]
	;; [unrolled: 1-line block ×4, first 2 shown]
	v_mov_b32_e32 v30, v7
	v_dot4c_i32_i8_e32 v30, v48, v41
	v_dot4c_i32_i8_e32 v30, v52, v22
	v_mov_b32_e32 v22, v7
	v_dot4c_i32_i8_e32 v22, v42, v23
	v_dot4c_i32_i8_e32 v22, v37, v17
	v_pk_lshrrev_b16 v17, 8, v18 op_sel_hi:[0,1]
	v_and_b32_e32 v18, 0xff00ff, v18
	v_lshrrev_b32_e32 v32, 16, v18
	v_and_b32_e32 v18, 0xff, v18
	v_lshrrev_b32_e32 v23, 16, v17
	v_and_b32_e32 v17, 0xff, v17
	v_mul_lo_u32 v18, v30, v18
	v_mul_lo_u32 v19, v19, v32
	v_cvt_f32_i32_e32 v19, v19
	v_cvt_f32_i32_e32 v18, v18
	v_mul_lo_u32 v17, v22, v17
	v_mul_lo_u32 v21, v21, v23
	v_cvt_f32_i32_e32 v23, v21
	v_cvt_f32_i32_e32 v22, v17
	v_pk_fma_f32 v[18:19], v[20:21], v[18:19], 0 op_sel_hi:[0,1,0]
	v_mul_f32_e32 v29, v29, v51
	v_fma_mix_f32 v17, v31, v35, -v29 op_sel_hi:[0,1,0]
	v_pk_fma_f32 v[18:19], v[44:45], v[22:23], v[18:19] op_sel_hi:[0,1,1]
	v_pk_mul_f32 v[18:19], v[18:19], v[38:39]
	v_add_f32_e32 v0, v0, v17
	v_sub_f32_e32 v17, v18, v19
	v_cmp_le_u32_e64 s[0:1], s7, v27
	v_add_f32_e32 v3, v3, v17
	v_lshl_add_u64 v[12:13], v[12:13], 0, s[12:13]
	s_or_b64 s[8:9], s[0:1], s[8:9]
	v_add_u32_e32 v28, 64, v28
	s_andn2_b64 exec, exec, s[8:9]
	s_cbranch_execz .LBB125_19
.LBB125_3:                              ; =>This Inner Loop Header: Depth=1
	v_lshl_add_u64 v[18:19], v[12:13], 0, v[8:9]
	global_load_dword v29, v[12:13], off offset:-36
	global_load_dword v30, v[12:13], off
	global_load_dword v34, v[18:19], off offset:-32
	global_load_dword v33, v[18:19], off offset:-16
	global_load_dword v32, v[18:19], off offset:4
	global_load_dword v31, v[18:19], off offset:20
	v_add_u32_e32 v17, s11, v27
	v_mad_i64_i32 v[20:21], s[0:1], v17, s16, v[14:15]
	v_lshl_add_u64 v[18:19], v[20:21], 0, v[4:5]
	v_lshl_add_u64 v[18:19], v[18:19], 0, v[8:9]
	global_load_dword v40, v[18:19], off offset:16
	global_load_dword v39, v[18:19], off offset:32
	v_lshl_add_u64 v[18:19], v[20:21], 0, v[6:7]
                                        ; implicit-def: $vgpr36
                                        ; implicit-def: $vgpr44
	s_and_saveexec_b64 s[0:1], vcc
	s_xor_b64 s[0:1], exec, s[0:1]
	s_cbranch_execz .LBB125_5
; %bb.4:                                ;   in Loop: Header=BB125_3 Depth=1
	global_load_ushort v17, v[18:19], off offset:8
	global_load_ushort v22, v[18:19], off offset:4
	global_load_ushort v23, v[18:19], off
	s_waitcnt vmcnt(1)
	v_lshrrev_b16_e32 v35, 2, v22
	s_waitcnt vmcnt(0)
	v_perm_b32 v23, v23, v17, s17
	v_perm_b32 v35, v17, v35, s17
	v_pk_lshrrev_b16 v23, s19, v23
	v_and_b32_e32 v35, 0xf0f3030, v35
	v_and_or_b32 v36, v23, s22, v35
	v_perm_b32 v44, v17, v22, s17
.LBB125_5:                              ;   in Loop: Header=BB125_3 Depth=1
	s_andn2_saveexec_b64 s[0:1], s[0:1]
	s_cbranch_execz .LBB125_7
; %bb.6:                                ;   in Loop: Header=BB125_3 Depth=1
	global_load_ushort v17, v[18:19], off offset:4
	global_load_ushort v22, v[18:19], off offset:8
	s_waitcnt vmcnt(0)
	v_perm_b32 v23, v17, v22, s17
	v_and_b32_e32 v36, 0x3f3f3f3f, v23
	v_perm_b32 v44, v22, v17, s17
.LBB125_7:                              ;   in Loop: Header=BB125_3 Depth=1
	s_or_b64 exec, exec, s[0:1]
	v_add_u32_e32 v17, s15, v27
	v_mov_b64_e32 v[22:23], s[20:21]
	v_mad_i64_i32 v[22:23], s[0:1], v17, s16, v[22:23]
	v_lshl_add_u64 v[42:43], v[22:23], 0, v[4:5]
	v_lshl_add_u64 v[42:43], v[42:43], 0, v[8:9]
	global_load_dword v35, v[20:21], off
	global_load_dword v38, v[42:43], off offset:16
	global_load_dword v37, v[42:43], off offset:32
	v_lshl_add_u64 v[20:21], v[22:23], 0, v[6:7]
                                        ; implicit-def: $vgpr42
                                        ; implicit-def: $vgpr47
	s_and_saveexec_b64 s[0:1], vcc
	s_xor_b64 s[0:1], exec, s[0:1]
	s_cbranch_execz .LBB125_9
; %bb.8:                                ;   in Loop: Header=BB125_3 Depth=1
	global_load_ushort v17, v[20:21], off offset:8
	global_load_ushort v41, v[20:21], off offset:4
	global_load_ushort v42, v[20:21], off
	s_waitcnt vmcnt(1)
	v_lshrrev_b16_e32 v43, 2, v41
	s_waitcnt vmcnt(0)
	v_perm_b32 v42, v42, v17, s17
	v_perm_b32 v43, v17, v43, s17
	v_pk_lshrrev_b16 v42, s19, v42
	v_and_b32_e32 v43, 0xf0f3030, v43
	v_and_or_b32 v42, v42, s22, v43
	v_perm_b32 v47, v17, v41, s17
.LBB125_9:                              ;   in Loop: Header=BB125_3 Depth=1
	s_andn2_saveexec_b64 s[0:1], s[0:1]
	s_cbranch_execz .LBB125_11
; %bb.10:                               ;   in Loop: Header=BB125_3 Depth=1
	global_load_ushort v17, v[20:21], off offset:4
	global_load_ushort v41, v[20:21], off offset:8
	s_waitcnt vmcnt(0)
	v_perm_b32 v42, v17, v41, s17
	v_and_b32_e32 v42, 0x3f3f3f3f, v42
	v_perm_b32 v47, v41, v17, s17
.LBB125_11:                             ;   in Loop: Header=BB125_3 Depth=1
	s_or_b64 exec, exec, s[0:1]
	v_mad_u64_u32 v[48:49], s[0:1], v28, 36, v[10:11]
	v_mov_b32_e32 v17, v7
	v_lshl_add_u64 v[50:51], v[48:49], 0, v[16:17]
	global_load_dword v43, v[22:23], off
	global_load_dword v45, v[48:49], off
	s_nop 0
	global_load_dword v22, v[50:51], off offset:20
	global_load_dword v23, v[50:51], off offset:40
	;; [unrolled: 1-line block ×5, first 2 shown]
                                        ; implicit-def: $vgpr48
	s_and_saveexec_b64 s[0:1], vcc
	s_xor_b64 s[0:1], exec, s[0:1]
	s_cbranch_execz .LBB125_13
; %bb.12:                               ;   in Loop: Header=BB125_3 Depth=1
	global_load_ushort v18, v[18:19], off
	v_lshrrev_b16_e32 v19, 2, v44
	v_alignbit_b32 v19, v19, v44, 16
	v_and_b32_e32 v19, 0x30300f0f, v19
	s_waitcnt vmcnt(0)
	v_bfi_b32 v18, s26, v18, v44
	v_pk_lshrrev_b16 v18, s27, v18
                                        ; implicit-def: $vgpr44
	s_nop 0
	v_and_or_b32 v48, v18, s23, v19
	s_andn2_saveexec_b64 s[0:1], s[0:1]
	s_branch .LBB125_14
.LBB125_13:                             ;   in Loop: Header=BB125_3 Depth=1
	s_andn2_saveexec_b64 s[0:1], s[0:1]
.LBB125_14:                             ;   in Loop: Header=BB125_3 Depth=1
	v_and_b32_e32 v48, 0x3f3f3f3f, v44
; %bb.15:                               ;   in Loop: Header=BB125_3 Depth=1
	s_or_b64 exec, exec, s[0:1]
                                        ; implicit-def: $vgpr18
	s_and_saveexec_b64 s[0:1], vcc
	s_xor_b64 s[0:1], exec, s[0:1]
	s_cbranch_execz .LBB125_17
; %bb.16:                               ;   in Loop: Header=BB125_3 Depth=1
	global_load_ushort v18, v[20:21], off
	v_lshrrev_b16_e32 v19, 2, v47
	v_alignbit_b32 v19, v19, v47, 16
	v_and_b32_e32 v19, 0x30300f0f, v19
	s_waitcnt vmcnt(0)
	v_bfi_b32 v18, s26, v18, v47
	v_pk_lshrrev_b16 v18, s27, v18
                                        ; implicit-def: $vgpr47
	s_nop 0
	v_and_or_b32 v18, v18, s23, v19
	s_andn2_saveexec_b64 s[0:1], s[0:1]
	s_cbranch_execz .LBB125_2
	s_branch .LBB125_18
.LBB125_17:                             ;   in Loop: Header=BB125_3 Depth=1
	s_andn2_saveexec_b64 s[0:1], s[0:1]
	s_cbranch_execz .LBB125_2
.LBB125_18:                             ;   in Loop: Header=BB125_3 Depth=1
	v_and_b32_e32 v18, 0x3f3f3f3f, v47
	s_branch .LBB125_2
.LBB125_19:
	s_or_b64 exec, exec, s[8:9]
	ds_write_b128 v25, v[0:3]
.LBB125_20:
	s_or_b64 exec, exec, s[24:25]
	v_cmp_eq_u32_e32 vcc, 0, v26
	v_cmp_ne_u32_e64 s[0:1], 0, v26
	v_lshlrev_b32_e32 v4, 2, v24
	s_and_saveexec_b64 s[8:9], s[0:1]
	s_cbranch_execz .LBB125_22
; %bb.21:
	v_lshl_or_b32 v5, v26, 10, v4
	v_add_u32_e32 v5, 0xfffffc00, v5
	ds_write2st64_b32 v5, v0, v1 offset1:1
	ds_write2st64_b32 v5, v2, v3 offset0:2 offset1:3
.LBB125_22:
	s_or_b64 exec, exec, s[8:9]
	s_waitcnt lgkmcnt(0)
	s_barrier
	s_and_saveexec_b64 s[0:1], vcc
	s_cbranch_execz .LBB125_27
; %bb.23:
	v_mbcnt_lo_u32_b32 v0, -1, 0
	v_mbcnt_hi_u32_b32 v12, -1, v0
	ds_read2st64_b32 v[2:3], v4 offset1:1
	ds_read_b64 v[6:7], v25
	v_and_b32_e32 v0, 64, v12
	v_add_u32_e32 v13, 64, v0
	v_xor_b32_e32 v0, 32, v12
	v_cmp_lt_i32_e32 vcc, v0, v13
	s_waitcnt lgkmcnt(0)
	v_pk_add_f32 v[2:3], v[2:3], v[6:7]
	v_xor_b32_e32 v1, 16, v12
	v_cndmask_b32_e32 v0, v12, v0, vcc
	v_lshlrev_b32_e32 v0, 2, v0
	ds_bpermute_b32 v6, v0, v2
	ds_bpermute_b32 v7, v0, v3
	v_cmp_lt_i32_e32 vcc, v1, v13
	v_xor_b32_e32 v5, 2, v12
	s_load_dwordx2 s[0:1], s[2:3], 0x38
	v_cndmask_b32_e32 v1, v12, v1, vcc
	v_lshlrev_b32_e32 v1, 2, v1
	s_waitcnt lgkmcnt(0)
	v_pk_add_f32 v[6:7], v[2:3], v[6:7]
	ds_bpermute_b32 v8, v1, v6
	ds_bpermute_b32 v9, v1, v7
	v_xor_b32_e32 v2, 8, v12
	v_cmp_lt_i32_e32 vcc, v2, v13
	v_xor_b32_e32 v3, 4, v12
	s_mul_i32 s2, s5, s14
	v_cndmask_b32_e32 v2, v12, v2, vcc
	v_lshlrev_b32_e32 v2, 2, v2
	s_waitcnt lgkmcnt(0)
	v_pk_add_f32 v[6:7], v[6:7], v[8:9]
	ds_bpermute_b32 v8, v2, v6
	ds_bpermute_b32 v9, v2, v7
	v_cmp_lt_i32_e32 vcc, v3, v13
	s_mul_i32 s6, s6, s18
	s_add_i32 s2, s2, s4
	v_cndmask_b32_e32 v3, v12, v3, vcc
	v_lshlrev_b32_e32 v3, 2, v3
	s_waitcnt lgkmcnt(0)
	v_pk_add_f32 v[6:7], v[6:7], v[8:9]
	ds_bpermute_b32 v8, v3, v6
	ds_bpermute_b32 v9, v3, v7
	v_cmp_lt_i32_e32 vcc, v5, v13
	s_add_i32 s2, s2, s6
	s_mov_b32 s3, 0
	v_cndmask_b32_e32 v5, v12, v5, vcc
	v_lshlrev_b32_e32 v5, 2, v5
	s_waitcnt lgkmcnt(0)
	v_pk_add_f32 v[8:9], v[6:7], v[8:9]
	ds_bpermute_b32 v10, v5, v8
	ds_bpermute_b32 v11, v5, v9
	v_xor_b32_e32 v6, 1, v12
	v_cmp_lt_i32_e32 vcc, v6, v13
	s_lshl_b64 s[2:3], s[2:3], 2
	s_add_u32 s2, s0, s2
	v_cndmask_b32_e32 v6, v12, v6, vcc
	v_lshlrev_b32_e32 v6, 2, v6
	s_waitcnt lgkmcnt(0)
	v_pk_add_f32 v[8:9], v[8:9], v[10:11]
	ds_bpermute_b32 v10, v6, v8
	ds_bpermute_b32 v11, v6, v9
	v_or_b32_e32 v7, s4, v24
	s_addc_u32 s3, s1, s3
	v_cmp_gt_u32_e32 vcc, 2, v24
	v_cmp_gt_u32_e64 s[0:1], s10, v7
	s_and_b64 s[0:1], vcc, s[0:1]
	s_waitcnt lgkmcnt(0)
	v_pk_add_f32 v[8:9], v[8:9], v[10:11]
	ds_write_b64 v25, v[8:9]
	s_and_saveexec_b64 s[4:5], s[0:1]
	s_cbranch_execz .LBB125_25
; %bb.24:
	v_add_u32_e32 v7, v25, v4
	ds_read_b32 v7, v7
	s_waitcnt lgkmcnt(0)
	global_store_dword v4, v7, s[2:3]
.LBB125_25:
	s_or_b64 exec, exec, s[4:5]
	ds_read2st64_b32 v[8:9], v4 offset0:2 offset1:3
	ds_read_b64 v[10:11], v25 offset:8
	s_waitcnt lgkmcnt(0)
	v_pk_add_f32 v[8:9], v[8:9], v[10:11]
	ds_bpermute_b32 v10, v0, v8
	ds_bpermute_b32 v11, v0, v9
	s_waitcnt lgkmcnt(0)
	v_pk_add_f32 v[8:9], v[8:9], v[10:11]
	ds_bpermute_b32 v0, v1, v8
	ds_bpermute_b32 v1, v1, v9
	;; [unrolled: 4-line block ×6, first 2 shown]
	s_waitcnt lgkmcnt(0)
	v_pk_add_f32 v[0:1], v[0:1], v[2:3]
	ds_write_b64 v25, v[0:1] offset:8
	s_and_b64 exec, exec, s[0:1]
	s_cbranch_execz .LBB125_27
; %bb.26:
	v_lshl_add_u32 v0, v24, 2, v25
	ds_read_b32 v2, v0 offset:8
	v_add_u32_e32 v0, s10, v24
	v_mov_b32_e32 v1, 0
	v_lshl_add_u64 v[0:1], v[0:1], 2, s[2:3]
	s_waitcnt lgkmcnt(0)
	global_store_dword v[0:1], v2, off
.LBB125_27:
	s_endpgm
	.section	.rodata,"a",@progbits
	.p2align	6, 0x0
	.amdhsa_kernel _ZL13mul_mat_vec_qIL9ggml_type12ELi2ELb0ELb0EEvPKvS2_PKi31ggml_cuda_mm_fusion_args_devicePfj15HIP_vector_typeIjLj3EEjjjS8_jjjS8_jjjj
		.amdhsa_group_segment_fixed_size 3072
		.amdhsa_private_segment_fixed_size 0
		.amdhsa_kernarg_size 144
		.amdhsa_user_sgpr_count 4
		.amdhsa_user_sgpr_dispatch_ptr 1
		.amdhsa_user_sgpr_queue_ptr 0
		.amdhsa_user_sgpr_kernarg_segment_ptr 1
		.amdhsa_user_sgpr_dispatch_id 0
		.amdhsa_user_sgpr_kernarg_preload_length 0
		.amdhsa_user_sgpr_kernarg_preload_offset 0
		.amdhsa_user_sgpr_private_segment_size 0
		.amdhsa_uses_dynamic_stack 0
		.amdhsa_enable_private_segment 0
		.amdhsa_system_sgpr_workgroup_id_x 1
		.amdhsa_system_sgpr_workgroup_id_y 1
		.amdhsa_system_sgpr_workgroup_id_z 1
		.amdhsa_system_sgpr_workgroup_info 0
		.amdhsa_system_vgpr_workitem_id 2
		.amdhsa_next_free_vgpr 56
		.amdhsa_next_free_sgpr 28
		.amdhsa_accum_offset 56
		.amdhsa_reserve_vcc 1
		.amdhsa_float_round_mode_32 0
		.amdhsa_float_round_mode_16_64 0
		.amdhsa_float_denorm_mode_32 3
		.amdhsa_float_denorm_mode_16_64 3
		.amdhsa_dx10_clamp 1
		.amdhsa_ieee_mode 1
		.amdhsa_fp16_overflow 0
		.amdhsa_tg_split 0
		.amdhsa_exception_fp_ieee_invalid_op 0
		.amdhsa_exception_fp_denorm_src 0
		.amdhsa_exception_fp_ieee_div_zero 0
		.amdhsa_exception_fp_ieee_overflow 0
		.amdhsa_exception_fp_ieee_underflow 0
		.amdhsa_exception_fp_ieee_inexact 0
		.amdhsa_exception_int_div_zero 0
	.end_amdhsa_kernel
	.section	.text._ZL13mul_mat_vec_qIL9ggml_type12ELi2ELb0ELb0EEvPKvS2_PKi31ggml_cuda_mm_fusion_args_devicePfj15HIP_vector_typeIjLj3EEjjjS8_jjjS8_jjjj,"axG",@progbits,_ZL13mul_mat_vec_qIL9ggml_type12ELi2ELb0ELb0EEvPKvS2_PKi31ggml_cuda_mm_fusion_args_devicePfj15HIP_vector_typeIjLj3EEjjjS8_jjjS8_jjjj,comdat
.Lfunc_end125:
	.size	_ZL13mul_mat_vec_qIL9ggml_type12ELi2ELb0ELb0EEvPKvS2_PKi31ggml_cuda_mm_fusion_args_devicePfj15HIP_vector_typeIjLj3EEjjjS8_jjjS8_jjjj, .Lfunc_end125-_ZL13mul_mat_vec_qIL9ggml_type12ELi2ELb0ELb0EEvPKvS2_PKi31ggml_cuda_mm_fusion_args_devicePfj15HIP_vector_typeIjLj3EEjjjS8_jjjS8_jjjj
                                        ; -- End function
	.section	.AMDGPU.csdata,"",@progbits
; Kernel info:
; codeLenInByte = 2844
; NumSgprs: 34
; NumVgprs: 56
; NumAgprs: 0
; TotalNumVgprs: 56
; ScratchSize: 0
; MemoryBound: 0
; FloatMode: 240
; IeeeMode: 1
; LDSByteSize: 3072 bytes/workgroup (compile time only)
; SGPRBlocks: 4
; VGPRBlocks: 6
; NumSGPRsForWavesPerEU: 34
; NumVGPRsForWavesPerEU: 56
; AccumOffset: 56
; Occupancy: 8
; WaveLimiterHint : 0
; COMPUTE_PGM_RSRC2:SCRATCH_EN: 0
; COMPUTE_PGM_RSRC2:USER_SGPR: 4
; COMPUTE_PGM_RSRC2:TRAP_HANDLER: 0
; COMPUTE_PGM_RSRC2:TGID_X_EN: 1
; COMPUTE_PGM_RSRC2:TGID_Y_EN: 1
; COMPUTE_PGM_RSRC2:TGID_Z_EN: 1
; COMPUTE_PGM_RSRC2:TIDIG_COMP_CNT: 2
; COMPUTE_PGM_RSRC3_GFX90A:ACCUM_OFFSET: 13
; COMPUTE_PGM_RSRC3_GFX90A:TG_SPLIT: 0
	.section	.text._ZL13mul_mat_vec_qIL9ggml_type12ELi3ELb0ELb0EEvPKvS2_PKi31ggml_cuda_mm_fusion_args_devicePfj15HIP_vector_typeIjLj3EEjjjS8_jjjS8_jjjj,"axG",@progbits,_ZL13mul_mat_vec_qIL9ggml_type12ELi3ELb0ELb0EEvPKvS2_PKi31ggml_cuda_mm_fusion_args_devicePfj15HIP_vector_typeIjLj3EEjjjS8_jjjS8_jjjj,comdat
	.globl	_ZL13mul_mat_vec_qIL9ggml_type12ELi3ELb0ELb0EEvPKvS2_PKi31ggml_cuda_mm_fusion_args_devicePfj15HIP_vector_typeIjLj3EEjjjS8_jjjS8_jjjj ; -- Begin function _ZL13mul_mat_vec_qIL9ggml_type12ELi3ELb0ELb0EEvPKvS2_PKi31ggml_cuda_mm_fusion_args_devicePfj15HIP_vector_typeIjLj3EEjjjS8_jjjS8_jjjj
	.p2align	8
	.type	_ZL13mul_mat_vec_qIL9ggml_type12ELi3ELb0ELb0EEvPKvS2_PKi31ggml_cuda_mm_fusion_args_devicePfj15HIP_vector_typeIjLj3EEjjjS8_jjjS8_jjjj,@function
_ZL13mul_mat_vec_qIL9ggml_type12ELi3ELb0ELb0EEvPKvS2_PKi31ggml_cuda_mm_fusion_args_devicePfj15HIP_vector_typeIjLj3EEjjjS8_jjjS8_jjjj: ; @_ZL13mul_mat_vec_qIL9ggml_type12ELi3ELb0ELb0EEvPKvS2_PKi31ggml_cuda_mm_fusion_args_devicePfj15HIP_vector_typeIjLj3EEjjjS8_jjjS8_jjjj
; %bb.0:
	v_bfe_u32 v26, v0, 10, 10
	v_and_b32_e32 v11, 0x3ff, v0
	v_lshl_add_u32 v4, v26, 6, v11
	s_load_dword s20, s[0:1], 0x40
	s_load_dwordx4 s[8:11], s[0:1], 0x50
	s_load_dword s7, s[0:1], 0x60
	s_load_dwordx4 s[12:15], s[0:1], 0x68
	;; [unrolled: 2-line block ×3, first 2 shown]
	s_lshl_b32 s5, s2, 1
	s_waitcnt lgkmcnt(0)
	s_lshr_b32 s2, s20, 8
	v_mov_b32_e32 v0, 0
	v_lshrrev_b32_e32 v27, 4, v4
	v_mov_b32_e32 v1, v0
	v_mov_b32_e32 v2, v0
	;; [unrolled: 1-line block ×3, first 2 shown]
	v_cmp_gt_u32_e32 vcc, s2, v27
	v_mov_b32_e32 v8, v0
	v_mov_b32_e32 v9, v0
	scratch_store_dwordx2 off, v[0:1], off offset:16
	scratch_store_dwordx4 off, v[0:3], off
	s_and_saveexec_b64 s[24:25], vcc
	s_cbranch_execz .LBB126_26
; %bb.1:
	s_mul_hi_u32 s11, s11, s3
	s_add_i32 s11, s3, s11
	s_lshr_b32 s7, s11, s7
	s_load_dwordx4 s[20:23], s[0:1], 0x0
	s_mul_i32 s11, s7, s12
	s_mul_hi_u32 s7, s15, s4
	s_add_i32 s7, s4, s7
	s_lshr_b32 s6, s7, s6
	s_mul_i32 s15, s6, s16
	s_mul_i32 s6, s4, s17
	s_mul_hi_u32 s7, s6, 36
	s_mul_i32 s6, s6, 36
	s_waitcnt lgkmcnt(0)
	s_add_u32 s6, s22, s6
	s_mul_i32 s12, s3, s13
	s_addc_u32 s7, s23, s7
	s_mul_hi_u32 s13, s12, 36
	s_mul_i32 s12, s12, 36
	v_lshlrev_b32_e32 v0, 1, v11
	s_add_u32 s6, s6, s12
	v_and_b32_e32 v1, 30, v0
	v_bfe_u32 v0, v0, 3, 2
	s_addc_u32 s7, s7, s13
	v_cmp_lt_u32_e32 vcc, 15, v1
	v_lshlrev_b32_e32 v1, 1, v0
	v_mad_u64_u32 v[14:15], s[12:13], v1, 36, s[6:7]
	v_bfe_u32 v1, v11, 2, 2
	v_mul_hi_u32_u24_e32 v3, 0x48, v1
	v_mul_u32_u24_e32 v2, 0x48, v1
	s_movk_i32 s12, 0x120
	v_mad_u64_u32 v[2:3], s[12:13], v27, s12, v[2:3]
	v_lshl_add_u64 v[2:3], s[6:7], 0, v[2:3]
	s_add_i32 s6, s5, 1
	v_mov_b32_e32 v7, 0
	v_and_b32_e32 v10, 3, v11
	s_mul_i32 s16, s5, s8
	s_add_i32 s15, s15, s11
	v_lshlrev_b32_e32 v1, 3, v27
	s_mul_i32 s6, s8, s6
	v_lshlrev_b32_e32 v4, 5, v0
	v_mov_b32_e32 v5, v7
	v_lshlrev_b32_e32 v12, 2, v10
	v_mov_b32_e32 v13, v7
	v_lshl_add_u64 v[16:17], v[2:3], 0, 36
	s_add_i32 s11, s15, s16
	v_lshl_add_u32 v28, s9, 1, v1
	v_add_u32_e32 v29, s9, v1
	s_add_i32 s15, s15, s6
	s_mov_b64 s[8:9], 0
	s_movk_i32 s16, 0x90
	v_mov_b64_e32 v[18:19], s[20:21]
	v_lshlrev_b32_e32 v6, 1, v0
	s_mov_b32 s17, 0x5040100
	s_mov_b32 s19, 0x20004
	;; [unrolled: 1-line block ×3, first 2 shown]
	s_movk_i32 s23, 0xf0f
	s_movk_i32 s26, 0x3f3f
	s_mov_b32 s27, 0x30303030
	s_mov_b32 s28, 0xffff
	s_mov_b64 s[12:13], 0x900
	v_mov_b32_e32 v9, v7
	v_mov_b32_e32 v8, v7
	;; [unrolled: 1-line block ×6, first 2 shown]
	s_branch .LBB126_3
.LBB126_2:                              ;   in Loop: Header=BB126_3 Depth=1
	s_or_b64 exec, exec, s[6:7]
	s_waitcnt vmcnt(17)
	v_and_b32_e32 v61, 0xf0f0f0f, v41
	v_mov_b32_e32 v66, v7
	v_mov_b32_e32 v21, v7
	s_waitcnt vmcnt(16)
	v_and_b32_e32 v62, 0xf0f0f0f, v40
	v_lshrrev_b32_e32 v41, 4, v41
	s_waitcnt vmcnt(1)
	v_dot4c_i32_i8_e32 v66, v61, v51
	v_dot4c_i32_i8_e32 v21, 0x1010101, v51
	v_mov_b32_e32 v23, v7
	v_and_b32_e32 v63, 0xf0f0f0f, v41
	v_lshrrev_b32_e32 v40, 4, v40
	v_lshrrev_b16_e32 v41, 8, v57
	v_dot4c_i32_i8_e32 v66, v62, v49
	v_and_b32_sdwa v57, s28, v57 dst_sel:DWORD dst_unused:UNUSED_PAD src0_sel:DWORD src1_sel:BYTE_0
	v_dot4c_i32_i8_e32 v21, 0x1010101, v49
	v_dot4c_i32_i8_e32 v23, 0x1010101, v25
	v_and_b32_e32 v64, 0xf0f0f0f, v40
	v_lshrrev_b16_e32 v40, 8, v58
	v_mul_lo_u32 v57, v66, v57
	v_and_b32_sdwa v58, s28, v58 dst_sel:DWORD dst_unused:UNUSED_PAD src0_sel:DWORD src1_sel:BYTE_0
	v_mov_b32_e32 v66, v7
	v_dot4c_i32_i8_e32 v23, 0x1010101, v24
	v_mul_lo_u32 v58, v21, v58
	v_dot4c_i32_i8_e32 v66, v63, v25
	v_cvt_f32_i32_e32 v58, v58
	v_dot4c_i32_i8_e32 v66, v64, v24
	v_mul_lo_u32 v40, v23, v40
	v_cvt_f32_i32_e32 v57, v57
	v_cvt_f32_i32_e32 v40, v40
	v_mul_lo_u32 v41, v66, v41
	v_cvt_f32_f16_sdwa v65, v36 dst_sel:DWORD dst_unused:UNUSED_PAD src0_sel:WORD_1
	v_cvt_f32_i32_e32 v41, v41
	v_fma_mix_f32 v58, v59, v58, 0 op_sel_hi:[1,0,0]
	v_fma_mix_f32 v57, v59, v57, 0 op_sel_hi:[1,0,0]
	s_waitcnt vmcnt(0)
	v_fma_mix_f32 v40, v60, v40, v58 op_sel_hi:[1,0,0]
	v_cvt_f32_f16_e32 v22, v59
	v_fma_mix_f32 v41, v60, v41, v57 op_sel_hi:[1,0,0]
	v_mul_f32_e32 v40, v40, v65
	v_and_b32_e32 v59, 0xf0f0f0f, v44
	v_mov_b32_e32 v68, v7
	v_cvt_f32_f16_e32 v54, v60
	v_fma_mix_f32 v40, v41, v36, -v40 op_sel_hi:[0,1,0]
	v_mov_b32_e32 v57, v7
	v_and_b32_e32 v60, 0xf0f0f0f, v43
	v_dot4c_i32_i8_e32 v68, v59, v50
	v_add_f32_e32 v8, v8, v40
	v_dot4c_i32_i8_e32 v57, 0x1010101, v50
	v_mov_b32_e32 v58, v7
	v_lshrrev_b32_e32 v40, 4, v44
	v_lshrrev_b16_e32 v67, 8, v56
	v_dot4c_i32_i8_e32 v68, v60, v48
	v_and_b32_sdwa v56, s28, v56 dst_sel:DWORD dst_unused:UNUSED_PAD src0_sel:DWORD src1_sel:BYTE_0
	v_dot4c_i32_i8_e32 v57, 0x1010101, v48
	v_dot4c_i32_i8_e32 v58, 0x1010101, v47
	v_and_b32_e32 v44, 0xf0f0f0f, v40
	v_lshrrev_b32_e32 v40, 4, v43
	v_lshrrev_b16_e32 v66, 8, v55
	v_mul_lo_u32 v56, v68, v56
	v_and_b32_sdwa v55, s28, v55 dst_sel:DWORD dst_unused:UNUSED_PAD src0_sel:DWORD src1_sel:BYTE_0
	v_mov_b32_e32 v68, v7
	v_dot4c_i32_i8_e32 v58, 0x1010101, v46
	v_and_b32_e32 v43, 0xf0f0f0f, v40
	v_mul_lo_u32 v55, v57, v55
	v_dot4c_i32_i8_e32 v68, v44, v47
	v_cvt_f32_i32_e32 v55, v55
	v_dot4c_i32_i8_e32 v68, v43, v46
	v_mul_lo_u32 v66, v58, v66
	v_cvt_f32_i32_e32 v56, v56
	v_cvt_f32_i32_e32 v66, v66
	v_mul_lo_u32 v67, v68, v67
	v_cvt_f32_f16_sdwa v41, v39 dst_sel:DWORD dst_unused:UNUSED_PAD src0_sel:WORD_1
	v_cvt_f32_i32_e32 v67, v67
	v_fma_mix_f32 v55, v42, v55, 0 op_sel_hi:[1,0,0]
	v_fma_mix_f32 v56, v42, v56, 0 op_sel_hi:[1,0,0]
	;; [unrolled: 1-line block ×4, first 2 shown]
	v_mul_f32_e32 v55, v55, v41
	v_mov_b32_e32 v66, v7
	v_fma_mix_f32 v55, v56, v39, -v55 op_sel_hi:[0,1,0]
	v_dot4c_i32_i8_e32 v66, v61, v50
	v_add_f32_e32 v3, v3, v55
	v_lshrrev_b16_e32 v55, 8, v52
	v_dot4c_i32_i8_e32 v66, v62, v48
	v_and_b32_sdwa v48, s28, v53 dst_sel:DWORD dst_unused:UNUSED_PAD src0_sel:DWORD src1_sel:BYTE_0
	v_and_b32_sdwa v50, s28, v52 dst_sel:DWORD dst_unused:UNUSED_PAD src0_sel:DWORD src1_sel:BYTE_0
	v_mov_b32_e32 v52, v7
	v_mul_lo_u32 v48, v66, v48
	v_mul_lo_u32 v50, v57, v50
	v_dot4c_i32_i8_e32 v52, v63, v47
	v_lshrrev_b16_e32 v56, 8, v53
	v_cvt_f32_i32_e32 v48, v48
	v_cvt_f32_i32_e32 v50, v50
	v_dot4c_i32_i8_e32 v52, v64, v46
	v_mul_lo_u32 v47, v58, v55
	v_cvt_f32_i32_e32 v47, v47
	v_fma_mix_f32 v48, v42, v48, 0 op_sel_hi:[1,0,0]
	v_mul_lo_u32 v46, v52, v56
	v_cvt_f32_i32_e32 v46, v46
	v_fma_mix_f32 v42, v42, v50, 0 op_sel_hi:[1,0,0]
	v_bfe_u32 v50, v38, 16, 8
	v_fma_mix_f32 v42, v45, v47, v42 op_sel_hi:[1,0,0]
	v_fma_mix_f32 v46, v45, v46, v48 op_sel_hi:[1,0,0]
	v_mul_f32_e32 v42, v42, v65
	v_fma_mix_f32 v42, v46, v36, -v42 op_sel_hi:[0,1,0]
	v_mov_b32_e32 v48, v7
	v_add_f32_e32 v2, v2, v42
	v_mov_b32_e32 v42, v7
	v_dot4c_i32_i8_e32 v48, v59, v35
	v_dot4c_i32_i8_e32 v42, 0x1010101, v35
	v_mov_b32_e32 v45, v7
	v_dot4c_i32_i8_e32 v48, v60, v34
	v_dot4c_i32_i8_e32 v42, 0x1010101, v34
	;; [unrolled: 1-line block ×3, first 2 shown]
	v_lshrrev_b16_e32 v46, 8, v38
	v_lshrrev_b32_e32 v47, 24, v38
	v_mul_lo_u32 v48, v48, v50
	v_and_b32_e32 v38, 0xff, v38
	v_mov_b32_e32 v50, v7
	v_dot4c_i32_i8_e32 v45, 0x1010101, v32
	v_mul_lo_u32 v38, v42, v38
	v_dot4c_i32_i8_e32 v50, v44, v33
	v_cvt_f32_i32_e32 v38, v38
	v_dot4c_i32_i8_e32 v50, v43, v32
	v_mul_lo_u32 v46, v45, v46
	v_cvt_f32_i32_e32 v48, v48
	v_cvt_f32_i32_e32 v46, v46
	v_mul_lo_u32 v47, v50, v47
	v_cvt_f32_i32_e32 v47, v47
	v_fma_mix_f32 v38, v30, v38, 0 op_sel_hi:[1,0,0]
	v_fma_mix_f32 v48, v30, v48, 0 op_sel_hi:[1,0,0]
	;; [unrolled: 1-line block ×4, first 2 shown]
	v_mul_f32_e32 v38, v38, v41
	v_mov_b32_e32 v46, v7
	v_fma_mix_f32 v38, v47, v39, -v38 op_sel_hi:[0,1,0]
	v_dot4c_i32_i8_e32 v46, v61, v35
	v_cvt_f32_f16_e32 v40, v39
	v_add_f32_e32 v1, v1, v38
	v_lshrrev_b16_e32 v38, 8, v37
	v_lshrrev_b32_e32 v39, 24, v37
	v_dot4c_i32_i8_e32 v46, v62, v34
	v_bfe_u32 v34, v37, 16, 8
	v_and_b32_e32 v35, 0xff, v37
	v_mov_b32_e32 v37, v7
	v_dot4c_i32_i8_e32 v37, v63, v33
	v_mul_lo_u32 v34, v46, v34
	v_mul_lo_u32 v35, v42, v35
	v_dot4c_i32_i8_e32 v37, v64, v32
	v_cvt_f32_i32_e32 v34, v34
	v_cvt_f32_i32_e32 v35, v35
	v_mul_lo_u32 v33, v45, v38
	v_mul_lo_u32 v32, v37, v39
	v_cvt_f32_i32_e32 v32, v32
	v_cvt_f32_i32_e32 v33, v33
	v_fma_mix_f32 v34, v30, v34, 0 op_sel_hi:[1,0,0]
	v_fma_mix_f32 v30, v30, v35, 0 op_sel_hi:[1,0,0]
	;; [unrolled: 1-line block ×4, first 2 shown]
	v_mov_b32_e32 v33, v7
	v_mov_b32_e32 v34, v7
	v_pk_lshrrev_b16 v31, 8, v20 op_sel_hi:[0,1]
	v_dot4c_i32_i8_e32 v33, v59, v51
	v_and_b32_e32 v20, 0xff00ff, v20
	v_dot4c_i32_i8_e32 v34, v44, v25
	v_dot4c_i32_i8_e32 v33, v60, v49
	;; [unrolled: 1-line block ×3, first 2 shown]
	v_lshrrev_b32_e32 v24, 16, v31
	v_and_b32_e32 v25, 0xff, v31
	v_lshrrev_b32_e32 v31, 16, v20
	v_and_b32_e32 v20, 0xff, v20
	v_mul_lo_u32 v20, v33, v20
	v_mul_lo_u32 v21, v21, v31
	v_cvt_f32_i32_e32 v21, v21
	v_cvt_f32_i32_e32 v20, v20
	v_mul_lo_u32 v31, v34, v25
	v_mul_lo_u32 v23, v23, v24
	v_cvt_f32_i32_e32 v25, v23
	v_cvt_f32_i32_e32 v24, v31
	v_mul_f32_e32 v30, v30, v65
	v_fma_mix_f32 v23, v32, v36, -v30 op_sel_hi:[0,1,0]
	v_pk_fma_f32 v[20:21], v[22:23], v[20:21], 0 op_sel_hi:[0,1,0]
	v_pk_fma_f32 v[20:21], v[54:55], v[24:25], v[20:21] op_sel_hi:[0,1,1]
	v_pk_mul_f32 v[20:21], v[20:21], v[40:41]
	v_add_u32_e32 v27, 8, v27
	v_sub_f32_e32 v20, v20, v21
	v_cmp_le_u32_e64 s[6:7], s2, v27
	v_add_f32_e32 v0, v0, v23
	v_add_f32_e32 v9, v9, v20
	v_lshl_add_u64 v[16:17], v[16:17], 0, s[12:13]
	v_add_u32_e32 v28, 64, v28
	s_or_b64 s[8:9], s[6:7], s[8:9]
	v_add_u32_e32 v29, 64, v29
	s_andn2_b64 exec, exec, s[8:9]
	s_cbranch_execz .LBB126_25
.LBB126_3:                              ; =>This Inner Loop Header: Depth=1
	v_lshl_add_u64 v[20:21], v[16:17], 0, v[12:13]
	global_load_dword v30, v[16:17], off offset:-36
	global_load_dword v31, v[16:17], off
	global_load_dword v35, v[20:21], off offset:-32
	global_load_dword v34, v[20:21], off offset:-16
	global_load_dword v33, v[20:21], off offset:4
	global_load_dword v32, v[20:21], off offset:20
	v_add_u32_e32 v20, s11, v27
	v_mad_i64_i32 v[22:23], s[6:7], v20, s16, v[18:19]
	v_lshl_add_u64 v[20:21], v[22:23], 0, v[4:5]
	v_lshl_add_u64 v[20:21], v[20:21], 0, v[12:13]
	global_load_dword v41, v[20:21], off offset:16
	global_load_dword v40, v[20:21], off offset:32
	v_lshl_add_u64 v[20:21], v[22:23], 0, v[6:7]
                                        ; implicit-def: $vgpr37
                                        ; implicit-def: $vgpr49
                                        ; implicit-def: $vgpr51
	s_and_saveexec_b64 s[6:7], vcc
	s_xor_b64 s[6:7], exec, s[6:7]
	s_cbranch_execz .LBB126_5
; %bb.4:                                ;   in Loop: Header=BB126_3 Depth=1
	global_load_ushort v49, v[20:21], off offset:8
	global_load_ushort v51, v[20:21], off offset:4
	global_load_ushort v24, v[20:21], off
	s_waitcnt vmcnt(1)
	v_lshrrev_b16_e32 v25, 2, v51
	s_waitcnt vmcnt(0)
	v_perm_b32 v24, v24, v49, s17
	v_perm_b32 v25, v49, v25, s17
	v_pk_lshrrev_b16 v24, s19, v24
	v_and_b32_e32 v25, 0xf0f3030, v25
	v_and_or_b32 v37, v24, s22, v25
.LBB126_5:                              ;   in Loop: Header=BB126_3 Depth=1
	s_andn2_saveexec_b64 s[6:7], s[6:7]
	s_cbranch_execz .LBB126_7
; %bb.6:                                ;   in Loop: Header=BB126_3 Depth=1
	global_load_ushort v51, v[20:21], off offset:4
	global_load_ushort v49, v[20:21], off offset:8
	s_waitcnt vmcnt(0)
	v_perm_b32 v24, v51, v49, s17
	v_and_b32_e32 v37, 0x3f3f3f3f, v24
.LBB126_7:                              ;   in Loop: Header=BB126_3 Depth=1
	s_or_b64 exec, exec, s[6:7]
	v_add_u32_e32 v36, s15, v27
	v_mov_b64_e32 v[24:25], s[20:21]
	v_mad_i64_i32 v[24:25], s[6:7], v36, s16, v[24:25]
	v_lshl_add_u64 v[38:39], v[24:25], 0, v[4:5]
	v_lshl_add_u64 v[38:39], v[38:39], 0, v[12:13]
	global_load_dword v36, v[22:23], off
	global_load_dword v44, v[38:39], off offset:16
	global_load_dword v43, v[38:39], off offset:32
	v_lshl_add_u64 v[22:23], v[24:25], 0, v[6:7]
                                        ; implicit-def: $vgpr54
                                        ; implicit-def: $vgpr38
	s_and_saveexec_b64 s[6:7], vcc
	s_xor_b64 s[6:7], exec, s[6:7]
	s_cbranch_execz .LBB126_9
; %bb.8:                                ;   in Loop: Header=BB126_3 Depth=1
	global_load_ushort v39, v[22:23], off offset:8
	global_load_ushort v42, v[22:23], off offset:4
	global_load_ushort v38, v[22:23], off
	s_waitcnt vmcnt(1)
	v_lshrrev_b16_e32 v45, 2, v42
	s_waitcnt vmcnt(0)
	v_perm_b32 v38, v38, v39, s17
	v_perm_b32 v45, v39, v45, s17
	v_pk_lshrrev_b16 v38, s19, v38
	v_and_b32_e32 v45, 0xf0f3030, v45
	v_and_or_b32 v38, v38, s22, v45
	v_perm_b32 v54, v39, v42, s17
.LBB126_9:                              ;   in Loop: Header=BB126_3 Depth=1
	s_andn2_saveexec_b64 s[6:7], s[6:7]
	s_cbranch_execz .LBB126_11
; %bb.10:                               ;   in Loop: Header=BB126_3 Depth=1
	global_load_ushort v39, v[22:23], off offset:4
	global_load_ushort v42, v[22:23], off offset:8
	s_waitcnt vmcnt(0)
	v_perm_b32 v38, v39, v42, s17
	v_and_b32_e32 v38, 0x3f3f3f3f, v38
	v_perm_b32 v54, v42, v39, s17
.LBB126_11:                             ;   in Loop: Header=BB126_3 Depth=1
	s_or_b64 exec, exec, s[6:7]
	global_load_dword v39, v[24:25], off
	v_mad_u64_u32 v[52:53], s[6:7], v29, 36, v[14:15]
	v_lshlrev_b32_e32 v24, 2, v10
	v_mov_b32_e32 v25, v7
	v_lshl_add_u64 v[56:57], v[52:53], 0, v[24:25]
	global_load_dword v42, v[52:53], off
	global_load_dword v48, v[56:57], off offset:20
	global_load_dword v47, v[56:57], off offset:40
	;; [unrolled: 1-line block ×5, first 2 shown]
	v_lshrrev_b16_e32 v25, 4, v49
	v_lshrrev_b16_e32 v52, 2, v51
	v_and_b32_e32 v61, 0xf0f, v49
	v_and_b32_e32 v62, 0xf0f, v25
	;; [unrolled: 1-line block ×3, first 2 shown]
                                        ; implicit-def: $vgpr53
                                        ; implicit-def: $vgpr52
	s_and_saveexec_b64 s[6:7], vcc
	s_xor_b64 s[6:7], exec, s[6:7]
	s_cbranch_execz .LBB126_13
; %bb.12:                               ;   in Loop: Header=BB126_3 Depth=1
	global_load_ushort v25, v[20:21], off
	v_or_b32_e32 v52, v63, v62
	s_waitcnt vmcnt(0)
	v_lshrrev_b16_e32 v25, 2, v25
	v_and_b32_e32 v25, 0x3030, v25
	v_or_b32_e32 v53, v25, v61
.LBB126_13:                             ;   in Loop: Header=BB126_3 Depth=1
	s_or_saveexec_b64 s[6:7], s[6:7]
	v_and_b32_e32 v57, 0x3f3f, v51
	v_and_b32_e32 v58, 0x3f3f, v49
	s_xor_b64 exec, exec, s[6:7]
; %bb.14:                               ;   in Loop: Header=BB126_3 Depth=1
	v_and_b32_e32 v53, 0x3f3f, v51
	v_and_b32_e32 v52, 0x3f3f, v49
; %bb.15:                               ;   in Loop: Header=BB126_3 Depth=1
	s_or_b64 exec, exec, s[6:7]
	v_lshrrev_b32_e32 v64, 20, v54
                                        ; implicit-def: $vgpr56
                                        ; implicit-def: $vgpr55
	s_and_saveexec_b64 s[6:7], vcc
	s_xor_b64 s[6:7], exec, s[6:7]
	s_cbranch_execz .LBB126_17
; %bb.16:                               ;   in Loop: Header=BB126_3 Depth=1
	global_load_ushort v25, v[22:23], off
	v_lshrrev_b16_e32 v55, 2, v54
	v_and_b32_sdwa v49, v54, s23 dst_sel:DWORD dst_unused:UNUSED_PAD src0_sel:WORD_1 src1_sel:DWORD
	v_and_b32_e32 v51, 0xf0f, v64
	v_and_b32_e32 v55, 0x3030, v55
	v_or_b32_e32 v55, v55, v51
	s_waitcnt vmcnt(0)
	v_lshrrev_b16_e32 v25, 2, v25
	v_and_b32_e32 v25, 0x3030, v25
	v_or_b32_e32 v56, v25, v49
.LBB126_17:                             ;   in Loop: Header=BB126_3 Depth=1
	s_andn2_saveexec_b64 s[6:7], s[6:7]
; %bb.18:                               ;   in Loop: Header=BB126_3 Depth=1
	v_and_b32_e32 v56, 0x3f3f, v54
	v_and_b32_sdwa v55, v54, s26 dst_sel:DWORD dst_unused:UNUSED_PAD src0_sel:WORD_1 src1_sel:DWORD
; %bb.19:                               ;   in Loop: Header=BB126_3 Depth=1
	s_or_b64 exec, exec, s[6:7]
	v_mad_u64_u32 v[66:67], s[6:7], v28, 36, v[14:15]
	v_mov_b32_e32 v25, v7
	v_lshl_add_u64 v[68:69], v[66:67], 0, v[24:25]
	global_load_dword v59, v[66:67], off
	global_load_dword v49, v[68:69], off offset:20
	global_load_dword v25, v[68:69], off offset:40
	;; [unrolled: 1-line block ×5, first 2 shown]
	s_and_saveexec_b64 s[6:7], vcc
	s_xor_b64 s[6:7], exec, s[6:7]
	s_cbranch_execz .LBB126_21
; %bb.20:                               ;   in Loop: Header=BB126_3 Depth=1
	global_load_ushort v20, v[20:21], off
	v_or_b32_e32 v58, v63, v62
	s_waitcnt vmcnt(0)
	v_lshrrev_b16_e32 v20, 2, v20
	v_and_b32_e32 v20, 0x3030, v20
	v_or_b32_e32 v57, v20, v61
.LBB126_21:                             ;   in Loop: Header=BB126_3 Depth=1
	s_andn2_saveexec_b64 s[6:7], s[6:7]
	s_or_b64 exec, exec, s[6:7]
                                        ; implicit-def: $vgpr20
	s_and_saveexec_b64 s[6:7], vcc
	s_xor_b64 s[6:7], exec, s[6:7]
	s_cbranch_execz .LBB126_23
; %bb.22:                               ;   in Loop: Header=BB126_3 Depth=1
	global_load_ushort v20, v[22:23], off
	v_alignbit_b32 v21, v64, v54, 16
	v_and_b32_e32 v21, 0xf0f0f0f, v21
	s_waitcnt vmcnt(0)
	v_perm_b32 v20, v54, v20, s17
	v_pk_lshrrev_b16 v20, 2, v20 op_sel_hi:[0,1]
	v_and_or_b32 v20, v20, s27, v21
                                        ; implicit-def: $vgpr54
.LBB126_23:                             ;   in Loop: Header=BB126_3 Depth=1
	s_andn2_saveexec_b64 s[6:7], s[6:7]
	s_cbranch_execz .LBB126_2
; %bb.24:                               ;   in Loop: Header=BB126_3 Depth=1
	v_and_b32_e32 v20, 0x3f3f3f3f, v54
	s_branch .LBB126_2
.LBB126_25:
	s_or_b64 exec, exec, s[8:9]
	scratch_store_dwordx4 off, v[0:3], off
	scratch_store_dwordx2 off, v[8:9], off offset:16
.LBB126_26:
	s_or_b64 exec, exec, s[24:25]
	v_cmp_eq_u32_e32 vcc, 0, v26
	v_cmp_ne_u32_e64 s[6:7], 0, v26
	v_lshlrev_b32_e32 v4, 2, v11
	s_and_saveexec_b64 s[8:9], s[6:7]
	s_cbranch_execz .LBB126_28
; %bb.27:
	v_mul_u32_u24_e32 v5, 0x600, v26
	s_movk_i32 s2, 0xfa00
	v_add3_u32 v5, v5, v4, s2
	ds_write2st64_b32 v5, v0, v1 offset1:1
	ds_write2st64_b32 v5, v2, v3 offset0:2 offset1:3
	ds_write2st64_b32 v5, v8, v9 offset0:4 offset1:5
.LBB126_28:
	s_or_b64 exec, exec, s[8:9]
	s_waitcnt lgkmcnt(0)
	s_barrier
	s_and_saveexec_b64 s[6:7], vcc
	s_cbranch_execz .LBB126_35
; %bb.29:
	scratch_load_dwordx2 v[2:3], off, off
	v_mbcnt_lo_u32_b32 v0, -1, 0
	ds_read2st64_b32 v[6:7], v4 offset1:1
	v_mbcnt_hi_u32_b32 v10, -1, v0
	v_and_b32_e32 v0, 64, v10
	v_xor_b32_e32 v1, 32, v10
	v_add_u32_e32 v14, 64, v0
	v_cmp_lt_i32_e32 vcc, v1, v14
	v_xor_b32_e32 v5, 16, v10
	v_xor_b32_e32 v12, 8, v10
	v_cndmask_b32_e32 v0, v10, v1, vcc
	v_lshlrev_b32_e32 v0, 2, v0
	v_cmp_lt_i32_e32 vcc, v5, v14
	v_xor_b32_e32 v13, 4, v10
	v_xor_b32_e32 v15, 1, v10
	v_cndmask_b32_e32 v1, v10, v5, vcc
	v_lshlrev_b32_e32 v1, 2, v1
	v_cmp_lt_i32_e32 vcc, v12, v14
	v_xor_b32_e32 v5, 2, v10
	s_load_dwordx2 s[0:1], s[0:1], 0x38
	s_mul_i32 s2, s3, s14
	s_mul_i32 s4, s4, s18
	s_add_i32 s2, s2, s5
	s_mov_b32 s3, 0
	s_add_i32 s2, s2, s4
	s_lshl_b64 s[2:3], s[2:3], 2
	s_waitcnt lgkmcnt(0)
	s_add_u32 s2, s0, s2
	s_addc_u32 s3, s1, s3
	s_waitcnt vmcnt(0)
	v_pk_add_f32 v[2:3], v[6:7], v[2:3]
	ds_bpermute_b32 v6, v0, v2
	ds_bpermute_b32 v7, v0, v3
	s_waitcnt lgkmcnt(0)
	v_pk_add_f32 v[6:7], v[2:3], v[6:7]
	ds_bpermute_b32 v8, v1, v6
	ds_bpermute_b32 v9, v1, v7
	v_cndmask_b32_e32 v2, v10, v12, vcc
	v_lshlrev_b32_e32 v2, 2, v2
	v_cmp_lt_i32_e32 vcc, v13, v14
	s_waitcnt lgkmcnt(0)
	v_pk_add_f32 v[6:7], v[6:7], v[8:9]
	ds_bpermute_b32 v8, v2, v6
	ds_bpermute_b32 v9, v2, v7
	v_cndmask_b32_e32 v3, v10, v13, vcc
	v_lshlrev_b32_e32 v3, 2, v3
	v_cmp_lt_i32_e32 vcc, v5, v14
	;; [unrolled: 7-line block ×3, first 2 shown]
	s_waitcnt lgkmcnt(0)
	v_pk_add_f32 v[8:9], v[6:7], v[8:9]
	ds_bpermute_b32 v12, v5, v8
	ds_bpermute_b32 v13, v5, v9
	v_cndmask_b32_e32 v6, v10, v15, vcc
	v_lshlrev_b32_e32 v6, 2, v6
	v_or_b32_e32 v7, s5, v11
	v_cmp_gt_u32_e32 vcc, 2, v11
	s_waitcnt lgkmcnt(0)
	v_pk_add_f32 v[8:9], v[8:9], v[12:13]
	ds_bpermute_b32 v12, v6, v8
	ds_bpermute_b32 v13, v6, v9
	v_cmp_gt_u32_e64 s[0:1], s10, v7
	s_and_b64 s[0:1], vcc, s[0:1]
	s_waitcnt lgkmcnt(0)
	v_pk_add_f32 v[8:9], v[8:9], v[12:13]
	scratch_store_dwordx2 off, v[8:9], off
	s_and_saveexec_b64 s[4:5], s[0:1]
	s_cbranch_execz .LBB126_31
; %bb.30:
	scratch_load_dword v7, v4, off
	s_waitcnt vmcnt(0)
	global_store_dword v4, v7, s[2:3]
.LBB126_31:
	s_or_b64 exec, exec, s[4:5]
	scratch_load_dwordx2 v[8:9], off, off offset:8
	ds_read2st64_b32 v[12:13], v4 offset0:2 offset1:3
	s_waitcnt vmcnt(0) lgkmcnt(0)
	v_pk_add_f32 v[8:9], v[12:13], v[8:9]
	ds_bpermute_b32 v12, v0, v8
	ds_bpermute_b32 v13, v0, v9
	s_waitcnt lgkmcnt(0)
	v_pk_add_f32 v[8:9], v[8:9], v[12:13]
	ds_bpermute_b32 v12, v1, v8
	ds_bpermute_b32 v13, v1, v9
	s_waitcnt lgkmcnt(0)
	;; [unrolled: 4-line block ×6, first 2 shown]
	v_pk_add_f32 v[8:9], v[8:9], v[12:13]
	scratch_store_dwordx2 off, v[8:9], off offset:8
	s_and_saveexec_b64 s[4:5], s[0:1]
	s_cbranch_execz .LBB126_33
; %bb.32:
	scratch_load_dword v7, v4, off offset:8
	v_add_u32_e32 v8, s10, v11
	v_mov_b32_e32 v9, 0
	v_lshl_add_u64 v[8:9], v[8:9], 2, s[2:3]
	s_waitcnt vmcnt(0)
	global_store_dword v[8:9], v7, off
.LBB126_33:
	s_or_b64 exec, exec, s[4:5]
	scratch_load_dwordx2 v[8:9], off, off offset:16
	ds_read2st64_b32 v[12:13], v4 offset0:4 offset1:5
	s_waitcnt vmcnt(0) lgkmcnt(0)
	v_pk_add_f32 v[8:9], v[12:13], v[8:9]
	ds_bpermute_b32 v12, v0, v8
	ds_bpermute_b32 v13, v0, v9
	s_waitcnt lgkmcnt(0)
	v_pk_add_f32 v[8:9], v[8:9], v[12:13]
	ds_bpermute_b32 v0, v1, v8
	ds_bpermute_b32 v1, v1, v9
	s_waitcnt lgkmcnt(0)
	;; [unrolled: 4-line block ×6, first 2 shown]
	v_pk_add_f32 v[0:1], v[0:1], v[2:3]
	scratch_store_dwordx2 off, v[0:1], off offset:16
	s_and_b64 exec, exec, s[0:1]
	s_cbranch_execz .LBB126_35
; %bb.34:
	scratch_load_dword v2, v4, off offset:16
	v_lshl_or_b32 v0, s10, 1, v11
	v_mov_b32_e32 v1, 0
	v_lshl_add_u64 v[0:1], v[0:1], 2, s[2:3]
	s_waitcnt vmcnt(0)
	global_store_dword v[0:1], v2, off
.LBB126_35:
	s_endpgm
	.section	.rodata,"a",@progbits
	.p2align	6, 0x0
	.amdhsa_kernel _ZL13mul_mat_vec_qIL9ggml_type12ELi3ELb0ELb0EEvPKvS2_PKi31ggml_cuda_mm_fusion_args_devicePfj15HIP_vector_typeIjLj3EEjjjS8_jjjS8_jjjj
		.amdhsa_group_segment_fixed_size 1536
		.amdhsa_private_segment_fixed_size 32
		.amdhsa_kernarg_size 144
		.amdhsa_user_sgpr_count 2
		.amdhsa_user_sgpr_dispatch_ptr 0
		.amdhsa_user_sgpr_queue_ptr 0
		.amdhsa_user_sgpr_kernarg_segment_ptr 1
		.amdhsa_user_sgpr_dispatch_id 0
		.amdhsa_user_sgpr_kernarg_preload_length 0
		.amdhsa_user_sgpr_kernarg_preload_offset 0
		.amdhsa_user_sgpr_private_segment_size 0
		.amdhsa_uses_dynamic_stack 0
		.amdhsa_enable_private_segment 1
		.amdhsa_system_sgpr_workgroup_id_x 1
		.amdhsa_system_sgpr_workgroup_id_y 1
		.amdhsa_system_sgpr_workgroup_id_z 1
		.amdhsa_system_sgpr_workgroup_info 0
		.amdhsa_system_vgpr_workitem_id 1
		.amdhsa_next_free_vgpr 70
		.amdhsa_next_free_sgpr 29
		.amdhsa_accum_offset 72
		.amdhsa_reserve_vcc 1
		.amdhsa_float_round_mode_32 0
		.amdhsa_float_round_mode_16_64 0
		.amdhsa_float_denorm_mode_32 3
		.amdhsa_float_denorm_mode_16_64 3
		.amdhsa_dx10_clamp 1
		.amdhsa_ieee_mode 1
		.amdhsa_fp16_overflow 0
		.amdhsa_tg_split 0
		.amdhsa_exception_fp_ieee_invalid_op 0
		.amdhsa_exception_fp_denorm_src 0
		.amdhsa_exception_fp_ieee_div_zero 0
		.amdhsa_exception_fp_ieee_overflow 0
		.amdhsa_exception_fp_ieee_underflow 0
		.amdhsa_exception_fp_ieee_inexact 0
		.amdhsa_exception_int_div_zero 0
	.end_amdhsa_kernel
	.section	.text._ZL13mul_mat_vec_qIL9ggml_type12ELi3ELb0ELb0EEvPKvS2_PKi31ggml_cuda_mm_fusion_args_devicePfj15HIP_vector_typeIjLj3EEjjjS8_jjjS8_jjjj,"axG",@progbits,_ZL13mul_mat_vec_qIL9ggml_type12ELi3ELb0ELb0EEvPKvS2_PKi31ggml_cuda_mm_fusion_args_devicePfj15HIP_vector_typeIjLj3EEjjjS8_jjjS8_jjjj,comdat
.Lfunc_end126:
	.size	_ZL13mul_mat_vec_qIL9ggml_type12ELi3ELb0ELb0EEvPKvS2_PKi31ggml_cuda_mm_fusion_args_devicePfj15HIP_vector_typeIjLj3EEjjjS8_jjjS8_jjjj, .Lfunc_end126-_ZL13mul_mat_vec_qIL9ggml_type12ELi3ELb0ELb0EEvPKvS2_PKi31ggml_cuda_mm_fusion_args_devicePfj15HIP_vector_typeIjLj3EEjjjS8_jjjS8_jjjj
                                        ; -- End function
	.section	.AMDGPU.csdata,"",@progbits
; Kernel info:
; codeLenInByte = 3628
; NumSgprs: 35
; NumVgprs: 70
; NumAgprs: 0
; TotalNumVgprs: 70
; ScratchSize: 32
; MemoryBound: 0
; FloatMode: 240
; IeeeMode: 1
; LDSByteSize: 1536 bytes/workgroup (compile time only)
; SGPRBlocks: 4
; VGPRBlocks: 8
; NumSGPRsForWavesPerEU: 35
; NumVGPRsForWavesPerEU: 70
; AccumOffset: 72
; Occupancy: 7
; WaveLimiterHint : 0
; COMPUTE_PGM_RSRC2:SCRATCH_EN: 1
; COMPUTE_PGM_RSRC2:USER_SGPR: 2
; COMPUTE_PGM_RSRC2:TRAP_HANDLER: 0
; COMPUTE_PGM_RSRC2:TGID_X_EN: 1
; COMPUTE_PGM_RSRC2:TGID_Y_EN: 1
; COMPUTE_PGM_RSRC2:TGID_Z_EN: 1
; COMPUTE_PGM_RSRC2:TIDIG_COMP_CNT: 1
; COMPUTE_PGM_RSRC3_GFX90A:ACCUM_OFFSET: 17
; COMPUTE_PGM_RSRC3_GFX90A:TG_SPLIT: 0
	.section	.text._ZL13mul_mat_vec_qIL9ggml_type12ELi4ELb0ELb0EEvPKvS2_PKi31ggml_cuda_mm_fusion_args_devicePfj15HIP_vector_typeIjLj3EEjjjS8_jjjS8_jjjj,"axG",@progbits,_ZL13mul_mat_vec_qIL9ggml_type12ELi4ELb0ELb0EEvPKvS2_PKi31ggml_cuda_mm_fusion_args_devicePfj15HIP_vector_typeIjLj3EEjjjS8_jjjS8_jjjj,comdat
	.globl	_ZL13mul_mat_vec_qIL9ggml_type12ELi4ELb0ELb0EEvPKvS2_PKi31ggml_cuda_mm_fusion_args_devicePfj15HIP_vector_typeIjLj3EEjjjS8_jjjS8_jjjj ; -- Begin function _ZL13mul_mat_vec_qIL9ggml_type12ELi4ELb0ELb0EEvPKvS2_PKi31ggml_cuda_mm_fusion_args_devicePfj15HIP_vector_typeIjLj3EEjjjS8_jjjS8_jjjj
	.p2align	8
	.type	_ZL13mul_mat_vec_qIL9ggml_type12ELi4ELb0ELb0EEvPKvS2_PKi31ggml_cuda_mm_fusion_args_devicePfj15HIP_vector_typeIjLj3EEjjjS8_jjjS8_jjjj,@function
_ZL13mul_mat_vec_qIL9ggml_type12ELi4ELb0ELb0EEvPKvS2_PKi31ggml_cuda_mm_fusion_args_devicePfj15HIP_vector_typeIjLj3EEjjjS8_jjjS8_jjjj: ; @_ZL13mul_mat_vec_qIL9ggml_type12ELi4ELb0ELb0EEvPKvS2_PKi31ggml_cuda_mm_fusion_args_devicePfj15HIP_vector_typeIjLj3EEjjjS8_jjjS8_jjjj
; %bb.0:
	s_load_dword s20, s[0:1], 0x40
	s_load_dwordx4 s[8:11], s[0:1], 0x50
	s_load_dword s7, s[0:1], 0x60
	s_load_dwordx4 s[12:15], s[0:1], 0x68
	;; [unrolled: 2-line block ×3, first 2 shown]
	s_lshl_b32 s5, s2, 1
	s_waitcnt lgkmcnt(0)
	s_lshr_b32 s2, s20, 8
	s_mov_b32 s20, 0
	v_bfe_u32 v9, v0, 10, 10
	v_and_b32_e32 v8, 0x3ff, v0
	s_mov_b32 s21, s20
	v_lshl_add_u32 v4, v9, 6, v8
	s_mov_b32 s22, s20
	s_mov_b32 s23, s20
	v_mov_b64_e32 v[0:1], s[20:21]
	v_mov_b64_e32 v[2:3], s[22:23]
	v_lshrrev_b32_e32 v15, 4, v4
	scratch_store_dwordx4 off, v[0:3], off offset:16
	scratch_store_dwordx4 off, v[0:3], off
	v_cmp_gt_u32_e32 vcc, s2, v15
	v_mov_b32_e32 v4, 0
	v_mov_b32_e32 v5, 0
	;; [unrolled: 1-line block ×8, first 2 shown]
	s_and_saveexec_b64 s[24:25], vcc
	s_cbranch_execz .LBB127_32
; %bb.1:
	s_mul_hi_u32 s11, s11, s3
	s_add_i32 s11, s3, s11
	s_lshr_b32 s7, s11, s7
	s_load_dwordx4 s[20:23], s[0:1], 0x0
	s_mul_i32 s11, s7, s12
	s_mul_hi_u32 s7, s15, s4
	s_add_i32 s7, s4, s7
	s_lshr_b32 s6, s7, s6
	s_mul_i32 s15, s6, s16
	s_mul_i32 s6, s4, s17
	s_mul_hi_u32 s7, s6, 36
	s_mul_i32 s6, s6, 36
	s_waitcnt lgkmcnt(0)
	s_add_u32 s6, s22, s6
	s_mul_i32 s12, s3, s13
	s_addc_u32 s7, s23, s7
	s_mul_hi_u32 s13, s12, 36
	s_mul_i32 s12, s12, 36
	v_lshlrev_b32_e32 v0, 1, v8
	s_add_u32 s6, s6, s12
	v_and_b32_e32 v1, 30, v0
	v_bfe_u32 v0, v0, 3, 2
	s_addc_u32 s7, s7, s13
	v_cmp_lt_u32_e32 vcc, 15, v1
	v_lshlrev_b32_e32 v1, 1, v0
	v_mad_u64_u32 v[18:19], s[12:13], v1, 36, s[6:7]
	v_bfe_u32 v1, v8, 2, 2
	v_mul_hi_u32_u24_e32 v3, 0x48, v1
	v_mul_u32_u24_e32 v2, 0x48, v1
	s_movk_i32 s12, 0x120
	v_mad_u64_u32 v[2:3], s[12:13], v15, s12, v[2:3]
	v_lshl_add_u64 v[2:3], s[6:7], 0, v[2:3]
	v_lshl_add_u64 v[20:21], v[2:3], 0, 36
	v_lshlrev_b32_e32 v2, 3, v15
	v_mad_u64_u32 v[22:23], s[6:7], s9, 3, v[2:3]
	s_add_i32 s6, s5, 1
	v_mov_b32_e32 v13, 0
	v_and_b32_e32 v14, 3, v8
	s_mul_i32 s16, s5, s8
	s_add_i32 s15, s15, s11
	s_mul_i32 s6, s8, s6
	v_lshlrev_b32_e32 v10, 5, v0
	v_mov_b32_e32 v11, v13
	v_lshlrev_b32_e32 v16, 2, v14
	v_mov_b32_e32 v17, v13
	s_add_i32 s11, s15, s16
	v_lshl_add_u32 v32, s9, 1, v2
	v_add_u32_e32 v23, s9, v2
	s_add_i32 s15, s15, s6
	s_mov_b64 s[8:9], 0
	s_movk_i32 s16, 0x90
	v_mov_b64_e32 v[24:25], s[20:21]
	v_lshlrev_b32_e32 v12, 1, v0
	s_mov_b32 s17, 0x5040100
	s_mov_b32 s19, 0x20004
	;; [unrolled: 1-line block ×3, first 2 shown]
	s_movk_i32 s23, 0xf0f
	s_movk_i32 s26, 0x3f3f
	s_mov_b32 s27, 0x30303030
	s_mov_b32 s28, 0xffff
	s_mov_b64 s[12:13], 0x900
	v_mov_b32_e32 v3, v13
	v_mov_b32_e32 v2, v13
	;; [unrolled: 1-line block ×8, first 2 shown]
	s_branch .LBB127_3
.LBB127_2:                              ;   in Loop: Header=BB127_3 Depth=1
	s_or_b64 exec, exec, s[6:7]
	s_waitcnt vmcnt(23)
	v_and_b32_e32 v72, 0xf0f0f0f, v52
	v_mov_b32_e32 v79, v13
	v_mov_b32_e32 v29, v13
	s_waitcnt vmcnt(22)
	v_and_b32_e32 v73, 0xf0f0f0f, v51
	s_waitcnt vmcnt(4)
	v_dot4c_i32_i8_e32 v79, v72, v31
	v_dot4c_i32_i8_e32 v29, 0x1010101, v31
	v_mov_b32_e32 v59, v13
	v_lshrrev_b32_e32 v52, 4, v52
	v_lshrrev_b16_e32 v78, 8, v66
	s_waitcnt vmcnt(3)
	v_dot4c_i32_i8_e32 v79, v73, v57
	v_and_b32_sdwa v66, s28, v66 dst_sel:DWORD dst_unused:UNUSED_PAD src0_sel:DWORD src1_sel:BYTE_0
	v_dot4c_i32_i8_e32 v29, 0x1010101, v57
	s_waitcnt vmcnt(1)
	v_dot4c_i32_i8_e32 v59, 0x1010101, v58
	v_and_b32_e32 v74, 0xf0f0f0f, v52
	v_lshrrev_b32_e32 v51, 4, v51
	v_lshrrev_b16_e32 v52, 8, v70
	v_mul_lo_u32 v66, v79, v66
	v_and_b32_sdwa v70, s28, v70 dst_sel:DWORD dst_unused:UNUSED_PAD src0_sel:DWORD src1_sel:BYTE_0
	v_mov_b32_e32 v79, v13
	s_waitcnt vmcnt(0)
	v_dot4c_i32_i8_e32 v59, 0x1010101, v30
	v_and_b32_e32 v51, 0xf0f0f0f, v51
	v_mul_lo_u32 v70, v29, v70
	v_dot4c_i32_i8_e32 v79, v74, v58
	v_cvt_f32_i32_e32 v70, v70
	v_dot4c_i32_i8_e32 v79, v51, v30
	v_mul_lo_u32 v52, v59, v52
	v_cvt_f32_i32_e32 v66, v66
	v_cvt_f32_i32_e32 v52, v52
	v_mul_lo_u32 v78, v79, v78
	v_cvt_f32_f16_sdwa v75, v39 dst_sel:DWORD dst_unused:UNUSED_PAD src0_sel:WORD_1
	v_cvt_f32_i32_e32 v78, v78
	v_fma_mix_f32 v70, v76, v70, 0 op_sel_hi:[1,0,0]
	v_fma_mix_f32 v66, v76, v66, 0 op_sel_hi:[1,0,0]
	;; [unrolled: 1-line block ×3, first 2 shown]
	v_cvt_f32_f16_e32 v28, v76
	v_fma_mix_f32 v66, v77, v78, v66 op_sel_hi:[1,0,0]
	v_mul_f32_e32 v52, v52, v75
	v_and_b32_e32 v76, 0xf0f0f0f, v54
	v_mov_b32_e32 v81, v13
	v_cvt_f32_f16_e32 v26, v77
	v_fma_mix_f32 v52, v66, v39, -v52 op_sel_hi:[0,1,0]
	v_mov_b32_e32 v66, v13
	v_and_b32_e32 v77, 0xf0f0f0f, v53
	v_dot4c_i32_i8_e32 v81, v76, v65
	v_add_f32_e32 v2, v2, v52
	v_dot4c_i32_i8_e32 v66, 0x1010101, v65
	v_mov_b32_e32 v70, v13
	v_lshrrev_b32_e32 v52, 4, v54
	v_lshrrev_b16_e32 v80, 8, v69
	v_dot4c_i32_i8_e32 v81, v77, v64
	v_and_b32_sdwa v69, s28, v69 dst_sel:DWORD dst_unused:UNUSED_PAD src0_sel:DWORD src1_sel:BYTE_0
	v_dot4c_i32_i8_e32 v66, 0x1010101, v64
	v_dot4c_i32_i8_e32 v70, 0x1010101, v63
	v_and_b32_e32 v54, 0xf0f0f0f, v52
	v_lshrrev_b32_e32 v52, 4, v53
	v_lshrrev_b16_e32 v79, 8, v71
	v_mul_lo_u32 v69, v81, v69
	v_and_b32_sdwa v71, s28, v71 dst_sel:DWORD dst_unused:UNUSED_PAD src0_sel:DWORD src1_sel:BYTE_0
	v_mov_b32_e32 v81, v13
	v_dot4c_i32_i8_e32 v70, 0x1010101, v62
	v_and_b32_e32 v78, 0xf0f0f0f, v52
	v_mul_lo_u32 v71, v66, v71
	v_dot4c_i32_i8_e32 v81, v54, v63
	v_cvt_f32_i32_e32 v71, v71
	v_dot4c_i32_i8_e32 v81, v78, v62
	v_mul_lo_u32 v79, v70, v79
	v_cvt_f32_i32_e32 v69, v69
	v_cvt_f32_i32_e32 v79, v79
	v_mul_lo_u32 v80, v81, v80
	v_cvt_f32_f16_sdwa v53, v42 dst_sel:DWORD dst_unused:UNUSED_PAD src0_sel:WORD_1
	v_cvt_f32_i32_e32 v80, v80
	v_fma_mix_f32 v71, v60, v71, 0 op_sel_hi:[1,0,0]
	v_fma_mix_f32 v69, v60, v69, 0 op_sel_hi:[1,0,0]
	;; [unrolled: 1-line block ×3, first 2 shown]
	v_mov_b32_e32 v79, v13
	v_fma_mix_f32 v69, v61, v80, v69 op_sel_hi:[1,0,0]
	v_mul_f32_e32 v71, v71, v53
	v_dot4c_i32_i8_e32 v79, v72, v65
	v_and_b32_sdwa v65, s28, v67 dst_sel:DWORD dst_unused:UNUSED_PAD src0_sel:DWORD src1_sel:BYTE_0
	v_fma_mix_f32 v69, v69, v42, -v71 op_sel_hi:[0,1,0]
	v_dot4c_i32_i8_e32 v79, v73, v64
	v_and_b32_sdwa v64, s28, v68 dst_sel:DWORD dst_unused:UNUSED_PAD src0_sel:DWORD src1_sel:BYTE_0
	v_mul_lo_u32 v65, v66, v65
	v_mov_b32_e32 v66, v13
	v_add_f32_e32 v1, v1, v69
	v_lshrrev_b16_e32 v69, 8, v67
	v_mul_lo_u32 v64, v79, v64
	v_dot4c_i32_i8_e32 v66, v74, v63
	v_lshrrev_b16_e32 v71, 8, v68
	v_cvt_f32_i32_e32 v64, v64
	v_cvt_f32_i32_e32 v65, v65
	v_dot4c_i32_i8_e32 v66, v51, v62
	v_mul_lo_u32 v63, v70, v69
	v_cvt_f32_i32_e32 v63, v63
	v_fma_mix_f32 v64, v60, v64, 0 op_sel_hi:[1,0,0]
	v_mul_lo_u32 v62, v66, v71
	v_cvt_f32_i32_e32 v62, v62
	v_fma_mix_f32 v60, v60, v65, 0 op_sel_hi:[1,0,0]
	v_cvt_f32_f16_e32 v52, v42
	v_fma_mix_f32 v60, v61, v63, v60 op_sel_hi:[1,0,0]
	v_fma_mix_f32 v62, v61, v62, v64 op_sel_hi:[1,0,0]
	v_mul_f32_e32 v60, v60, v75
	v_fma_mix_f32 v60, v62, v39, -v60 op_sel_hi:[0,1,0]
	v_mov_b32_e32 v64, v13
	v_add_f32_e32 v0, v0, v60
	v_mov_b32_e32 v60, v13
	v_dot4c_i32_i8_e32 v64, v76, v48
	v_dot4c_i32_i8_e32 v60, 0x1010101, v48
	v_mov_b32_e32 v61, v13
	v_lshrrev_b16_e32 v63, 8, v56
	v_dot4c_i32_i8_e32 v64, v77, v47
	v_and_b32_sdwa v56, s28, v56 dst_sel:DWORD dst_unused:UNUSED_PAD src0_sel:DWORD src1_sel:BYTE_0
	v_dot4c_i32_i8_e32 v60, 0x1010101, v47
	v_dot4c_i32_i8_e32 v61, 0x1010101, v46
	v_lshrrev_b16_e32 v62, 8, v55
	v_mul_lo_u32 v56, v64, v56
	v_and_b32_sdwa v55, s28, v55 dst_sel:DWORD dst_unused:UNUSED_PAD src0_sel:DWORD src1_sel:BYTE_0
	v_mov_b32_e32 v64, v13
	v_dot4c_i32_i8_e32 v61, 0x1010101, v45
	v_mul_lo_u32 v55, v60, v55
	v_dot4c_i32_i8_e32 v64, v54, v46
	v_cvt_f32_i32_e32 v55, v55
	v_dot4c_i32_i8_e32 v64, v78, v45
	v_mul_lo_u32 v62, v61, v62
	v_cvt_f32_i32_e32 v56, v56
	v_cvt_f32_i32_e32 v62, v62
	v_mul_lo_u32 v63, v64, v63
	v_cvt_f32_i32_e32 v63, v63
	v_fma_mix_f32 v55, v43, v55, 0 op_sel_hi:[1,0,0]
	v_fma_mix_f32 v56, v43, v56, 0 op_sel_hi:[1,0,0]
	;; [unrolled: 1-line block ×4, first 2 shown]
	v_mul_f32_e32 v55, v55, v53
	v_mov_b32_e32 v62, v13
	v_fma_mix_f32 v55, v56, v42, -v55 op_sel_hi:[0,1,0]
	v_dot4c_i32_i8_e32 v62, v72, v48
	v_add_f32_e32 v7, v7, v55
	v_lshrrev_b16_e32 v55, 8, v49
	v_dot4c_i32_i8_e32 v62, v73, v47
	v_and_b32_sdwa v47, s28, v50 dst_sel:DWORD dst_unused:UNUSED_PAD src0_sel:DWORD src1_sel:BYTE_0
	v_and_b32_sdwa v48, s28, v49 dst_sel:DWORD dst_unused:UNUSED_PAD src0_sel:DWORD src1_sel:BYTE_0
	v_mov_b32_e32 v49, v13
	v_mul_lo_u32 v47, v62, v47
	v_mul_lo_u32 v48, v60, v48
	v_dot4c_i32_i8_e32 v49, v74, v46
	v_lshrrev_b16_e32 v56, 8, v50
	v_cvt_f32_i32_e32 v47, v47
	v_cvt_f32_i32_e32 v48, v48
	v_dot4c_i32_i8_e32 v49, v51, v45
	v_mul_lo_u32 v46, v61, v55
	v_cvt_f32_i32_e32 v46, v46
	v_fma_mix_f32 v47, v43, v47, 0 op_sel_hi:[1,0,0]
	v_mul_lo_u32 v45, v49, v56
	v_cvt_f32_i32_e32 v45, v45
	v_fma_mix_f32 v43, v43, v48, 0 op_sel_hi:[1,0,0]
	v_bfe_u32 v48, v41, 16, 8
	v_fma_mix_f32 v43, v44, v46, v43 op_sel_hi:[1,0,0]
	v_fma_mix_f32 v45, v44, v45, v47 op_sel_hi:[1,0,0]
	v_mul_f32_e32 v43, v43, v75
	v_fma_mix_f32 v43, v45, v39, -v43 op_sel_hi:[0,1,0]
	v_mov_b32_e32 v47, v13
	v_add_f32_e32 v6, v6, v43
	v_mov_b32_e32 v43, v13
	v_dot4c_i32_i8_e32 v47, v76, v38
	v_dot4c_i32_i8_e32 v43, 0x1010101, v38
	v_mov_b32_e32 v44, v13
	v_dot4c_i32_i8_e32 v47, v77, v37
	v_dot4c_i32_i8_e32 v43, 0x1010101, v37
	;; [unrolled: 1-line block ×3, first 2 shown]
	v_lshrrev_b16_e32 v45, 8, v41
	v_lshrrev_b32_e32 v46, 24, v41
	v_mul_lo_u32 v47, v47, v48
	v_and_b32_e32 v41, 0xff, v41
	v_mov_b32_e32 v48, v13
	v_dot4c_i32_i8_e32 v44, 0x1010101, v35
	v_mul_lo_u32 v41, v43, v41
	v_dot4c_i32_i8_e32 v48, v54, v36
	v_cvt_f32_i32_e32 v41, v41
	v_dot4c_i32_i8_e32 v48, v78, v35
	v_mul_lo_u32 v45, v44, v45
	v_cvt_f32_i32_e32 v47, v47
	v_cvt_f32_i32_e32 v45, v45
	v_mul_lo_u32 v46, v48, v46
	v_cvt_f32_i32_e32 v46, v46
	v_fma_mix_f32 v41, v33, v41, 0 op_sel_hi:[1,0,0]
	v_fma_mix_f32 v47, v33, v47, 0 op_sel_hi:[1,0,0]
	v_fma_mix_f32 v41, v34, v45, v41 op_sel_hi:[1,0,0]
	v_fma_mix_f32 v46, v34, v46, v47 op_sel_hi:[1,0,0]
	v_mul_f32_e32 v41, v41, v53
	v_mov_b32_e32 v45, v13
	v_fma_mix_f32 v41, v46, v42, -v41 op_sel_hi:[0,1,0]
	v_dot4c_i32_i8_e32 v45, v72, v38
	v_add_f32_e32 v5, v5, v41
	v_lshrrev_b16_e32 v41, 8, v40
	v_lshrrev_b32_e32 v42, 24, v40
	v_dot4c_i32_i8_e32 v45, v73, v37
	v_bfe_u32 v37, v40, 16, 8
	v_and_b32_e32 v38, 0xff, v40
	v_mov_b32_e32 v40, v13
	v_dot4c_i32_i8_e32 v40, v74, v36
	v_mul_lo_u32 v37, v45, v37
	v_mul_lo_u32 v38, v43, v38
	v_dot4c_i32_i8_e32 v40, v51, v35
	v_cvt_f32_i32_e32 v37, v37
	v_cvt_f32_i32_e32 v38, v38
	v_mul_lo_u32 v36, v44, v41
	v_mul_lo_u32 v35, v40, v42
	v_cvt_f32_i32_e32 v35, v35
	v_cvt_f32_i32_e32 v36, v36
	v_fma_mix_f32 v37, v33, v37, 0 op_sel_hi:[1,0,0]
	v_fma_mix_f32 v33, v33, v38, 0 op_sel_hi:[1,0,0]
	;; [unrolled: 1-line block ×4, first 2 shown]
	v_mov_b32_e32 v35, v13
	v_mov_b32_e32 v36, v13
	v_pk_lshrrev_b16 v34, 8, v27 op_sel_hi:[0,1]
	v_dot4c_i32_i8_e32 v35, v76, v31
	v_and_b32_e32 v27, 0xff00ff, v27
	v_dot4c_i32_i8_e32 v36, v54, v58
	v_dot4c_i32_i8_e32 v35, v77, v57
	;; [unrolled: 1-line block ×3, first 2 shown]
	v_lshrrev_b32_e32 v30, 16, v27
	v_and_b32_e32 v27, 0xff, v27
	v_lshrrev_b32_e32 v38, 16, v34
	v_and_b32_e32 v34, 0xff, v34
	v_mul_lo_u32 v27, v35, v27
	v_mul_lo_u32 v29, v29, v30
	v_cvt_f32_i32_e32 v31, v29
	v_cvt_f32_i32_e32 v30, v27
	v_mul_lo_u32 v27, v36, v34
	v_mul_lo_u32 v29, v59, v38
	v_cvt_f32_i32_e32 v35, v29
	v_cvt_f32_i32_e32 v34, v27
	v_mul_f32_e32 v33, v33, v75
	v_fma_mix_f32 v27, v37, v39, -v33 op_sel_hi:[0,1,0]
	v_pk_fma_f32 v[28:29], v[28:29], v[30:31], 0 op_sel_hi:[0,1,0]
	v_add_f32_e32 v4, v4, v27
	v_pk_fma_f32 v[26:27], v[26:27], v[34:35], v[28:29] op_sel_hi:[0,1,1]
	v_pk_mul_f32 v[26:27], v[26:27], v[52:53]
	v_add_u32_e32 v15, 8, v15
	v_sub_f32_e32 v26, v26, v27
	v_cmp_le_u32_e64 s[6:7], s2, v15
	v_add_f32_e32 v3, v3, v26
	v_lshl_add_u64 v[20:21], v[20:21], 0, s[12:13]
	v_add_u32_e32 v32, 64, v32
	v_add_u32_e32 v22, 64, v22
	s_or_b64 s[8:9], s[6:7], s[8:9]
	v_add_u32_e32 v23, 64, v23
	s_andn2_b64 exec, exec, s[8:9]
	s_cbranch_execz .LBB127_31
.LBB127_3:                              ; =>This Inner Loop Header: Depth=1
	v_lshl_add_u64 v[26:27], v[20:21], 0, v[16:17]
	global_load_dword v33, v[20:21], off offset:-36
	global_load_dword v34, v[20:21], off
	global_load_dword v38, v[26:27], off offset:-32
	global_load_dword v37, v[26:27], off offset:-16
	global_load_dword v36, v[26:27], off offset:4
	global_load_dword v35, v[26:27], off offset:20
	v_add_u32_e32 v26, s11, v15
	v_mad_i64_i32 v[28:29], s[6:7], v26, s16, v[24:25]
	v_lshl_add_u64 v[26:27], v[28:29], 0, v[10:11]
	v_lshl_add_u64 v[26:27], v[26:27], 0, v[16:17]
	global_load_dword v52, v[26:27], off offset:16
	global_load_dword v51, v[26:27], off offset:32
	v_lshl_add_u64 v[26:27], v[28:29], 0, v[12:13]
                                        ; implicit-def: $vgpr40
                                        ; implicit-def: $vgpr57
                                        ; implicit-def: $vgpr58
	s_and_saveexec_b64 s[6:7], vcc
	s_xor_b64 s[6:7], exec, s[6:7]
	s_cbranch_execz .LBB127_5
; %bb.4:                                ;   in Loop: Header=BB127_3 Depth=1
	global_load_ushort v57, v[26:27], off offset:8
	global_load_ushort v58, v[26:27], off offset:4
	global_load_ushort v30, v[26:27], off
	s_waitcnt vmcnt(1)
	v_lshrrev_b16_e32 v31, 2, v58
	s_waitcnt vmcnt(0)
	v_perm_b32 v30, v30, v57, s17
	v_perm_b32 v31, v57, v31, s17
	v_pk_lshrrev_b16 v30, s19, v30
	v_and_b32_e32 v31, 0xf0f3030, v31
	v_and_or_b32 v40, v30, s22, v31
.LBB127_5:                              ;   in Loop: Header=BB127_3 Depth=1
	s_andn2_saveexec_b64 s[6:7], s[6:7]
	s_cbranch_execz .LBB127_7
; %bb.6:                                ;   in Loop: Header=BB127_3 Depth=1
	global_load_ushort v58, v[26:27], off offset:4
	global_load_ushort v57, v[26:27], off offset:8
	s_waitcnt vmcnt(0)
	v_perm_b32 v30, v58, v57, s17
	v_and_b32_e32 v40, 0x3f3f3f3f, v30
.LBB127_7:                              ;   in Loop: Header=BB127_3 Depth=1
	s_or_b64 exec, exec, s[6:7]
	v_add_u32_e32 v39, s15, v15
	v_mov_b64_e32 v[30:31], s[20:21]
	v_mad_i64_i32 v[30:31], s[6:7], v39, s16, v[30:31]
	v_lshl_add_u64 v[42:43], v[30:31], 0, v[10:11]
	v_lshl_add_u64 v[42:43], v[42:43], 0, v[16:17]
	global_load_dword v39, v[28:29], off
	global_load_dword v54, v[42:43], off offset:16
	global_load_dword v53, v[42:43], off offset:32
	v_lshl_add_u64 v[28:29], v[30:31], 0, v[12:13]
                                        ; implicit-def: $vgpr59
                                        ; implicit-def: $vgpr41
	s_and_saveexec_b64 s[6:7], vcc
	s_xor_b64 s[6:7], exec, s[6:7]
	s_cbranch_execz .LBB127_9
; %bb.8:                                ;   in Loop: Header=BB127_3 Depth=1
	global_load_ushort v42, v[28:29], off offset:8
	global_load_ushort v43, v[28:29], off offset:4
	global_load_ushort v41, v[28:29], off
	s_waitcnt vmcnt(1)
	v_lshrrev_b16_e32 v44, 2, v43
	s_waitcnt vmcnt(0)
	v_perm_b32 v41, v41, v42, s17
	v_perm_b32 v44, v42, v44, s17
	v_pk_lshrrev_b16 v41, s19, v41
	v_and_b32_e32 v44, 0xf0f3030, v44
	v_and_or_b32 v41, v41, s22, v44
	v_perm_b32 v59, v42, v43, s17
.LBB127_9:                              ;   in Loop: Header=BB127_3 Depth=1
	s_andn2_saveexec_b64 s[6:7], s[6:7]
	s_cbranch_execz .LBB127_11
; %bb.10:                               ;   in Loop: Header=BB127_3 Depth=1
	global_load_ushort v42, v[28:29], off offset:4
	global_load_ushort v43, v[28:29], off offset:8
	s_waitcnt vmcnt(0)
	v_perm_b32 v41, v42, v43, s17
	v_and_b32_e32 v41, 0x3f3f3f3f, v41
	v_perm_b32 v59, v43, v42, s17
.LBB127_11:                             ;   in Loop: Header=BB127_3 Depth=1
	s_or_b64 exec, exec, s[6:7]
	global_load_dword v42, v[30:31], off
	v_mad_u64_u32 v[60:61], s[6:7], v23, 36, v[18:19]
	v_lshlrev_b32_e32 v30, 2, v14
	v_mov_b32_e32 v31, v13
	v_lshl_add_u64 v[62:63], v[60:61], 0, v[30:31]
	global_load_dword v43, v[60:61], off
	global_load_dword v47, v[62:63], off offset:20
	global_load_dword v46, v[62:63], off offset:40
	;; [unrolled: 1-line block ×5, first 2 shown]
	v_lshrrev_b16_e32 v31, 4, v57
	v_lshrrev_b16_e32 v49, 2, v58
	v_and_b32_e32 v72, 0xf0f, v57
	v_and_b32_e32 v73, 0xf0f, v31
	v_and_b32_e32 v74, 0x3030, v49
                                        ; implicit-def: $vgpr50
                                        ; implicit-def: $vgpr49
	s_and_saveexec_b64 s[6:7], vcc
	s_xor_b64 s[6:7], exec, s[6:7]
	s_cbranch_execz .LBB127_13
; %bb.12:                               ;   in Loop: Header=BB127_3 Depth=1
	global_load_ushort v31, v[26:27], off
	v_or_b32_e32 v49, v74, v73
	s_waitcnt vmcnt(0)
	v_lshrrev_b16_e32 v31, 2, v31
	v_and_b32_e32 v31, 0x3030, v31
	v_or_b32_e32 v50, v31, v72
.LBB127_13:                             ;   in Loop: Header=BB127_3 Depth=1
	s_or_saveexec_b64 s[6:7], s[6:7]
	v_and_b32_e32 v66, 0x3f3f, v58
	v_and_b32_e32 v70, 0x3f3f, v57
	s_xor_b64 exec, exec, s[6:7]
; %bb.14:                               ;   in Loop: Header=BB127_3 Depth=1
	v_and_b32_e32 v50, 0x3f3f, v58
	v_and_b32_e32 v49, 0x3f3f, v57
; %bb.15:                               ;   in Loop: Header=BB127_3 Depth=1
	s_or_b64 exec, exec, s[6:7]
	v_lshrrev_b32_e32 v75, 20, v59
	v_and_b32_sdwa v76, v59, s23 dst_sel:DWORD dst_unused:UNUSED_PAD src0_sel:WORD_1 src1_sel:DWORD
	v_and_b32_e32 v77, 0xf0f, v75
	v_lshrrev_b16_e32 v78, 2, v59
                                        ; implicit-def: $vgpr56
                                        ; implicit-def: $vgpr55
	s_and_saveexec_b64 s[6:7], vcc
	s_xor_b64 s[6:7], exec, s[6:7]
	s_cbranch_execz .LBB127_17
; %bb.16:                               ;   in Loop: Header=BB127_3 Depth=1
	global_load_ushort v31, v[28:29], off
	v_and_b32_e32 v55, 0x3030, v78
	v_or_b32_e32 v55, v55, v77
	s_waitcnt vmcnt(0)
	v_lshrrev_b16_e32 v31, 2, v31
	v_and_b32_e32 v31, 0x3030, v31
	v_or_b32_e32 v56, v31, v76
.LBB127_17:                             ;   in Loop: Header=BB127_3 Depth=1
	s_or_saveexec_b64 s[6:7], s[6:7]
	v_and_b32_e32 v69, 0x3f3f, v59
	v_and_b32_sdwa v71, v59, s26 dst_sel:DWORD dst_unused:UNUSED_PAD src0_sel:WORD_1 src1_sel:DWORD
	s_xor_b64 exec, exec, s[6:7]
; %bb.18:                               ;   in Loop: Header=BB127_3 Depth=1
	v_and_b32_e32 v56, 0x3f3f, v59
	v_and_b32_sdwa v55, v59, s26 dst_sel:DWORD dst_unused:UNUSED_PAD src0_sel:WORD_1 src1_sel:DWORD
; %bb.19:                               ;   in Loop: Header=BB127_3 Depth=1
	s_or_b64 exec, exec, s[6:7]
	v_mad_u64_u32 v[80:81], s[6:7], v32, 36, v[18:19]
	v_mov_b32_e32 v31, v13
	v_lshl_add_u64 v[82:83], v[80:81], 0, v[30:31]
	global_load_dword v60, v[80:81], off
	global_load_dword v64, v[82:83], off offset:20
	global_load_dword v63, v[82:83], off offset:40
	;; [unrolled: 1-line block ×5, first 2 shown]
                                        ; implicit-def: $vgpr68
                                        ; implicit-def: $vgpr67
	s_and_saveexec_b64 s[6:7], vcc
	s_xor_b64 s[6:7], exec, s[6:7]
	s_cbranch_execnz .LBB127_29
; %bb.20:                               ;   in Loop: Header=BB127_3 Depth=1
	s_andn2_saveexec_b64 s[6:7], s[6:7]
	s_cbranch_execnz .LBB127_30
.LBB127_21:                             ;   in Loop: Header=BB127_3 Depth=1
	s_or_b64 exec, exec, s[6:7]
	s_and_saveexec_b64 s[6:7], vcc
	s_xor_b64 s[6:7], exec, s[6:7]
	s_cbranch_execz .LBB127_23
.LBB127_22:                             ;   in Loop: Header=BB127_3 Depth=1
	global_load_ushort v31, v[28:29], off
	v_and_b32_e32 v57, 0x3030, v78
	v_or_b32_e32 v71, v57, v77
	s_waitcnt vmcnt(0)
	v_lshrrev_b16_e32 v31, 2, v31
	v_and_b32_e32 v31, 0x3030, v31
	v_or_b32_e32 v69, v31, v76
.LBB127_23:                             ;   in Loop: Header=BB127_3 Depth=1
	s_andn2_saveexec_b64 s[6:7], s[6:7]
	s_or_b64 exec, exec, s[6:7]
	v_mad_u64_u32 v[78:79], s[6:7], v22, 36, v[18:19]
	v_mov_b32_e32 v31, v13
	v_lshl_add_u64 v[80:81], v[78:79], 0, v[30:31]
	global_load_dword v76, v[78:79], off
	global_load_dword v31, v[80:81], off offset:4
	global_load_dword v57, v[80:81], off offset:20
	;; [unrolled: 1-line block ×5, first 2 shown]
	s_and_saveexec_b64 s[6:7], vcc
	s_xor_b64 s[6:7], exec, s[6:7]
	s_cbranch_execz .LBB127_25
; %bb.24:                               ;   in Loop: Header=BB127_3 Depth=1
	global_load_ushort v26, v[26:27], off
	v_or_b32_e32 v70, v74, v73
	s_waitcnt vmcnt(0)
	v_lshrrev_b16_e32 v26, 2, v26
	v_and_b32_e32 v26, 0x3030, v26
	v_or_b32_e32 v66, v26, v72
.LBB127_25:                             ;   in Loop: Header=BB127_3 Depth=1
	s_andn2_saveexec_b64 s[6:7], s[6:7]
	s_or_b64 exec, exec, s[6:7]
                                        ; implicit-def: $vgpr27
	s_and_saveexec_b64 s[6:7], vcc
	s_xor_b64 s[6:7], exec, s[6:7]
	s_cbranch_execz .LBB127_27
; %bb.26:                               ;   in Loop: Header=BB127_3 Depth=1
	global_load_ushort v26, v[28:29], off
	v_alignbit_b32 v27, v75, v59, 16
	v_and_b32_e32 v27, 0xf0f0f0f, v27
	s_waitcnt vmcnt(0)
	v_perm_b32 v26, v59, v26, s17
	v_pk_lshrrev_b16 v26, 2, v26 op_sel_hi:[0,1]
	v_and_or_b32 v27, v26, s27, v27
                                        ; implicit-def: $vgpr59
.LBB127_27:                             ;   in Loop: Header=BB127_3 Depth=1
	s_andn2_saveexec_b64 s[6:7], s[6:7]
	s_cbranch_execz .LBB127_2
; %bb.28:                               ;   in Loop: Header=BB127_3 Depth=1
	v_and_b32_e32 v27, 0x3f3f3f3f, v59
	s_branch .LBB127_2
.LBB127_29:                             ;   in Loop: Header=BB127_3 Depth=1
	global_load_ushort v31, v[26:27], off
	v_or_b32_e32 v67, v74, v73
                                        ; implicit-def: $vgpr58
                                        ; implicit-def: $vgpr57
	s_waitcnt vmcnt(0)
	v_lshrrev_b16_e32 v31, 2, v31
	v_and_b32_e32 v31, 0x3030, v31
	v_or_b32_e32 v68, v31, v72
	s_andn2_saveexec_b64 s[6:7], s[6:7]
	s_cbranch_execz .LBB127_21
.LBB127_30:                             ;   in Loop: Header=BB127_3 Depth=1
	v_and_b32_e32 v68, 0x3f3f, v58
	v_and_b32_e32 v67, 0x3f3f, v57
	s_or_b64 exec, exec, s[6:7]
	s_and_saveexec_b64 s[6:7], vcc
	s_xor_b64 s[6:7], exec, s[6:7]
	s_cbranch_execnz .LBB127_22
	s_branch .LBB127_23
.LBB127_31:
	s_or_b64 exec, exec, s[8:9]
	scratch_store_dwordx4 off, v[4:7], off
	scratch_store_dwordx4 off, v[0:3], off offset:16
.LBB127_32:
	s_or_b64 exec, exec, s[24:25]
	v_cmp_eq_u32_e32 vcc, 0, v9
	v_cmp_ne_u32_e64 s[6:7], 0, v9
	v_lshlrev_b32_e32 v10, 2, v8
	s_and_saveexec_b64 s[8:9], s[6:7]
	s_cbranch_execz .LBB127_34
; %bb.33:
	v_lshlrev_b32_e32 v9, 11, v9
	s_movk_i32 s2, 0xf800
	v_add3_u32 v9, v9, v10, s2
	ds_write2st64_b32 v9, v4, v5 offset1:1
	ds_write2st64_b32 v9, v6, v7 offset0:2 offset1:3
	ds_write2st64_b32 v9, v0, v1 offset0:4 offset1:5
	;; [unrolled: 1-line block ×3, first 2 shown]
.LBB127_34:
	s_or_b64 exec, exec, s[8:9]
	s_waitcnt lgkmcnt(0)
	s_barrier
	s_and_saveexec_b64 s[6:7], vcc
	s_cbranch_execz .LBB127_43
; %bb.35:
	scratch_load_dwordx2 v[2:3], off, off
	v_mbcnt_lo_u32_b32 v0, -1, 0
	ds_read2st64_b32 v[4:5], v10 offset1:1
	v_mbcnt_hi_u32_b32 v9, -1, v0
	v_and_b32_e32 v0, 64, v9
	v_xor_b32_e32 v1, 32, v9
	v_add_u32_e32 v14, 64, v0
	v_cmp_lt_i32_e32 vcc, v1, v14
	v_xor_b32_e32 v6, 16, v9
	v_xor_b32_e32 v11, 8, v9
	v_cndmask_b32_e32 v0, v9, v1, vcc
	v_lshlrev_b32_e32 v0, 2, v0
	v_cmp_lt_i32_e32 vcc, v6, v14
	v_xor_b32_e32 v12, 4, v9
	v_xor_b32_e32 v15, 2, v9
	v_cndmask_b32_e32 v1, v9, v6, vcc
	v_lshlrev_b32_e32 v1, 2, v1
	v_cmp_lt_i32_e32 vcc, v11, v14
	s_load_dwordx2 s[0:1], s[0:1], 0x38
	s_mul_i32 s2, s3, s14
	s_mul_i32 s4, s4, s18
	s_add_i32 s2, s2, s5
	s_mov_b32 s3, 0
	s_add_i32 s2, s2, s4
	s_lshl_b64 s[2:3], s[2:3], 2
	s_waitcnt lgkmcnt(0)
	s_add_u32 s2, s0, s2
	s_addc_u32 s3, s1, s3
	s_waitcnt vmcnt(0)
	v_pk_add_f32 v[2:3], v[4:5], v[2:3]
	ds_bpermute_b32 v4, v0, v2
	ds_bpermute_b32 v5, v0, v3
	s_waitcnt lgkmcnt(0)
	v_pk_add_f32 v[4:5], v[2:3], v[4:5]
	ds_bpermute_b32 v6, v1, v4
	ds_bpermute_b32 v7, v1, v5
	v_cndmask_b32_e32 v2, v9, v11, vcc
	v_lshlrev_b32_e32 v2, 2, v2
	v_cmp_lt_i32_e32 vcc, v12, v14
	v_xor_b32_e32 v11, 1, v9
	s_waitcnt lgkmcnt(0)
	v_pk_add_f32 v[4:5], v[4:5], v[6:7]
	ds_bpermute_b32 v6, v2, v4
	ds_bpermute_b32 v7, v2, v5
	v_cndmask_b32_e32 v3, v9, v12, vcc
	v_lshlrev_b32_e32 v3, 2, v3
	v_cmp_lt_i32_e32 vcc, v15, v14
	s_waitcnt lgkmcnt(0)
	v_pk_add_f32 v[6:7], v[4:5], v[6:7]
	ds_bpermute_b32 v12, v3, v6
	ds_bpermute_b32 v13, v3, v7
	v_cndmask_b32_e32 v4, v9, v15, vcc
	v_lshlrev_b32_e32 v4, 2, v4
	v_cmp_lt_i32_e32 vcc, v11, v14
	s_waitcnt lgkmcnt(0)
	v_pk_add_f32 v[6:7], v[6:7], v[12:13]
	ds_bpermute_b32 v12, v4, v6
	ds_bpermute_b32 v13, v4, v7
	v_cndmask_b32_e32 v5, v9, v11, vcc
	v_lshlrev_b32_e32 v5, 2, v5
	v_or_b32_e32 v9, s5, v8
	v_cmp_gt_u32_e32 vcc, 2, v8
	s_waitcnt lgkmcnt(0)
	v_pk_add_f32 v[6:7], v[6:7], v[12:13]
	ds_bpermute_b32 v12, v5, v6
	ds_bpermute_b32 v13, v5, v7
	v_cmp_gt_u32_e64 s[0:1], s10, v9
	s_and_b64 s[0:1], vcc, s[0:1]
	s_waitcnt lgkmcnt(0)
	v_pk_add_f32 v[6:7], v[6:7], v[12:13]
	scratch_store_dwordx2 off, v[6:7], off
	s_and_saveexec_b64 s[4:5], s[0:1]
	s_cbranch_execz .LBB127_37
; %bb.36:
	scratch_load_dword v6, v10, off
	s_waitcnt vmcnt(0)
	global_store_dword v10, v6, s[2:3]
.LBB127_37:
	s_or_b64 exec, exec, s[4:5]
	scratch_load_dwordx2 v[6:7], off, off offset:8
	ds_read2st64_b32 v[12:13], v10 offset0:2 offset1:3
	s_waitcnt vmcnt(0) lgkmcnt(0)
	v_pk_add_f32 v[6:7], v[12:13], v[6:7]
	ds_bpermute_b32 v12, v0, v6
	ds_bpermute_b32 v13, v0, v7
	s_waitcnt lgkmcnt(0)
	v_pk_add_f32 v[6:7], v[6:7], v[12:13]
	ds_bpermute_b32 v12, v1, v6
	ds_bpermute_b32 v13, v1, v7
	s_waitcnt lgkmcnt(0)
	;; [unrolled: 4-line block ×6, first 2 shown]
	v_pk_add_f32 v[6:7], v[6:7], v[12:13]
	scratch_store_dwordx2 off, v[6:7], off offset:8
	s_and_saveexec_b64 s[4:5], s[0:1]
	s_cbranch_execz .LBB127_39
; %bb.38:
	scratch_load_dword v9, v10, off offset:8
	v_add_u32_e32 v6, s10, v8
	v_mov_b32_e32 v7, 0
	v_lshl_add_u64 v[6:7], v[6:7], 2, s[2:3]
	s_waitcnt vmcnt(0)
	global_store_dword v[6:7], v9, off
.LBB127_39:
	s_or_b64 exec, exec, s[4:5]
	scratch_load_dwordx2 v[6:7], off, off offset:16
	ds_read2st64_b32 v[12:13], v10 offset0:4 offset1:5
	s_waitcnt vmcnt(0) lgkmcnt(0)
	v_pk_add_f32 v[6:7], v[12:13], v[6:7]
	ds_bpermute_b32 v12, v0, v6
	ds_bpermute_b32 v13, v0, v7
	s_waitcnt lgkmcnt(0)
	v_pk_add_f32 v[6:7], v[6:7], v[12:13]
	ds_bpermute_b32 v12, v1, v6
	ds_bpermute_b32 v13, v1, v7
	s_waitcnt lgkmcnt(0)
	;; [unrolled: 4-line block ×6, first 2 shown]
	v_pk_add_f32 v[6:7], v[6:7], v[12:13]
	scratch_store_dwordx2 off, v[6:7], off offset:16
	s_and_saveexec_b64 s[4:5], s[0:1]
	s_cbranch_execz .LBB127_41
; %bb.40:
	scratch_load_dword v9, v10, off offset:16
	v_lshl_or_b32 v6, s10, 1, v8
	v_mov_b32_e32 v7, 0
	v_lshl_add_u64 v[6:7], v[6:7], 2, s[2:3]
	s_waitcnt vmcnt(0)
	global_store_dword v[6:7], v9, off
.LBB127_41:
	s_or_b64 exec, exec, s[4:5]
	scratch_load_dwordx2 v[6:7], off, off offset:24
	ds_read2st64_b32 v[12:13], v10 offset0:6 offset1:7
	s_waitcnt vmcnt(0) lgkmcnt(0)
	v_pk_add_f32 v[6:7], v[12:13], v[6:7]
	ds_bpermute_b32 v12, v0, v6
	ds_bpermute_b32 v13, v0, v7
	s_waitcnt lgkmcnt(0)
	v_pk_add_f32 v[6:7], v[6:7], v[12:13]
	ds_bpermute_b32 v0, v1, v6
	ds_bpermute_b32 v1, v1, v7
	s_waitcnt lgkmcnt(0)
	v_pk_add_f32 v[0:1], v[6:7], v[0:1]
	ds_bpermute_b32 v6, v2, v0
	ds_bpermute_b32 v7, v2, v1
	s_waitcnt lgkmcnt(0)
	v_pk_add_f32 v[0:1], v[0:1], v[6:7]
	ds_bpermute_b32 v2, v3, v0
	ds_bpermute_b32 v3, v3, v1
	s_waitcnt lgkmcnt(0)
	v_pk_add_f32 v[0:1], v[0:1], v[2:3]
	ds_bpermute_b32 v2, v4, v0
	ds_bpermute_b32 v3, v4, v1
	s_waitcnt lgkmcnt(0)
	v_pk_add_f32 v[0:1], v[0:1], v[2:3]
	ds_bpermute_b32 v2, v5, v0
	ds_bpermute_b32 v3, v5, v1
	s_waitcnt lgkmcnt(0)
	v_pk_add_f32 v[0:1], v[0:1], v[2:3]
	scratch_store_dwordx2 off, v[0:1], off offset:24
	s_and_b64 exec, exec, s[0:1]
	s_cbranch_execz .LBB127_43
; %bb.42:
	scratch_load_dword v2, v10, off offset:24
	v_mad_u64_u32 v[0:1], s[0:1], s10, 3, v[8:9]
	v_mov_b32_e32 v1, 0
	v_lshl_add_u64 v[0:1], v[0:1], 2, s[2:3]
	s_waitcnt vmcnt(0)
	global_store_dword v[0:1], v2, off
.LBB127_43:
	s_endpgm
	.section	.rodata,"a",@progbits
	.p2align	6, 0x0
	.amdhsa_kernel _ZL13mul_mat_vec_qIL9ggml_type12ELi4ELb0ELb0EEvPKvS2_PKi31ggml_cuda_mm_fusion_args_devicePfj15HIP_vector_typeIjLj3EEjjjS8_jjjS8_jjjj
		.amdhsa_group_segment_fixed_size 2048
		.amdhsa_private_segment_fixed_size 48
		.amdhsa_kernarg_size 144
		.amdhsa_user_sgpr_count 2
		.amdhsa_user_sgpr_dispatch_ptr 0
		.amdhsa_user_sgpr_queue_ptr 0
		.amdhsa_user_sgpr_kernarg_segment_ptr 1
		.amdhsa_user_sgpr_dispatch_id 0
		.amdhsa_user_sgpr_kernarg_preload_length 0
		.amdhsa_user_sgpr_kernarg_preload_offset 0
		.amdhsa_user_sgpr_private_segment_size 0
		.amdhsa_uses_dynamic_stack 0
		.amdhsa_enable_private_segment 1
		.amdhsa_system_sgpr_workgroup_id_x 1
		.amdhsa_system_sgpr_workgroup_id_y 1
		.amdhsa_system_sgpr_workgroup_id_z 1
		.amdhsa_system_sgpr_workgroup_info 0
		.amdhsa_system_vgpr_workitem_id 1
		.amdhsa_next_free_vgpr 84
		.amdhsa_next_free_sgpr 29
		.amdhsa_accum_offset 84
		.amdhsa_reserve_vcc 1
		.amdhsa_float_round_mode_32 0
		.amdhsa_float_round_mode_16_64 0
		.amdhsa_float_denorm_mode_32 3
		.amdhsa_float_denorm_mode_16_64 3
		.amdhsa_dx10_clamp 1
		.amdhsa_ieee_mode 1
		.amdhsa_fp16_overflow 0
		.amdhsa_tg_split 0
		.amdhsa_exception_fp_ieee_invalid_op 0
		.amdhsa_exception_fp_denorm_src 0
		.amdhsa_exception_fp_ieee_div_zero 0
		.amdhsa_exception_fp_ieee_overflow 0
		.amdhsa_exception_fp_ieee_underflow 0
		.amdhsa_exception_fp_ieee_inexact 0
		.amdhsa_exception_int_div_zero 0
	.end_amdhsa_kernel
	.section	.text._ZL13mul_mat_vec_qIL9ggml_type12ELi4ELb0ELb0EEvPKvS2_PKi31ggml_cuda_mm_fusion_args_devicePfj15HIP_vector_typeIjLj3EEjjjS8_jjjS8_jjjj,"axG",@progbits,_ZL13mul_mat_vec_qIL9ggml_type12ELi4ELb0ELb0EEvPKvS2_PKi31ggml_cuda_mm_fusion_args_devicePfj15HIP_vector_typeIjLj3EEjjjS8_jjjS8_jjjj,comdat
.Lfunc_end127:
	.size	_ZL13mul_mat_vec_qIL9ggml_type12ELi4ELb0ELb0EEvPKvS2_PKi31ggml_cuda_mm_fusion_args_devicePfj15HIP_vector_typeIjLj3EEjjjS8_jjjS8_jjjj, .Lfunc_end127-_ZL13mul_mat_vec_qIL9ggml_type12ELi4ELb0ELb0EEvPKvS2_PKi31ggml_cuda_mm_fusion_args_devicePfj15HIP_vector_typeIjLj3EEjjjS8_jjjS8_jjjj
                                        ; -- End function
	.section	.AMDGPU.csdata,"",@progbits
; Kernel info:
; codeLenInByte = 4524
; NumSgprs: 35
; NumVgprs: 84
; NumAgprs: 0
; TotalNumVgprs: 84
; ScratchSize: 48
; MemoryBound: 0
; FloatMode: 240
; IeeeMode: 1
; LDSByteSize: 2048 bytes/workgroup (compile time only)
; SGPRBlocks: 4
; VGPRBlocks: 10
; NumSGPRsForWavesPerEU: 35
; NumVGPRsForWavesPerEU: 84
; AccumOffset: 84
; Occupancy: 5
; WaveLimiterHint : 0
; COMPUTE_PGM_RSRC2:SCRATCH_EN: 1
; COMPUTE_PGM_RSRC2:USER_SGPR: 2
; COMPUTE_PGM_RSRC2:TRAP_HANDLER: 0
; COMPUTE_PGM_RSRC2:TGID_X_EN: 1
; COMPUTE_PGM_RSRC2:TGID_Y_EN: 1
; COMPUTE_PGM_RSRC2:TGID_Z_EN: 1
; COMPUTE_PGM_RSRC2:TIDIG_COMP_CNT: 1
; COMPUTE_PGM_RSRC3_GFX90A:ACCUM_OFFSET: 20
; COMPUTE_PGM_RSRC3_GFX90A:TG_SPLIT: 0
	.section	.text._ZL13mul_mat_vec_qIL9ggml_type12ELi5ELb0ELb0EEvPKvS2_PKi31ggml_cuda_mm_fusion_args_devicePfj15HIP_vector_typeIjLj3EEjjjS8_jjjS8_jjjj,"axG",@progbits,_ZL13mul_mat_vec_qIL9ggml_type12ELi5ELb0ELb0EEvPKvS2_PKi31ggml_cuda_mm_fusion_args_devicePfj15HIP_vector_typeIjLj3EEjjjS8_jjjS8_jjjj,comdat
	.globl	_ZL13mul_mat_vec_qIL9ggml_type12ELi5ELb0ELb0EEvPKvS2_PKi31ggml_cuda_mm_fusion_args_devicePfj15HIP_vector_typeIjLj3EEjjjS8_jjjS8_jjjj ; -- Begin function _ZL13mul_mat_vec_qIL9ggml_type12ELi5ELb0ELb0EEvPKvS2_PKi31ggml_cuda_mm_fusion_args_devicePfj15HIP_vector_typeIjLj3EEjjjS8_jjjS8_jjjj
	.p2align	8
	.type	_ZL13mul_mat_vec_qIL9ggml_type12ELi5ELb0ELb0EEvPKvS2_PKi31ggml_cuda_mm_fusion_args_devicePfj15HIP_vector_typeIjLj3EEjjjS8_jjjS8_jjjj,@function
_ZL13mul_mat_vec_qIL9ggml_type12ELi5ELb0ELb0EEvPKvS2_PKi31ggml_cuda_mm_fusion_args_devicePfj15HIP_vector_typeIjLj3EEjjjS8_jjjS8_jjjj: ; @_ZL13mul_mat_vec_qIL9ggml_type12ELi5ELb0ELb0EEvPKvS2_PKi31ggml_cuda_mm_fusion_args_devicePfj15HIP_vector_typeIjLj3EEjjjS8_jjjS8_jjjj
; %bb.0:
	v_bfe_u32 v9, v0, 10, 10
	v_and_b32_e32 v8, 0x3ff, v0
	s_mov_b32 s20, 0
	s_load_dword s5, s[0:1], 0x40
	s_load_dwordx4 s[8:11], s[0:1], 0x50
	s_load_dword s7, s[0:1], 0x60
	s_load_dwordx4 s[12:15], s[0:1], 0x68
	;; [unrolled: 2-line block ×3, first 2 shown]
	v_lshl_or_b32 v4, v9, 6, v8
	s_mov_b32 s21, s20
	s_waitcnt lgkmcnt(0)
	s_lshr_b32 s5, s5, 8
	v_mov_b32_e32 v11, 0
	s_mov_b32 s22, s20
	s_mov_b32 s23, s20
	v_mov_b64_e32 v[0:1], s[20:21]
	v_lshrrev_b32_e32 v15, 4, v4
	s_lshl_b32 s2, s2, 1
	v_mov_b32_e32 v10, v11
	v_mov_b64_e32 v[2:3], s[22:23]
	v_cmp_gt_u32_e32 vcc, s5, v15
	scratch_store_dwordx2 off, v[10:11], off offset:32
	scratch_store_dwordx4 off, v[0:3], off offset:16
	scratch_store_dwordx4 off, v[0:3], off
	s_and_saveexec_b64 s[24:25], vcc
	s_cbranch_execz .LBB128_40
; %bb.1:
	s_mul_hi_u32 s11, s11, s3
	s_add_i32 s11, s3, s11
	s_lshr_b32 s7, s11, s7
	s_load_dwordx4 s[20:23], s[0:1], 0x0
	s_mul_i32 s11, s7, s12
	s_mul_hi_u32 s7, s15, s4
	s_add_i32 s7, s4, s7
	s_lshr_b32 s6, s7, s6
	s_mul_i32 s15, s6, s16
	s_mul_i32 s6, s4, s17
	s_mul_hi_u32 s7, s6, 36
	s_mul_i32 s6, s6, 36
	s_waitcnt lgkmcnt(0)
	s_add_u32 s6, s22, s6
	s_mul_i32 s12, s3, s13
	s_addc_u32 s7, s23, s7
	s_mul_hi_u32 s13, s12, 36
	s_mul_i32 s12, s12, 36
	v_lshlrev_b32_e32 v0, 1, v8
	s_add_u32 s6, s6, s12
	v_and_b32_e32 v1, 30, v0
	v_bfe_u32 v0, v0, 3, 2
	s_addc_u32 s7, s7, s13
	v_cmp_lt_u32_e32 vcc, 15, v1
	v_lshlrev_b32_e32 v1, 1, v0
	v_mad_u64_u32 v[18:19], s[12:13], v1, 36, s[6:7]
	v_lshl_add_u32 v1, v9, 6, v8
	v_bfe_u32 v2, v8, 2, 2
	v_lshrrev_b32_e32 v1, 4, v1
	v_mul_hi_u32_u24_e32 v3, 0x48, v2
	v_mul_u32_u24_e32 v2, 0x48, v2
	s_movk_i32 s12, 0x120
	v_mad_u64_u32 v[2:3], s[12:13], v1, s12, v[2:3]
	v_lshl_add_u64 v[2:3], s[6:7], 0, v[2:3]
	s_add_i32 s7, s2, 1
	v_and_b32_e32 v14, 3, v8
	s_mul_i32 s16, s2, s8
	s_add_i32 s6, s15, s11
	s_mul_i32 s7, s8, s7
	v_lshlrev_b32_e32 v12, 5, v0
	v_mov_b32_e32 v13, v11
	v_lshlrev_b32_e32 v16, 2, v14
	v_mov_b32_e32 v17, v11
	v_lshl_add_u64 v[20:21], v[2:3], 0, 36
	s_add_i32 s11, s6, s16
	s_lshl_b32 s15, s9, 1
	v_lshlrev_b32_e32 v32, 3, v15
	s_mul_i32 s19, s9, 3
	s_lshl_b32 s22, s9, 2
	s_add_i32 s8, s6, s7
	s_mov_b64 s[12:13], 0
	s_movk_i32 s23, 0x90
	v_mov_b64_e32 v[22:23], s[20:21]
	v_lshlrev_b32_e32 v10, 1, v0
	s_mov_b32 s26, 0x5040100
	s_mov_b32 s27, 0x20004
	;; [unrolled: 1-line block ×3, first 2 shown]
	s_movk_i32 s29, 0xf0f
	s_movk_i32 s30, 0x3f3f
	s_mov_b32 s31, 0x30303030
	s_mov_b32 s33, 0xffff
	s_mov_b64 s[16:17], 0x480
	v_mov_b32_e32 v25, v11
	v_mov_b32_e32 v24, v11
	;; [unrolled: 1-line block ×10, first 2 shown]
	s_branch .LBB128_3
.LBB128_2:                              ;   in Loop: Header=BB128_3 Depth=1
	s_or_b64 exec, exec, s[6:7]
	s_waitcnt vmcnt(29)
	v_and_b32_e32 v76, 0xf0f0f0f, v54
	v_mov_b32_e32 v89, v11
	s_waitcnt vmcnt(28)
	v_and_b32_e32 v77, 0xf0f0f0f, v53
	s_waitcnt vmcnt(1)
	v_dot4c_i32_i8_e32 v89, v76, v68
	v_mov_b32_e32 v29, v11
	v_lshrrev_b32_e32 v31, 4, v54
	v_lshrrev_b16_e32 v80, 8, v70
	v_dot4c_i32_i8_e32 v89, v77, v67
	v_and_b32_sdwa v70, s33, v70 dst_sel:DWORD dst_unused:UNUSED_PAD src0_sel:DWORD src1_sel:BYTE_0
	v_dot4c_i32_i8_e32 v29, 0x1010101, v68
	v_mov_b32_e32 v69, v11
	v_and_b32_e32 v54, 0xf0f0f0f, v31
	v_lshrrev_b32_e32 v31, 4, v53
	v_mul_lo_u32 v70, v89, v70
	v_mov_b32_e32 v89, v11
	v_dot4c_i32_i8_e32 v29, 0x1010101, v67
	v_dot4c_i32_i8_e32 v69, 0x1010101, v66
	v_and_b32_e32 v53, 0xf0f0f0f, v31
	v_lshrrev_b16_e32 v31, 8, v72
	v_and_b32_sdwa v72, s33, v72 dst_sel:DWORD dst_unused:UNUSED_PAD src0_sel:DWORD src1_sel:BYTE_0
	v_dot4c_i32_i8_e32 v89, v54, v66
	v_dot4c_i32_i8_e32 v69, 0x1010101, v65
	v_mul_lo_u32 v72, v29, v72
	v_dot4c_i32_i8_e32 v89, v53, v65
	v_cvt_f32_i32_e32 v70, v70
	v_cvt_f32_i32_e32 v72, v72
	v_mul_lo_u32 v31, v69, v31
	v_mul_lo_u32 v80, v89, v80
	v_cvt_f32_i32_e32 v80, v80
	v_cvt_f32_i32_e32 v31, v31
	v_cvt_f32_f16_sdwa v78, v39 dst_sel:DWORD dst_unused:UNUSED_PAD src0_sel:WORD_1
	v_fma_mix_f32 v70, v88, v70, 0 op_sel_hi:[1,0,0]
	v_fma_mix_f32 v72, v88, v72, 0 op_sel_hi:[1,0,0]
	s_waitcnt vmcnt(0)
	v_cvt_f32_f16_e32 v26, v30
	v_fma_mix_f32 v70, v30, v80, v70 op_sel_hi:[1,0,0]
	v_fma_mix_f32 v30, v30, v31, v72 op_sel_hi:[1,0,0]
	v_and_b32_e32 v80, 0xf0f0f0f, v56
	v_mul_f32_e32 v30, v30, v78
	v_mov_b32_e32 v91, v11
	v_cvt_f32_f16_e32 v28, v88
	v_fma_mix_f32 v30, v70, v39, -v30 op_sel_hi:[0,1,0]
	v_mov_b32_e32 v70, v11
	v_and_b32_e32 v88, 0xf0f0f0f, v55
	v_dot4c_i32_i8_e32 v91, v80, v85
	v_add_f32_e32 v24, v24, v30
	v_dot4c_i32_i8_e32 v70, 0x1010101, v85
	v_mov_b32_e32 v72, v11
	v_lshrrev_b32_e32 v30, 4, v56
	v_lshrrev_b16_e32 v90, 8, v71
	v_dot4c_i32_i8_e32 v91, v88, v84
	v_and_b32_sdwa v71, s33, v71 dst_sel:DWORD dst_unused:UNUSED_PAD src0_sel:DWORD src1_sel:BYTE_0
	v_dot4c_i32_i8_e32 v70, 0x1010101, v84
	v_dot4c_i32_i8_e32 v72, 0x1010101, v83
	v_and_b32_e32 v56, 0xf0f0f0f, v30
	v_lshrrev_b32_e32 v30, 4, v55
	v_lshrrev_b16_e32 v89, 8, v75
	v_mul_lo_u32 v71, v91, v71
	v_and_b32_sdwa v75, s33, v75 dst_sel:DWORD dst_unused:UNUSED_PAD src0_sel:DWORD src1_sel:BYTE_0
	v_mov_b32_e32 v91, v11
	v_dot4c_i32_i8_e32 v72, 0x1010101, v82
	v_and_b32_e32 v55, 0xf0f0f0f, v30
	v_mul_lo_u32 v75, v70, v75
	v_dot4c_i32_i8_e32 v91, v56, v83
	v_cvt_f32_i32_e32 v75, v75
	v_dot4c_i32_i8_e32 v91, v55, v82
	v_mul_lo_u32 v89, v72, v89
	v_cvt_f32_i32_e32 v71, v71
	v_cvt_f32_i32_e32 v89, v89
	v_mul_lo_u32 v90, v91, v90
	v_cvt_f32_f16_sdwa v31, v42 dst_sel:DWORD dst_unused:UNUSED_PAD src0_sel:WORD_1
	v_cvt_f32_i32_e32 v90, v90
	v_fma_mix_f32 v75, v79, v75, 0 op_sel_hi:[1,0,0]
	v_fma_mix_f32 v71, v79, v71, 0 op_sel_hi:[1,0,0]
	;; [unrolled: 1-line block ×3, first 2 shown]
	v_mov_b32_e32 v89, v11
	v_fma_mix_f32 v71, v81, v90, v71 op_sel_hi:[1,0,0]
	v_mul_f32_e32 v75, v75, v31
	v_dot4c_i32_i8_e32 v89, v76, v85
	v_and_b32_sdwa v85, s33, v86 dst_sel:DWORD dst_unused:UNUSED_PAD src0_sel:DWORD src1_sel:BYTE_0
	v_fma_mix_f32 v71, v71, v42, -v75 op_sel_hi:[0,1,0]
	v_mul_lo_u32 v70, v70, v85
	v_mov_b32_e32 v85, v11
	v_add_f32_e32 v3, v3, v71
	v_lshrrev_b16_e32 v71, 8, v86
	v_dot4c_i32_i8_e32 v89, v77, v84
	v_and_b32_sdwa v84, s33, v87 dst_sel:DWORD dst_unused:UNUSED_PAD src0_sel:DWORD src1_sel:BYTE_0
	v_dot4c_i32_i8_e32 v85, v54, v83
	v_lshrrev_b16_e32 v75, 8, v87
	v_mul_lo_u32 v84, v89, v84
	v_cvt_f32_i32_e32 v70, v70
	v_dot4c_i32_i8_e32 v85, v53, v82
	v_mul_lo_u32 v71, v72, v71
	v_cvt_f32_i32_e32 v84, v84
	v_cvt_f32_i32_e32 v71, v71
	v_mul_lo_u32 v75, v85, v75
	v_cvt_f32_i32_e32 v75, v75
	v_fma_mix_f32 v70, v79, v70, 0 op_sel_hi:[1,0,0]
	v_fma_mix_f32 v72, v79, v84, 0 op_sel_hi:[1,0,0]
	;; [unrolled: 1-line block ×4, first 2 shown]
	v_mul_f32_e32 v70, v70, v78
	v_fma_mix_f32 v70, v72, v39, -v70 op_sel_hi:[0,1,0]
	v_mov_b32_e32 v79, v11
	v_add_f32_e32 v2, v2, v70
	v_mov_b32_e32 v70, v11
	v_dot4c_i32_i8_e32 v79, v80, v62
	v_dot4c_i32_i8_e32 v70, 0x1010101, v62
	v_mov_b32_e32 v71, v11
	v_lshrrev_b16_e32 v75, 8, v74
	v_dot4c_i32_i8_e32 v79, v88, v61
	v_and_b32_sdwa v74, s33, v74 dst_sel:DWORD dst_unused:UNUSED_PAD src0_sel:DWORD src1_sel:BYTE_0
	v_dot4c_i32_i8_e32 v70, 0x1010101, v61
	v_dot4c_i32_i8_e32 v71, 0x1010101, v60
	v_lshrrev_b16_e32 v72, 8, v73
	v_mul_lo_u32 v74, v79, v74
	v_and_b32_sdwa v73, s33, v73 dst_sel:DWORD dst_unused:UNUSED_PAD src0_sel:DWORD src1_sel:BYTE_0
	v_mov_b32_e32 v79, v11
	v_dot4c_i32_i8_e32 v71, 0x1010101, v59
	v_mul_lo_u32 v73, v70, v73
	v_dot4c_i32_i8_e32 v79, v56, v60
	v_cvt_f32_i32_e32 v73, v73
	v_dot4c_i32_i8_e32 v79, v55, v59
	v_mul_lo_u32 v72, v71, v72
	v_cvt_f32_i32_e32 v74, v74
	v_cvt_f32_i32_e32 v72, v72
	v_mul_lo_u32 v75, v79, v75
	v_cvt_f32_i32_e32 v75, v75
	v_fma_mix_f32 v73, v57, v73, 0 op_sel_hi:[1,0,0]
	v_fma_mix_f32 v74, v57, v74, 0 op_sel_hi:[1,0,0]
	v_fma_mix_f32 v72, v58, v72, v73 op_sel_hi:[1,0,0]
	v_fma_mix_f32 v74, v58, v75, v74 op_sel_hi:[1,0,0]
	v_mul_f32_e32 v72, v72, v31
	v_fma_mix_f32 v72, v74, v42, -v72 op_sel_hi:[0,1,0]
	v_mov_b32_e32 v74, v11
	v_dot4c_i32_i8_e32 v74, v76, v62
	v_add_f32_e32 v1, v1, v72
	v_lshrrev_b16_e32 v72, 8, v63
	v_dot4c_i32_i8_e32 v74, v77, v61
	v_and_b32_sdwa v61, s33, v64 dst_sel:DWORD dst_unused:UNUSED_PAD src0_sel:DWORD src1_sel:BYTE_0
	v_and_b32_sdwa v62, s33, v63 dst_sel:DWORD dst_unused:UNUSED_PAD src0_sel:DWORD src1_sel:BYTE_0
	v_mov_b32_e32 v63, v11
	v_mul_lo_u32 v61, v74, v61
	v_mul_lo_u32 v62, v70, v62
	v_dot4c_i32_i8_e32 v63, v54, v60
	v_lshrrev_b16_e32 v73, 8, v64
	v_cvt_f32_i32_e32 v61, v61
	v_cvt_f32_i32_e32 v62, v62
	v_dot4c_i32_i8_e32 v63, v53, v59
	v_mul_lo_u32 v60, v71, v72
	v_cvt_f32_i32_e32 v60, v60
	v_fma_mix_f32 v61, v57, v61, 0 op_sel_hi:[1,0,0]
	v_mul_lo_u32 v59, v63, v73
	v_cvt_f32_i32_e32 v59, v59
	v_fma_mix_f32 v57, v57, v62, 0 op_sel_hi:[1,0,0]
	v_cvt_f32_f16_e32 v30, v42
	v_fma_mix_f32 v57, v58, v60, v57 op_sel_hi:[1,0,0]
	v_fma_mix_f32 v59, v58, v59, v61 op_sel_hi:[1,0,0]
	v_mul_f32_e32 v57, v57, v78
	v_fma_mix_f32 v57, v59, v39, -v57 op_sel_hi:[0,1,0]
	v_mov_b32_e32 v61, v11
	v_add_f32_e32 v0, v0, v57
	v_mov_b32_e32 v57, v11
	v_dot4c_i32_i8_e32 v61, v80, v48
	v_dot4c_i32_i8_e32 v57, 0x1010101, v48
	v_mov_b32_e32 v58, v11
	v_lshrrev_b16_e32 v60, 8, v52
	v_dot4c_i32_i8_e32 v61, v88, v47
	v_and_b32_sdwa v52, s33, v52 dst_sel:DWORD dst_unused:UNUSED_PAD src0_sel:DWORD src1_sel:BYTE_0
	v_dot4c_i32_i8_e32 v57, 0x1010101, v47
	v_dot4c_i32_i8_e32 v58, 0x1010101, v46
	v_lshrrev_b16_e32 v59, 8, v51
	v_mul_lo_u32 v52, v61, v52
	v_and_b32_sdwa v51, s33, v51 dst_sel:DWORD dst_unused:UNUSED_PAD src0_sel:DWORD src1_sel:BYTE_0
	v_mov_b32_e32 v61, v11
	v_dot4c_i32_i8_e32 v58, 0x1010101, v45
	v_mul_lo_u32 v51, v57, v51
	v_dot4c_i32_i8_e32 v61, v56, v46
	v_cvt_f32_i32_e32 v51, v51
	v_dot4c_i32_i8_e32 v61, v55, v45
	v_mul_lo_u32 v59, v58, v59
	v_cvt_f32_i32_e32 v52, v52
	v_cvt_f32_i32_e32 v59, v59
	v_mul_lo_u32 v60, v61, v60
	v_cvt_f32_i32_e32 v60, v60
	v_fma_mix_f32 v51, v43, v51, 0 op_sel_hi:[1,0,0]
	v_fma_mix_f32 v52, v43, v52, 0 op_sel_hi:[1,0,0]
	;; [unrolled: 1-line block ×4, first 2 shown]
	v_mul_f32_e32 v51, v51, v31
	v_mov_b32_e32 v59, v11
	v_fma_mix_f32 v51, v52, v42, -v51 op_sel_hi:[0,1,0]
	v_dot4c_i32_i8_e32 v59, v76, v48
	v_add_f32_e32 v7, v7, v51
	v_lshrrev_b16_e32 v51, 8, v49
	v_dot4c_i32_i8_e32 v59, v77, v47
	v_and_b32_sdwa v47, s33, v50 dst_sel:DWORD dst_unused:UNUSED_PAD src0_sel:DWORD src1_sel:BYTE_0
	v_and_b32_sdwa v48, s33, v49 dst_sel:DWORD dst_unused:UNUSED_PAD src0_sel:DWORD src1_sel:BYTE_0
	v_mov_b32_e32 v49, v11
	v_mul_lo_u32 v47, v59, v47
	v_mul_lo_u32 v48, v57, v48
	v_dot4c_i32_i8_e32 v49, v54, v46
	v_lshrrev_b16_e32 v52, 8, v50
	v_cvt_f32_i32_e32 v47, v47
	v_cvt_f32_i32_e32 v48, v48
	v_dot4c_i32_i8_e32 v49, v53, v45
	v_mul_lo_u32 v46, v58, v51
	v_cvt_f32_i32_e32 v46, v46
	v_fma_mix_f32 v47, v43, v47, 0 op_sel_hi:[1,0,0]
	v_mul_lo_u32 v45, v49, v52
	v_cvt_f32_i32_e32 v45, v45
	v_fma_mix_f32 v43, v43, v48, 0 op_sel_hi:[1,0,0]
	v_bfe_u32 v48, v41, 16, 8
	v_fma_mix_f32 v43, v44, v46, v43 op_sel_hi:[1,0,0]
	v_fma_mix_f32 v45, v44, v45, v47 op_sel_hi:[1,0,0]
	v_mul_f32_e32 v43, v43, v78
	v_fma_mix_f32 v43, v45, v39, -v43 op_sel_hi:[0,1,0]
	v_mov_b32_e32 v47, v11
	v_add_f32_e32 v6, v6, v43
	v_mov_b32_e32 v43, v11
	v_dot4c_i32_i8_e32 v47, v80, v38
	v_dot4c_i32_i8_e32 v43, 0x1010101, v38
	v_mov_b32_e32 v44, v11
	v_dot4c_i32_i8_e32 v47, v88, v37
	v_dot4c_i32_i8_e32 v43, 0x1010101, v37
	;; [unrolled: 1-line block ×3, first 2 shown]
	v_lshrrev_b16_e32 v45, 8, v41
	v_lshrrev_b32_e32 v46, 24, v41
	v_mul_lo_u32 v47, v47, v48
	v_and_b32_e32 v41, 0xff, v41
	v_mov_b32_e32 v48, v11
	v_dot4c_i32_i8_e32 v44, 0x1010101, v35
	v_mul_lo_u32 v41, v43, v41
	v_dot4c_i32_i8_e32 v48, v56, v36
	v_cvt_f32_i32_e32 v41, v41
	v_dot4c_i32_i8_e32 v48, v55, v35
	v_mul_lo_u32 v45, v44, v45
	v_cvt_f32_i32_e32 v47, v47
	v_cvt_f32_i32_e32 v45, v45
	v_mul_lo_u32 v46, v48, v46
	v_cvt_f32_i32_e32 v46, v46
	v_fma_mix_f32 v41, v33, v41, 0 op_sel_hi:[1,0,0]
	v_fma_mix_f32 v47, v33, v47, 0 op_sel_hi:[1,0,0]
	;; [unrolled: 1-line block ×4, first 2 shown]
	v_mul_f32_e32 v41, v41, v31
	v_mov_b32_e32 v45, v11
	v_fma_mix_f32 v41, v46, v42, -v41 op_sel_hi:[0,1,0]
	v_dot4c_i32_i8_e32 v45, v76, v38
	v_add_f32_e32 v5, v5, v41
	v_lshrrev_b16_e32 v41, 8, v40
	v_lshrrev_b32_e32 v42, 24, v40
	v_dot4c_i32_i8_e32 v45, v77, v37
	v_bfe_u32 v37, v40, 16, 8
	v_and_b32_e32 v38, 0xff, v40
	v_mov_b32_e32 v40, v11
	v_dot4c_i32_i8_e32 v40, v54, v36
	v_mul_lo_u32 v37, v45, v37
	v_dot4c_i32_i8_e32 v40, v53, v35
	v_cvt_f32_i32_e32 v37, v37
	v_mul_lo_u32 v38, v43, v38
	v_cvt_f32_i32_e32 v38, v38
	v_mul_lo_u32 v35, v40, v42
	;; [unrolled: 2-line block ×3, first 2 shown]
	v_cvt_f32_i32_e32 v36, v36
	v_fma_mix_f32 v37, v33, v37, 0 op_sel_hi:[1,0,0]
	v_fma_mix_f32 v33, v33, v38, 0 op_sel_hi:[1,0,0]
	;; [unrolled: 1-line block ×3, first 2 shown]
	v_mov_b32_e32 v35, v11
	v_fma_mix_f32 v33, v34, v36, v33 op_sel_hi:[1,0,0]
	v_pk_lshrrev_b16 v34, 8, v27 op_sel_hi:[0,1]
	v_dot4c_i32_i8_e32 v35, v80, v68
	v_and_b32_e32 v27, 0xff00ff, v27
	v_mov_b32_e32 v36, v11
	v_dot4c_i32_i8_e32 v35, v88, v67
	v_dot4c_i32_i8_e32 v36, v56, v66
	v_lshrrev_b32_e32 v37, 16, v34
	v_and_b32_e32 v40, 0xff, v34
	v_lshrrev_b32_e32 v34, 16, v27
	v_and_b32_e32 v27, 0xff, v27
	v_dot4c_i32_i8_e32 v36, v55, v65
	v_mul_lo_u32 v27, v35, v27
	v_mul_lo_u32 v29, v29, v34
	v_cvt_f32_i32_e32 v35, v29
	v_cvt_f32_i32_e32 v34, v27
	v_mul_lo_u32 v27, v36, v40
	v_mul_lo_u32 v29, v69, v37
	v_cvt_f32_i32_e32 v37, v29
	v_cvt_f32_i32_e32 v36, v27
	v_mul_f32_e32 v33, v33, v78
	v_fma_mix_f32 v27, v38, v39, -v33 op_sel_hi:[0,1,0]
	v_pk_fma_f32 v[28:29], v[28:29], v[34:35], 0 op_sel_hi:[0,1,0]
	v_add_f32_e32 v4, v4, v27
	v_pk_fma_f32 v[26:27], v[26:27], v[36:37], v[28:29] op_sel_hi:[0,1,1]
	v_pk_mul_f32 v[26:27], v[26:27], v[30:31]
	v_add_u32_e32 v15, 4, v15
	v_sub_f32_e32 v26, v26, v27
	v_cmp_le_u32_e64 s[6:7], s5, v15
	v_add_f32_e32 v25, v25, v26
	v_lshl_add_u64 v[20:21], v[20:21], 0, s[16:17]
	s_or_b64 s[12:13], s[6:7], s[12:13]
	v_add_u32_e32 v32, 32, v32
	s_andn2_b64 exec, exec, s[12:13]
	s_cbranch_execz .LBB128_39
.LBB128_3:                              ; =>This Inner Loop Header: Depth=1
	v_lshl_add_u64 v[26:27], v[20:21], 0, v[16:17]
	global_load_dword v33, v[20:21], off offset:-36
	global_load_dword v34, v[20:21], off
	global_load_dword v38, v[26:27], off offset:-32
	global_load_dword v37, v[26:27], off offset:-16
	global_load_dword v36, v[26:27], off offset:4
	global_load_dword v35, v[26:27], off offset:20
	v_add_u32_e32 v26, s11, v15
	v_mad_i64_i32 v[28:29], s[6:7], v26, s23, v[22:23]
	v_lshl_add_u64 v[26:27], v[28:29], 0, v[12:13]
	v_lshl_add_u64 v[26:27], v[26:27], 0, v[16:17]
	global_load_dword v54, v[26:27], off offset:16
	global_load_dword v53, v[26:27], off offset:32
	v_lshl_add_u64 v[26:27], v[28:29], 0, v[10:11]
                                        ; implicit-def: $vgpr40
                                        ; implicit-def: $vgpr65
                                        ; implicit-def: $vgpr66
	s_and_saveexec_b64 s[6:7], vcc
	s_xor_b64 s[6:7], exec, s[6:7]
	s_cbranch_execz .LBB128_5
; %bb.4:                                ;   in Loop: Header=BB128_3 Depth=1
	global_load_ushort v65, v[26:27], off offset:8
	global_load_ushort v66, v[26:27], off offset:4
	global_load_ushort v30, v[26:27], off
	s_waitcnt vmcnt(1)
	v_lshrrev_b16_e32 v31, 2, v66
	s_waitcnt vmcnt(0)
	v_perm_b32 v30, v30, v65, s26
	v_perm_b32 v31, v65, v31, s26
	v_pk_lshrrev_b16 v30, s27, v30
	v_and_b32_e32 v31, 0xf0f3030, v31
	v_and_or_b32 v40, v30, s28, v31
.LBB128_5:                              ;   in Loop: Header=BB128_3 Depth=1
	s_andn2_saveexec_b64 s[6:7], s[6:7]
	s_cbranch_execz .LBB128_7
; %bb.6:                                ;   in Loop: Header=BB128_3 Depth=1
	global_load_ushort v66, v[26:27], off offset:4
	global_load_ushort v65, v[26:27], off offset:8
	s_waitcnt vmcnt(0)
	v_perm_b32 v30, v66, v65, s26
	v_and_b32_e32 v40, 0x3f3f3f3f, v30
.LBB128_7:                              ;   in Loop: Header=BB128_3 Depth=1
	s_or_b64 exec, exec, s[6:7]
	v_add_u32_e32 v39, s8, v15
	v_mov_b64_e32 v[30:31], s[20:21]
	v_mad_i64_i32 v[30:31], s[6:7], v39, s23, v[30:31]
	v_lshl_add_u64 v[42:43], v[30:31], 0, v[12:13]
	v_lshl_add_u64 v[42:43], v[42:43], 0, v[16:17]
	global_load_dword v39, v[28:29], off
	global_load_dword v56, v[42:43], off offset:16
	global_load_dword v55, v[42:43], off offset:32
	v_lshl_add_u64 v[28:29], v[30:31], 0, v[10:11]
                                        ; implicit-def: $vgpr69
                                        ; implicit-def: $vgpr41
	s_and_saveexec_b64 s[6:7], vcc
	s_xor_b64 s[6:7], exec, s[6:7]
	s_cbranch_execz .LBB128_9
; %bb.8:                                ;   in Loop: Header=BB128_3 Depth=1
	global_load_ushort v42, v[28:29], off offset:8
	global_load_ushort v43, v[28:29], off offset:4
	global_load_ushort v41, v[28:29], off
	s_waitcnt vmcnt(1)
	v_lshrrev_b16_e32 v44, 2, v43
	s_waitcnt vmcnt(0)
	v_perm_b32 v41, v41, v42, s26
	v_perm_b32 v44, v42, v44, s26
	v_pk_lshrrev_b16 v41, s27, v41
	v_and_b32_e32 v44, 0xf0f3030, v44
	v_and_or_b32 v41, v41, s28, v44
	v_perm_b32 v69, v42, v43, s26
.LBB128_9:                              ;   in Loop: Header=BB128_3 Depth=1
	s_andn2_saveexec_b64 s[6:7], s[6:7]
	s_cbranch_execz .LBB128_11
; %bb.10:                               ;   in Loop: Header=BB128_3 Depth=1
	global_load_ushort v42, v[28:29], off offset:4
	global_load_ushort v43, v[28:29], off offset:8
	s_waitcnt vmcnt(0)
	v_perm_b32 v41, v42, v43, s26
	v_and_b32_e32 v41, 0x3f3f3f3f, v41
	v_perm_b32 v69, v43, v42, s26
.LBB128_11:                             ;   in Loop: Header=BB128_3 Depth=1
	s_or_b64 exec, exec, s[6:7]
	global_load_dword v42, v[30:31], off
	v_add_u32_e32 v30, s9, v32
	v_mad_u64_u32 v[50:51], s[6:7], v30, 36, v[18:19]
	v_lshlrev_b32_e32 v30, 2, v14
	v_mov_b32_e32 v31, v11
	v_lshl_add_u64 v[58:59], v[50:51], 0, v[30:31]
	global_load_dword v43, v[50:51], off
	global_load_dword v47, v[58:59], off offset:20
	global_load_dword v46, v[58:59], off offset:40
	;; [unrolled: 1-line block ×5, first 2 shown]
	v_lshrrev_b16_e32 v31, 4, v65
	v_lshrrev_b16_e32 v49, 2, v66
	v_and_b32_e32 v76, 0xf0f, v65
	v_and_b32_e32 v77, 0xf0f, v31
	;; [unrolled: 1-line block ×3, first 2 shown]
                                        ; implicit-def: $vgpr50
                                        ; implicit-def: $vgpr49
	s_and_saveexec_b64 s[6:7], vcc
	s_xor_b64 s[6:7], exec, s[6:7]
	s_cbranch_execz .LBB128_13
; %bb.12:                               ;   in Loop: Header=BB128_3 Depth=1
	global_load_ushort v31, v[26:27], off
	v_or_b32_e32 v49, v78, v77
	s_waitcnt vmcnt(0)
	v_lshrrev_b16_e32 v31, 2, v31
	v_and_b32_e32 v31, 0x3030, v31
	v_or_b32_e32 v50, v31, v76
.LBB128_13:                             ;   in Loop: Header=BB128_3 Depth=1
	s_or_saveexec_b64 s[6:7], s[6:7]
	v_and_b32_e32 v70, 0x3f3f, v66
	v_and_b32_e32 v72, 0x3f3f, v65
	s_xor_b64 exec, exec, s[6:7]
; %bb.14:                               ;   in Loop: Header=BB128_3 Depth=1
	v_and_b32_e32 v50, 0x3f3f, v66
	v_and_b32_e32 v49, 0x3f3f, v65
; %bb.15:                               ;   in Loop: Header=BB128_3 Depth=1
	s_or_b64 exec, exec, s[6:7]
	v_lshrrev_b32_e32 v80, 20, v69
	v_and_b32_sdwa v67, v69, s29 dst_sel:DWORD dst_unused:UNUSED_PAD src0_sel:WORD_1 src1_sel:DWORD
	v_and_b32_e32 v68, 0xf0f, v80
	v_lshrrev_b16_e32 v88, 2, v69
                                        ; implicit-def: $vgpr52
                                        ; implicit-def: $vgpr51
	s_and_saveexec_b64 s[6:7], vcc
	s_xor_b64 s[6:7], exec, s[6:7]
	s_cbranch_execz .LBB128_17
; %bb.16:                               ;   in Loop: Header=BB128_3 Depth=1
	global_load_ushort v31, v[28:29], off
	v_and_b32_e32 v51, 0x3030, v88
	v_or_b32_e32 v51, v51, v68
	s_waitcnt vmcnt(0)
	v_lshrrev_b16_e32 v31, 2, v31
	v_and_b32_e32 v31, 0x3030, v31
	v_or_b32_e32 v52, v31, v67
.LBB128_17:                             ;   in Loop: Header=BB128_3 Depth=1
	s_or_saveexec_b64 s[6:7], s[6:7]
	v_and_b32_e32 v71, 0x3f3f, v69
	v_and_b32_sdwa v75, v69, s30 dst_sel:DWORD dst_unused:UNUSED_PAD src0_sel:WORD_1 src1_sel:DWORD
	s_xor_b64 exec, exec, s[6:7]
; %bb.18:                               ;   in Loop: Header=BB128_3 Depth=1
	v_and_b32_e32 v52, 0x3f3f, v69
	v_and_b32_sdwa v51, v69, s30 dst_sel:DWORD dst_unused:UNUSED_PAD src0_sel:WORD_1 src1_sel:DWORD
; %bb.19:                               ;   in Loop: Header=BB128_3 Depth=1
	s_or_b64 exec, exec, s[6:7]
	v_add_u32_e32 v31, s15, v32
	v_mad_u64_u32 v[82:83], s[6:7], v31, 36, v[18:19]
	v_mov_b32_e32 v31, v11
	v_lshl_add_u64 v[84:85], v[82:83], 0, v[30:31]
	global_load_dword v57, v[82:83], off
	global_load_dword v61, v[84:85], off offset:20
	global_load_dword v60, v[84:85], off offset:40
	;; [unrolled: 1-line block ×5, first 2 shown]
                                        ; implicit-def: $vgpr64
                                        ; implicit-def: $vgpr63
	s_and_saveexec_b64 s[6:7], vcc
	s_xor_b64 s[6:7], exec, s[6:7]
	s_cbranch_execz .LBB128_21
; %bb.20:                               ;   in Loop: Header=BB128_3 Depth=1
	global_load_ushort v31, v[26:27], off
	v_or_b32_e32 v63, v78, v77
	s_waitcnt vmcnt(0)
	v_lshrrev_b16_e32 v31, 2, v31
	v_and_b32_e32 v31, 0x3030, v31
	v_or_b32_e32 v64, v31, v76
	s_andn2_saveexec_b64 s[6:7], s[6:7]
	s_branch .LBB128_22
.LBB128_21:                             ;   in Loop: Header=BB128_3 Depth=1
	s_andn2_saveexec_b64 s[6:7], s[6:7]
.LBB128_22:                             ;   in Loop: Header=BB128_3 Depth=1
	v_and_b32_e32 v64, 0x3f3f, v66
	v_and_b32_e32 v63, 0x3f3f, v65
; %bb.23:                               ;   in Loop: Header=BB128_3 Depth=1
	s_or_b64 exec, exec, s[6:7]
                                        ; implicit-def: $vgpr74
                                        ; implicit-def: $vgpr73
	s_and_saveexec_b64 s[6:7], vcc
	s_xor_b64 s[6:7], exec, s[6:7]
	s_cbranch_execz .LBB128_25
; %bb.24:                               ;   in Loop: Header=BB128_3 Depth=1
	global_load_ushort v31, v[28:29], off
	v_and_b32_e32 v73, 0x3030, v88
	v_or_b32_e32 v73, v73, v68
	s_waitcnt vmcnt(0)
	v_lshrrev_b16_e32 v31, 2, v31
	v_and_b32_e32 v31, 0x3030, v31
	v_or_b32_e32 v74, v31, v67
	s_andn2_saveexec_b64 s[6:7], s[6:7]
	s_cbranch_execnz .LBB128_26
	s_branch .LBB128_27
.LBB128_25:                             ;   in Loop: Header=BB128_3 Depth=1
	s_andn2_saveexec_b64 s[6:7], s[6:7]
.LBB128_26:                             ;   in Loop: Header=BB128_3 Depth=1
	v_and_b32_e32 v74, 0x3f3f, v69
	v_and_b32_sdwa v73, v69, s30 dst_sel:DWORD dst_unused:UNUSED_PAD src0_sel:WORD_1 src1_sel:DWORD
.LBB128_27:                             ;   in Loop: Header=BB128_3 Depth=1
	s_or_b64 exec, exec, s[6:7]
	v_add_u32_e32 v31, s19, v32
	v_mad_u64_u32 v[86:87], s[6:7], v31, 36, v[18:19]
	v_mov_b32_e32 v31, v11
	v_lshl_add_u64 v[90:91], v[86:87], 0, v[30:31]
	global_load_dword v79, v[86:87], off
	global_load_dword v84, v[90:91], off offset:20
	global_load_dword v83, v[90:91], off offset:40
	;; [unrolled: 1-line block ×5, first 2 shown]
                                        ; implicit-def: $vgpr87
                                        ; implicit-def: $vgpr86
	s_and_saveexec_b64 s[6:7], vcc
	s_xor_b64 s[6:7], exec, s[6:7]
	s_cbranch_execz .LBB128_37
; %bb.28:                               ;   in Loop: Header=BB128_3 Depth=1
	global_load_ushort v31, v[26:27], off
	v_or_b32_e32 v86, v78, v77
                                        ; implicit-def: $vgpr66
                                        ; implicit-def: $vgpr65
	s_waitcnt vmcnt(0)
	v_lshrrev_b16_e32 v31, 2, v31
	v_and_b32_e32 v31, 0x3030, v31
	v_or_b32_e32 v87, v31, v76
	s_andn2_saveexec_b64 s[6:7], s[6:7]
	s_cbranch_execnz .LBB128_38
.LBB128_29:                             ;   in Loop: Header=BB128_3 Depth=1
	s_or_b64 exec, exec, s[6:7]
	s_and_saveexec_b64 s[6:7], vcc
	s_xor_b64 s[6:7], exec, s[6:7]
	s_cbranch_execz .LBB128_31
.LBB128_30:                             ;   in Loop: Header=BB128_3 Depth=1
	global_load_ushort v31, v[28:29], off
	v_and_b32_e32 v65, 0x3030, v88
	v_or_b32_e32 v75, v65, v68
	s_waitcnt vmcnt(0)
	v_lshrrev_b16_e32 v31, 2, v31
	v_and_b32_e32 v31, 0x3030, v31
	v_or_b32_e32 v71, v31, v67
.LBB128_31:                             ;   in Loop: Header=BB128_3 Depth=1
	s_andn2_saveexec_b64 s[6:7], s[6:7]
	s_or_b64 exec, exec, s[6:7]
	v_add_u32_e32 v31, s22, v32
	v_mad_u64_u32 v[90:91], s[6:7], v31, 36, v[18:19]
	v_mov_b32_e32 v31, v11
	v_lshl_add_u64 v[92:93], v[90:91], 0, v[30:31]
	global_load_dword v88, v[90:91], off
	global_load_dword v67, v[92:93], off offset:20
	global_load_dword v66, v[92:93], off offset:40
	global_load_dword v65, v[92:93], off offset:56
	global_load_dword v68, v[92:93], off offset:4
	global_load_dword v30, v[90:91], off offset:36
	s_and_saveexec_b64 s[6:7], vcc
	s_xor_b64 s[6:7], exec, s[6:7]
	s_cbranch_execz .LBB128_33
; %bb.32:                               ;   in Loop: Header=BB128_3 Depth=1
	global_load_ushort v26, v[26:27], off
	v_or_b32_e32 v72, v78, v77
	s_waitcnt vmcnt(0)
	v_lshrrev_b16_e32 v26, 2, v26
	v_and_b32_e32 v26, 0x3030, v26
	v_or_b32_e32 v70, v26, v76
.LBB128_33:                             ;   in Loop: Header=BB128_3 Depth=1
	s_andn2_saveexec_b64 s[6:7], s[6:7]
	s_or_b64 exec, exec, s[6:7]
                                        ; implicit-def: $vgpr27
	s_and_saveexec_b64 s[6:7], vcc
	s_xor_b64 s[6:7], exec, s[6:7]
	s_cbranch_execz .LBB128_35
; %bb.34:                               ;   in Loop: Header=BB128_3 Depth=1
	global_load_ushort v26, v[28:29], off
	v_alignbit_b32 v27, v80, v69, 16
	v_and_b32_e32 v27, 0xf0f0f0f, v27
	s_waitcnt vmcnt(0)
	v_perm_b32 v26, v69, v26, s26
	v_pk_lshrrev_b16 v26, 2, v26 op_sel_hi:[0,1]
	v_and_or_b32 v27, v26, s31, v27
                                        ; implicit-def: $vgpr69
.LBB128_35:                             ;   in Loop: Header=BB128_3 Depth=1
	s_andn2_saveexec_b64 s[6:7], s[6:7]
	s_cbranch_execz .LBB128_2
; %bb.36:                               ;   in Loop: Header=BB128_3 Depth=1
	v_and_b32_e32 v27, 0x3f3f3f3f, v69
	s_branch .LBB128_2
.LBB128_37:                             ;   in Loop: Header=BB128_3 Depth=1
	s_andn2_saveexec_b64 s[6:7], s[6:7]
	s_cbranch_execz .LBB128_29
.LBB128_38:                             ;   in Loop: Header=BB128_3 Depth=1
	v_and_b32_e32 v87, 0x3f3f, v66
	v_and_b32_e32 v86, 0x3f3f, v65
	s_or_b64 exec, exec, s[6:7]
	s_and_saveexec_b64 s[6:7], vcc
	s_xor_b64 s[6:7], exec, s[6:7]
	s_cbranch_execnz .LBB128_30
	s_branch .LBB128_31
.LBB128_39:
	s_or_b64 exec, exec, s[12:13]
	scratch_store_dwordx4 off, v[4:7], off
	scratch_store_dwordx4 off, v[0:3], off offset:16
	scratch_store_dwordx2 off, v[24:25], off offset:32
.LBB128_40:
	s_or_b64 exec, exec, s[24:25]
	s_mov_b32 s5, 0
	v_cmp_eq_u32_e32 vcc, 0, v9
	s_waitcnt lgkmcnt(0)
	; wave barrier
	s_and_saveexec_b64 s[6:7], vcc
	s_cbranch_execz .LBB128_51
; %bb.41:
	scratch_load_dwordx2 v[2:3], off, off
	v_mbcnt_lo_u32_b32 v0, -1, 0
	v_mbcnt_hi_u32_b32 v9, -1, v0
	s_load_dwordx2 s[6:7], s[0:1], 0x38
	s_mul_i32 s0, s3, s14
	v_or_b32_e32 v1, s2, v8
	v_and_b32_e32 v0, 64, v9
	s_mul_i32 s4, s4, s18
	s_add_i32 s2, s0, s2
	v_cmp_gt_u32_e64 s[0:1], s10, v1
	v_xor_b32_e32 v1, 32, v9
	v_add_u32_e32 v14, 64, v0
	s_add_i32 s4, s2, s4
	v_cmp_lt_i32_e64 s[2:3], v1, v14
	v_cmp_gt_u32_e32 vcc, 2, v8
	s_nop 0
	v_cndmask_b32_e64 v0, v9, v1, s[2:3]
	v_lshlrev_b32_e32 v0, 2, v0
	v_xor_b32_e32 v1, 16, v9
	v_cmp_lt_i32_e64 s[2:3], v1, v14
	s_waitcnt vmcnt(0)
	ds_bpermute_b32 v4, v0, v2
	ds_bpermute_b32 v5, v0, v3
	v_cndmask_b32_e64 v1, v9, v1, s[2:3]
	v_lshlrev_b32_e32 v1, 2, v1
	s_waitcnt lgkmcnt(0)
	v_pk_add_f32 v[4:5], v[2:3], v[4:5]
	ds_bpermute_b32 v6, v1, v4
	ds_bpermute_b32 v7, v1, v5
	v_xor_b32_e32 v2, 8, v9
	v_cmp_lt_i32_e64 s[2:3], v2, v14
	v_xor_b32_e32 v3, 4, v9
	s_waitcnt lgkmcnt(0)
	v_pk_add_f32 v[4:5], v[4:5], v[6:7]
	v_cndmask_b32_e64 v2, v9, v2, s[2:3]
	v_lshlrev_b32_e32 v2, 2, v2
	ds_bpermute_b32 v6, v2, v4
	ds_bpermute_b32 v7, v2, v5
	v_cmp_lt_i32_e64 s[2:3], v3, v14
	s_waitcnt lgkmcnt(0)
	v_pk_add_f32 v[6:7], v[4:5], v[6:7]
	v_cndmask_b32_e64 v3, v9, v3, s[2:3]
	v_lshlrev_b32_e32 v3, 2, v3
	ds_bpermute_b32 v10, v3, v6
	ds_bpermute_b32 v11, v3, v7
	v_xor_b32_e32 v4, 2, v9
	v_cmp_lt_i32_e64 s[2:3], v4, v14
	v_xor_b32_e32 v5, 1, v9
	s_waitcnt lgkmcnt(0)
	v_pk_add_f32 v[10:11], v[6:7], v[10:11]
	v_cndmask_b32_e64 v4, v9, v4, s[2:3]
	v_lshlrev_b32_e32 v4, 2, v4
	ds_bpermute_b32 v12, v4, v10
	ds_bpermute_b32 v13, v4, v11
	v_cmp_lt_i32_e64 s[2:3], v5, v14
	s_waitcnt lgkmcnt(0)
	v_pk_add_f32 v[10:11], v[10:11], v[12:13]
	v_cndmask_b32_e64 v5, v9, v5, s[2:3]
	v_lshlrev_b32_e32 v6, 2, v5
	ds_bpermute_b32 v12, v6, v10
	ds_bpermute_b32 v13, v6, v11
	s_lshl_b64 s[2:3], s[4:5], 2
	s_add_u32 s2, s6, s2
	s_addc_u32 s3, s7, s3
	s_and_b64 s[0:1], vcc, s[0:1]
	s_waitcnt lgkmcnt(0)
	v_pk_add_f32 v[10:11], v[10:11], v[12:13]
	v_lshlrev_b32_e32 v5, 2, v8
	scratch_store_dwordx2 off, v[10:11], off
	s_and_saveexec_b64 s[4:5], s[0:1]
	s_cbranch_execz .LBB128_43
; %bb.42:
	scratch_load_dword v7, v5, off
	s_waitcnt vmcnt(0)
	global_store_dword v5, v7, s[2:3]
.LBB128_43:
	s_or_b64 exec, exec, s[4:5]
	scratch_load_dwordx2 v[10:11], off, off offset:8
	s_waitcnt vmcnt(0)
	ds_bpermute_b32 v12, v0, v10
	ds_bpermute_b32 v13, v0, v11
	s_waitcnt lgkmcnt(0)
	v_pk_add_f32 v[10:11], v[10:11], v[12:13]
	ds_bpermute_b32 v12, v1, v10
	ds_bpermute_b32 v13, v1, v11
	s_waitcnt lgkmcnt(0)
	v_pk_add_f32 v[10:11], v[10:11], v[12:13]
	;; [unrolled: 4-line block ×6, first 2 shown]
	scratch_store_dwordx2 off, v[10:11], off offset:8
	s_and_saveexec_b64 s[4:5], s[0:1]
	s_cbranch_execz .LBB128_45
; %bb.44:
	scratch_load_dword v7, v5, off offset:8
	v_add_u32_e32 v10, s10, v8
	v_mov_b32_e32 v11, 0
	v_lshl_add_u64 v[10:11], v[10:11], 2, s[2:3]
	s_waitcnt vmcnt(0)
	global_store_dword v[10:11], v7, off
.LBB128_45:
	s_or_b64 exec, exec, s[4:5]
	scratch_load_dwordx2 v[10:11], off, off offset:16
	s_waitcnt vmcnt(0)
	ds_bpermute_b32 v12, v0, v10
	ds_bpermute_b32 v13, v0, v11
	s_waitcnt lgkmcnt(0)
	v_pk_add_f32 v[10:11], v[10:11], v[12:13]
	ds_bpermute_b32 v12, v1, v10
	ds_bpermute_b32 v13, v1, v11
	s_waitcnt lgkmcnt(0)
	v_pk_add_f32 v[10:11], v[10:11], v[12:13]
	;; [unrolled: 4-line block ×6, first 2 shown]
	scratch_store_dwordx2 off, v[10:11], off offset:16
	s_and_saveexec_b64 s[4:5], s[0:1]
	s_cbranch_execz .LBB128_47
; %bb.46:
	scratch_load_dword v7, v5, off offset:16
	v_lshl_or_b32 v10, s10, 1, v8
	v_mov_b32_e32 v11, 0
	v_lshl_add_u64 v[10:11], v[10:11], 2, s[2:3]
	s_waitcnt vmcnt(0)
	global_store_dword v[10:11], v7, off
.LBB128_47:
	s_or_b64 exec, exec, s[4:5]
	scratch_load_dwordx2 v[10:11], off, off offset:24
	s_waitcnt vmcnt(0)
	ds_bpermute_b32 v12, v0, v10
	ds_bpermute_b32 v13, v0, v11
	s_waitcnt lgkmcnt(0)
	v_pk_add_f32 v[10:11], v[10:11], v[12:13]
	ds_bpermute_b32 v12, v1, v10
	ds_bpermute_b32 v13, v1, v11
	s_waitcnt lgkmcnt(0)
	v_pk_add_f32 v[10:11], v[10:11], v[12:13]
	;; [unrolled: 4-line block ×6, first 2 shown]
	scratch_store_dwordx2 off, v[10:11], off offset:24
	s_and_saveexec_b64 s[4:5], s[0:1]
	s_cbranch_execz .LBB128_49
; %bb.48:
	scratch_load_dword v7, v5, off offset:24
	v_mad_u64_u32 v[10:11], s[6:7], s10, 3, v[8:9]
	v_mov_b32_e32 v11, 0
	v_lshl_add_u64 v[10:11], v[10:11], 2, s[2:3]
	s_waitcnt vmcnt(0)
	global_store_dword v[10:11], v7, off
.LBB128_49:
	s_or_b64 exec, exec, s[4:5]
	scratch_load_dwordx2 v[10:11], off, off offset:32
	s_waitcnt vmcnt(0)
	ds_bpermute_b32 v12, v0, v10
	ds_bpermute_b32 v13, v0, v11
	s_waitcnt lgkmcnt(0)
	v_pk_add_f32 v[10:11], v[10:11], v[12:13]
	ds_bpermute_b32 v0, v1, v10
	ds_bpermute_b32 v1, v1, v11
	s_waitcnt lgkmcnt(0)
	v_pk_add_f32 v[0:1], v[10:11], v[0:1]
	;; [unrolled: 4-line block ×6, first 2 shown]
	scratch_store_dwordx2 off, v[0:1], off offset:32
	s_and_b64 exec, exec, s[0:1]
	s_cbranch_execz .LBB128_51
; %bb.50:
	scratch_load_dword v2, v5, off offset:32
	v_lshl_or_b32 v0, s10, 2, v8
	v_mov_b32_e32 v1, 0
	v_lshl_add_u64 v[0:1], v[0:1], 2, s[2:3]
	s_waitcnt vmcnt(0)
	global_store_dword v[0:1], v2, off
.LBB128_51:
	s_endpgm
	.section	.rodata,"a",@progbits
	.p2align	6, 0x0
	.amdhsa_kernel _ZL13mul_mat_vec_qIL9ggml_type12ELi5ELb0ELb0EEvPKvS2_PKi31ggml_cuda_mm_fusion_args_devicePfj15HIP_vector_typeIjLj3EEjjjS8_jjjS8_jjjj
		.amdhsa_group_segment_fixed_size 0
		.amdhsa_private_segment_fixed_size 48
		.amdhsa_kernarg_size 144
		.amdhsa_user_sgpr_count 2
		.amdhsa_user_sgpr_dispatch_ptr 0
		.amdhsa_user_sgpr_queue_ptr 0
		.amdhsa_user_sgpr_kernarg_segment_ptr 1
		.amdhsa_user_sgpr_dispatch_id 0
		.amdhsa_user_sgpr_kernarg_preload_length 0
		.amdhsa_user_sgpr_kernarg_preload_offset 0
		.amdhsa_user_sgpr_private_segment_size 0
		.amdhsa_uses_dynamic_stack 0
		.amdhsa_enable_private_segment 1
		.amdhsa_system_sgpr_workgroup_id_x 1
		.amdhsa_system_sgpr_workgroup_id_y 1
		.amdhsa_system_sgpr_workgroup_id_z 1
		.amdhsa_system_sgpr_workgroup_info 0
		.amdhsa_system_vgpr_workitem_id 1
		.amdhsa_next_free_vgpr 94
		.amdhsa_next_free_sgpr 34
		.amdhsa_accum_offset 96
		.amdhsa_reserve_vcc 1
		.amdhsa_float_round_mode_32 0
		.amdhsa_float_round_mode_16_64 0
		.amdhsa_float_denorm_mode_32 3
		.amdhsa_float_denorm_mode_16_64 3
		.amdhsa_dx10_clamp 1
		.amdhsa_ieee_mode 1
		.amdhsa_fp16_overflow 0
		.amdhsa_tg_split 0
		.amdhsa_exception_fp_ieee_invalid_op 0
		.amdhsa_exception_fp_denorm_src 0
		.amdhsa_exception_fp_ieee_div_zero 0
		.amdhsa_exception_fp_ieee_overflow 0
		.amdhsa_exception_fp_ieee_underflow 0
		.amdhsa_exception_fp_ieee_inexact 0
		.amdhsa_exception_int_div_zero 0
	.end_amdhsa_kernel
	.section	.text._ZL13mul_mat_vec_qIL9ggml_type12ELi5ELb0ELb0EEvPKvS2_PKi31ggml_cuda_mm_fusion_args_devicePfj15HIP_vector_typeIjLj3EEjjjS8_jjjS8_jjjj,"axG",@progbits,_ZL13mul_mat_vec_qIL9ggml_type12ELi5ELb0ELb0EEvPKvS2_PKi31ggml_cuda_mm_fusion_args_devicePfj15HIP_vector_typeIjLj3EEjjjS8_jjjS8_jjjj,comdat
.Lfunc_end128:
	.size	_ZL13mul_mat_vec_qIL9ggml_type12ELi5ELb0ELb0EEvPKvS2_PKi31ggml_cuda_mm_fusion_args_devicePfj15HIP_vector_typeIjLj3EEjjjS8_jjjS8_jjjj, .Lfunc_end128-_ZL13mul_mat_vec_qIL9ggml_type12ELi5ELb0ELb0EEvPKvS2_PKi31ggml_cuda_mm_fusion_args_devicePfj15HIP_vector_typeIjLj3EEjjjS8_jjjS8_jjjj
                                        ; -- End function
	.section	.AMDGPU.csdata,"",@progbits
; Kernel info:
; codeLenInByte = 5236
; NumSgprs: 40
; NumVgprs: 94
; NumAgprs: 0
; TotalNumVgprs: 94
; ScratchSize: 48
; MemoryBound: 0
; FloatMode: 240
; IeeeMode: 1
; LDSByteSize: 0 bytes/workgroup (compile time only)
; SGPRBlocks: 4
; VGPRBlocks: 11
; NumSGPRsForWavesPerEU: 40
; NumVGPRsForWavesPerEU: 94
; AccumOffset: 96
; Occupancy: 5
; WaveLimiterHint : 0
; COMPUTE_PGM_RSRC2:SCRATCH_EN: 1
; COMPUTE_PGM_RSRC2:USER_SGPR: 2
; COMPUTE_PGM_RSRC2:TRAP_HANDLER: 0
; COMPUTE_PGM_RSRC2:TGID_X_EN: 1
; COMPUTE_PGM_RSRC2:TGID_Y_EN: 1
; COMPUTE_PGM_RSRC2:TGID_Z_EN: 1
; COMPUTE_PGM_RSRC2:TIDIG_COMP_CNT: 1
; COMPUTE_PGM_RSRC3_GFX90A:ACCUM_OFFSET: 23
; COMPUTE_PGM_RSRC3_GFX90A:TG_SPLIT: 0
	.section	.text._ZL13mul_mat_vec_qIL9ggml_type12ELi6ELb0ELb0EEvPKvS2_PKi31ggml_cuda_mm_fusion_args_devicePfj15HIP_vector_typeIjLj3EEjjjS8_jjjS8_jjjj,"axG",@progbits,_ZL13mul_mat_vec_qIL9ggml_type12ELi6ELb0ELb0EEvPKvS2_PKi31ggml_cuda_mm_fusion_args_devicePfj15HIP_vector_typeIjLj3EEjjjS8_jjjS8_jjjj,comdat
	.globl	_ZL13mul_mat_vec_qIL9ggml_type12ELi6ELb0ELb0EEvPKvS2_PKi31ggml_cuda_mm_fusion_args_devicePfj15HIP_vector_typeIjLj3EEjjjS8_jjjS8_jjjj ; -- Begin function _ZL13mul_mat_vec_qIL9ggml_type12ELi6ELb0ELb0EEvPKvS2_PKi31ggml_cuda_mm_fusion_args_devicePfj15HIP_vector_typeIjLj3EEjjjS8_jjjS8_jjjj
	.p2align	8
	.type	_ZL13mul_mat_vec_qIL9ggml_type12ELi6ELb0ELb0EEvPKvS2_PKi31ggml_cuda_mm_fusion_args_devicePfj15HIP_vector_typeIjLj3EEjjjS8_jjjS8_jjjj,@function
_ZL13mul_mat_vec_qIL9ggml_type12ELi6ELb0ELb0EEvPKvS2_PKi31ggml_cuda_mm_fusion_args_devicePfj15HIP_vector_typeIjLj3EEjjjS8_jjjS8_jjjj: ; @_ZL13mul_mat_vec_qIL9ggml_type12ELi6ELb0ELb0EEvPKvS2_PKi31ggml_cuda_mm_fusion_args_devicePfj15HIP_vector_typeIjLj3EEjjjS8_jjjS8_jjjj
; %bb.0:
	v_bfe_u32 v13, v0, 10, 10
	v_and_b32_e32 v12, 0x3ff, v0
	s_mov_b32 s20, 0
	s_load_dword s5, s[0:1], 0x40
	s_load_dwordx4 s[8:11], s[0:1], 0x50
	s_load_dword s7, s[0:1], 0x60
	s_load_dwordx4 s[12:15], s[0:1], 0x68
	;; [unrolled: 2-line block ×3, first 2 shown]
	v_lshl_or_b32 v4, v13, 6, v12
	s_mov_b32 s21, s20
	s_waitcnt lgkmcnt(0)
	s_lshr_b32 s5, s5, 8
	s_mov_b32 s22, s20
	s_mov_b32 s23, s20
	v_mov_b64_e32 v[0:1], s[20:21]
	v_lshrrev_b32_e32 v19, 4, v4
	s_lshl_b32 s2, s2, 1
	v_mov_b64_e32 v[2:3], s[22:23]
	v_cmp_gt_u32_e32 vcc, s5, v19
	scratch_store_dwordx4 off, v[0:3], off offset:32
	scratch_store_dwordx4 off, v[0:3], off offset:16
	scratch_store_dwordx4 off, v[0:3], off
	s_and_saveexec_b64 s[24:25], vcc
	s_cbranch_execz .LBB129_48
; %bb.1:
	s_mul_hi_u32 s11, s11, s3
	s_add_i32 s11, s3, s11
	s_lshr_b32 s7, s11, s7
	s_load_dwordx4 s[20:23], s[0:1], 0x0
	s_mul_i32 s11, s7, s12
	s_mul_hi_u32 s7, s15, s4
	s_add_i32 s7, s4, s7
	s_lshr_b32 s6, s7, s6
	s_mul_i32 s15, s6, s16
	s_mul_i32 s6, s4, s17
	s_mul_hi_u32 s7, s6, 36
	s_mul_i32 s6, s6, 36
	s_waitcnt lgkmcnt(0)
	s_add_u32 s6, s22, s6
	s_mul_i32 s12, s3, s13
	s_addc_u32 s7, s23, s7
	s_mul_hi_u32 s13, s12, 36
	s_mul_i32 s12, s12, 36
	v_lshlrev_b32_e32 v0, 1, v12
	s_add_u32 s6, s6, s12
	v_and_b32_e32 v1, 30, v0
	v_bfe_u32 v0, v0, 3, 2
	s_addc_u32 s7, s7, s13
	v_cmp_lt_u32_e32 vcc, 15, v1
	v_lshlrev_b32_e32 v1, 1, v0
	v_mad_u64_u32 v[22:23], s[12:13], v1, 36, s[6:7]
	v_lshl_add_u32 v1, v13, 6, v12
	v_bfe_u32 v2, v12, 2, 2
	v_lshrrev_b32_e32 v1, 4, v1
	v_mul_hi_u32_u24_e32 v3, 0x48, v2
	v_mul_u32_u24_e32 v2, 0x48, v2
	s_movk_i32 s12, 0x120
	v_mad_u64_u32 v[2:3], s[12:13], v1, s12, v[2:3]
	v_lshl_add_u64 v[2:3], s[6:7], 0, v[2:3]
	s_add_i32 s7, s2, 1
	v_mov_b32_e32 v17, 0
	v_and_b32_e32 v18, 3, v12
	s_mul_i32 s16, s2, s8
	s_add_i32 s6, s15, s11
	s_mul_i32 s7, s8, s7
	v_lshlrev_b32_e32 v14, 5, v0
	v_mov_b32_e32 v15, v17
	v_lshlrev_b32_e32 v20, 2, v18
	v_mov_b32_e32 v21, v17
	v_lshl_add_u64 v[24:25], v[2:3], 0, 36
	s_add_i32 s11, s6, s16
	s_lshl_b32 s15, s9, 1
	v_lshlrev_b32_e32 v34, 3, v19
	s_mul_i32 s19, s9, 3
	s_lshl_b32 s22, s9, 2
	s_mul_i32 s23, s9, 5
	s_add_i32 s8, s6, s7
	s_mov_b64 s[12:13], 0
	s_movk_i32 s26, 0x90
	v_mov_b64_e32 v[26:27], s[20:21]
	v_lshlrev_b32_e32 v16, 1, v0
	s_mov_b32 s27, 0x5040100
	s_mov_b32 s28, 0x20004
	;; [unrolled: 1-line block ×3, first 2 shown]
	s_movk_i32 s30, 0xf0f
	s_movk_i32 s31, 0x3f3f
	s_mov_b32 s33, 0x30303030
	s_mov_b32 s34, 0xffff
	s_mov_b64 s[16:17], 0x480
	v_mov_b32_e32 v3, v17
	v_mov_b32_e32 v2, v17
	;; [unrolled: 1-line block ×12, first 2 shown]
	s_branch .LBB129_3
.LBB129_2:                              ;   in Loop: Header=BB129_3 Depth=1
	s_or_b64 exec, exec, s[6:7]
	s_waitcnt vmcnt(35)
	v_and_b32_e32 v86, 0xf0f0f0f, v60
	v_mov_b32_e32 v101, v17
	s_waitcnt vmcnt(34)
	v_and_b32_e32 v87, 0xf0f0f0f, v59
	s_waitcnt vmcnt(1)
	v_dot4c_i32_i8_e32 v101, v86, v73
	v_mov_b32_e32 v31, v17
	v_lshrrev_b32_e32 v33, 4, v60
	v_lshrrev_b16_e32 v89, 8, v76
	v_dot4c_i32_i8_e32 v101, v87, v72
	v_and_b32_sdwa v76, s34, v76 dst_sel:DWORD dst_unused:UNUSED_PAD src0_sel:DWORD src1_sel:BYTE_0
	v_dot4c_i32_i8_e32 v31, 0x1010101, v73
	v_mov_b32_e32 v69, v17
	v_and_b32_e32 v60, 0xf0f0f0f, v33
	v_lshrrev_b32_e32 v33, 4, v59
	v_mul_lo_u32 v76, v101, v76
	v_mov_b32_e32 v101, v17
	v_dot4c_i32_i8_e32 v31, 0x1010101, v72
	v_dot4c_i32_i8_e32 v69, 0x1010101, v71
	v_and_b32_e32 v59, 0xf0f0f0f, v33
	v_lshrrev_b16_e32 v33, 8, v78
	v_and_b32_sdwa v78, s34, v78 dst_sel:DWORD dst_unused:UNUSED_PAD src0_sel:DWORD src1_sel:BYTE_0
	v_dot4c_i32_i8_e32 v101, v60, v71
	v_dot4c_i32_i8_e32 v69, 0x1010101, v70
	v_mul_lo_u32 v78, v31, v78
	v_dot4c_i32_i8_e32 v101, v59, v70
	v_cvt_f32_i32_e32 v76, v76
	v_cvt_f32_i32_e32 v78, v78
	v_mul_lo_u32 v33, v69, v33
	v_mul_lo_u32 v89, v101, v89
	v_cvt_f32_i32_e32 v89, v89
	v_cvt_f32_i32_e32 v33, v33
	v_cvt_f32_f16_sdwa v88, v41 dst_sel:DWORD dst_unused:UNUSED_PAD src0_sel:WORD_1
	v_fma_mix_f32 v76, v94, v76, 0 op_sel_hi:[1,0,0]
	v_fma_mix_f32 v78, v94, v78, 0 op_sel_hi:[1,0,0]
	s_waitcnt vmcnt(0)
	v_cvt_f32_f16_e32 v28, v32
	v_fma_mix_f32 v76, v32, v89, v76 op_sel_hi:[1,0,0]
	v_fma_mix_f32 v32, v32, v33, v78 op_sel_hi:[1,0,0]
	v_and_b32_e32 v89, 0xf0f0f0f, v66
	v_mul_f32_e32 v32, v32, v88
	v_mov_b32_e32 v103, v17
	v_cvt_f32_f16_e32 v30, v94
	v_fma_mix_f32 v32, v76, v41, -v32 op_sel_hi:[0,1,0]
	v_mov_b32_e32 v76, v17
	v_and_b32_e32 v94, 0xf0f0f0f, v64
	v_dot4c_i32_i8_e32 v103, v89, v98
	v_add_f32_e32 v2, v2, v32
	v_dot4c_i32_i8_e32 v76, 0x1010101, v98
	v_mov_b32_e32 v78, v17
	v_lshrrev_b32_e32 v32, 4, v66
	v_lshrrev_b16_e32 v102, 8, v77
	v_dot4c_i32_i8_e32 v103, v94, v97
	v_and_b32_sdwa v77, s34, v77 dst_sel:DWORD dst_unused:UNUSED_PAD src0_sel:DWORD src1_sel:BYTE_0
	v_dot4c_i32_i8_e32 v76, 0x1010101, v97
	v_dot4c_i32_i8_e32 v78, 0x1010101, v96
	v_and_b32_e32 v66, 0xf0f0f0f, v32
	v_lshrrev_b32_e32 v32, 4, v64
	v_lshrrev_b16_e32 v101, 8, v80
	v_mul_lo_u32 v77, v103, v77
	v_and_b32_sdwa v80, s34, v80 dst_sel:DWORD dst_unused:UNUSED_PAD src0_sel:DWORD src1_sel:BYTE_0
	v_mov_b32_e32 v103, v17
	v_dot4c_i32_i8_e32 v78, 0x1010101, v95
	v_and_b32_e32 v64, 0xf0f0f0f, v32
	v_mul_lo_u32 v80, v76, v80
	v_dot4c_i32_i8_e32 v103, v66, v96
	v_cvt_f32_i32_e32 v80, v80
	v_dot4c_i32_i8_e32 v103, v64, v95
	v_mul_lo_u32 v101, v78, v101
	v_cvt_f32_i32_e32 v77, v77
	v_cvt_f32_i32_e32 v101, v101
	v_mul_lo_u32 v102, v103, v102
	v_cvt_f32_f16_sdwa v33, v44 dst_sel:DWORD dst_unused:UNUSED_PAD src0_sel:WORD_1
	v_cvt_f32_i32_e32 v102, v102
	v_fma_mix_f32 v80, v92, v80, 0 op_sel_hi:[1,0,0]
	v_fma_mix_f32 v77, v92, v77, 0 op_sel_hi:[1,0,0]
	;; [unrolled: 1-line block ×3, first 2 shown]
	v_mov_b32_e32 v101, v17
	v_fma_mix_f32 v77, v93, v102, v77 op_sel_hi:[1,0,0]
	v_mul_f32_e32 v80, v80, v33
	v_dot4c_i32_i8_e32 v101, v86, v98
	v_and_b32_sdwa v98, s34, v99 dst_sel:DWORD dst_unused:UNUSED_PAD src0_sel:DWORD src1_sel:BYTE_0
	v_fma_mix_f32 v77, v77, v44, -v80 op_sel_hi:[0,1,0]
	v_mul_lo_u32 v76, v76, v98
	v_mov_b32_e32 v98, v17
	v_add_f32_e32 v1, v1, v77
	v_lshrrev_b16_e32 v77, 8, v99
	v_dot4c_i32_i8_e32 v101, v87, v97
	v_and_b32_sdwa v97, s34, v100 dst_sel:DWORD dst_unused:UNUSED_PAD src0_sel:DWORD src1_sel:BYTE_0
	v_dot4c_i32_i8_e32 v98, v60, v96
	v_lshrrev_b16_e32 v80, 8, v100
	v_mul_lo_u32 v97, v101, v97
	v_cvt_f32_i32_e32 v76, v76
	v_dot4c_i32_i8_e32 v98, v59, v95
	v_mul_lo_u32 v77, v78, v77
	v_cvt_f32_i32_e32 v97, v97
	v_cvt_f32_i32_e32 v77, v77
	v_mul_lo_u32 v80, v98, v80
	v_cvt_f32_i32_e32 v80, v80
	v_fma_mix_f32 v76, v92, v76, 0 op_sel_hi:[1,0,0]
	v_fma_mix_f32 v78, v92, v97, 0 op_sel_hi:[1,0,0]
	;; [unrolled: 1-line block ×4, first 2 shown]
	v_mul_f32_e32 v76, v76, v88
	v_fma_mix_f32 v76, v78, v41, -v76 op_sel_hi:[0,1,0]
	v_mov_b32_e32 v92, v17
	v_add_f32_e32 v0, v0, v76
	v_mov_b32_e32 v76, v17
	v_dot4c_i32_i8_e32 v92, v89, v83
	v_dot4c_i32_i8_e32 v76, 0x1010101, v83
	v_mov_b32_e32 v77, v17
	v_lshrrev_b16_e32 v80, 8, v91
	v_dot4c_i32_i8_e32 v92, v94, v82
	v_and_b32_sdwa v91, s34, v91 dst_sel:DWORD dst_unused:UNUSED_PAD src0_sel:DWORD src1_sel:BYTE_0
	v_dot4c_i32_i8_e32 v76, 0x1010101, v82
	v_dot4c_i32_i8_e32 v77, 0x1010101, v81
	v_lshrrev_b16_e32 v78, 8, v90
	v_mul_lo_u32 v91, v92, v91
	v_and_b32_sdwa v90, s34, v90 dst_sel:DWORD dst_unused:UNUSED_PAD src0_sel:DWORD src1_sel:BYTE_0
	v_mov_b32_e32 v92, v17
	v_dot4c_i32_i8_e32 v77, 0x1010101, v79
	v_mul_lo_u32 v90, v76, v90
	v_dot4c_i32_i8_e32 v92, v66, v81
	v_cvt_f32_i32_e32 v90, v90
	v_dot4c_i32_i8_e32 v92, v64, v79
	v_mul_lo_u32 v78, v77, v78
	v_cvt_f32_i32_e32 v91, v91
	v_cvt_f32_i32_e32 v78, v78
	v_mul_lo_u32 v80, v92, v80
	v_cvt_f32_i32_e32 v80, v80
	v_fma_mix_f32 v90, v74, v90, 0 op_sel_hi:[1,0,0]
	v_fma_mix_f32 v91, v74, v91, 0 op_sel_hi:[1,0,0]
	;; [unrolled: 1-line block ×3, first 2 shown]
	v_mov_b32_e32 v90, v17
	v_fma_mix_f32 v80, v75, v80, v91 op_sel_hi:[1,0,0]
	v_mul_f32_e32 v78, v78, v33
	v_dot4c_i32_i8_e32 v90, v86, v83
	v_and_b32_sdwa v83, s34, v84 dst_sel:DWORD dst_unused:UNUSED_PAD src0_sel:DWORD src1_sel:BYTE_0
	v_fma_mix_f32 v78, v80, v44, -v78 op_sel_hi:[0,1,0]
	v_dot4c_i32_i8_e32 v90, v87, v82
	v_and_b32_sdwa v82, s34, v85 dst_sel:DWORD dst_unused:UNUSED_PAD src0_sel:DWORD src1_sel:BYTE_0
	v_mul_lo_u32 v76, v76, v83
	v_mov_b32_e32 v83, v17
	v_add_f32_e32 v7, v7, v78
	v_lshrrev_b16_e32 v78, 8, v84
	v_mul_lo_u32 v82, v90, v82
	v_dot4c_i32_i8_e32 v83, v60, v81
	v_lshrrev_b16_e32 v80, 8, v85
	v_cvt_f32_i32_e32 v82, v82
	v_cvt_f32_i32_e32 v76, v76
	v_dot4c_i32_i8_e32 v83, v59, v79
	v_mul_lo_u32 v77, v77, v78
	v_cvt_f32_i32_e32 v77, v77
	v_fma_mix_f32 v78, v74, v82, 0 op_sel_hi:[1,0,0]
	v_mul_lo_u32 v79, v83, v80
	v_cvt_f32_i32_e32 v79, v79
	v_fma_mix_f32 v74, v74, v76, 0 op_sel_hi:[1,0,0]
	v_cvt_f32_f16_e32 v32, v44
	v_fma_mix_f32 v74, v75, v77, v74 op_sel_hi:[1,0,0]
	v_fma_mix_f32 v76, v75, v79, v78 op_sel_hi:[1,0,0]
	v_mul_f32_e32 v74, v74, v88
	v_fma_mix_f32 v74, v76, v41, -v74 op_sel_hi:[0,1,0]
	v_mov_b32_e32 v78, v17
	v_add_f32_e32 v6, v6, v74
	v_mov_b32_e32 v74, v17
	v_dot4c_i32_i8_e32 v78, v89, v61
	v_dot4c_i32_i8_e32 v74, 0x1010101, v61
	v_mov_b32_e32 v75, v17
	v_lshrrev_b16_e32 v77, 8, v68
	v_dot4c_i32_i8_e32 v78, v94, v62
	v_and_b32_sdwa v68, s34, v68 dst_sel:DWORD dst_unused:UNUSED_PAD src0_sel:DWORD src1_sel:BYTE_0
	v_dot4c_i32_i8_e32 v74, 0x1010101, v62
	v_dot4c_i32_i8_e32 v75, 0x1010101, v58
	v_lshrrev_b16_e32 v76, 8, v67
	v_mul_lo_u32 v68, v78, v68
	v_and_b32_sdwa v67, s34, v67 dst_sel:DWORD dst_unused:UNUSED_PAD src0_sel:DWORD src1_sel:BYTE_0
	v_mov_b32_e32 v78, v17
	v_dot4c_i32_i8_e32 v75, 0x1010101, v57
	v_mul_lo_u32 v67, v74, v67
	v_dot4c_i32_i8_e32 v78, v66, v58
	v_cvt_f32_i32_e32 v67, v67
	v_dot4c_i32_i8_e32 v78, v64, v57
	v_mul_lo_u32 v76, v75, v76
	v_cvt_f32_i32_e32 v68, v68
	v_cvt_f32_i32_e32 v76, v76
	v_mul_lo_u32 v77, v78, v77
	v_cvt_f32_i32_e32 v77, v77
	v_fma_mix_f32 v67, v55, v67, 0 op_sel_hi:[1,0,0]
	v_fma_mix_f32 v68, v55, v68, 0 op_sel_hi:[1,0,0]
	;; [unrolled: 1-line block ×4, first 2 shown]
	v_mul_f32_e32 v67, v67, v33
	v_mov_b32_e32 v76, v17
	v_fma_mix_f32 v67, v68, v44, -v67 op_sel_hi:[0,1,0]
	v_dot4c_i32_i8_e32 v76, v86, v61
	v_add_f32_e32 v5, v5, v67
	v_lshrrev_b16_e32 v67, 8, v63
	v_dot4c_i32_i8_e32 v76, v87, v62
	v_and_b32_sdwa v61, s34, v65 dst_sel:DWORD dst_unused:UNUSED_PAD src0_sel:DWORD src1_sel:BYTE_0
	v_and_b32_sdwa v62, s34, v63 dst_sel:DWORD dst_unused:UNUSED_PAD src0_sel:DWORD src1_sel:BYTE_0
	v_mov_b32_e32 v63, v17
	v_mul_lo_u32 v61, v76, v61
	v_mul_lo_u32 v62, v74, v62
	v_dot4c_i32_i8_e32 v63, v60, v58
	v_lshrrev_b16_e32 v68, 8, v65
	v_cvt_f32_i32_e32 v61, v61
	v_cvt_f32_i32_e32 v62, v62
	v_dot4c_i32_i8_e32 v63, v59, v57
	v_mul_lo_u32 v58, v75, v67
	v_cvt_f32_i32_e32 v58, v58
	v_fma_mix_f32 v61, v55, v61, 0 op_sel_hi:[1,0,0]
	v_mul_lo_u32 v57, v63, v68
	v_cvt_f32_i32_e32 v57, v57
	v_fma_mix_f32 v55, v55, v62, 0 op_sel_hi:[1,0,0]
	v_add_u32_e32 v19, 4, v19
	v_fma_mix_f32 v55, v56, v58, v55 op_sel_hi:[1,0,0]
	v_fma_mix_f32 v57, v56, v57, v61 op_sel_hi:[1,0,0]
	v_mul_f32_e32 v55, v55, v88
	v_fma_mix_f32 v55, v57, v41, -v55 op_sel_hi:[0,1,0]
	v_mov_b32_e32 v61, v17
	v_add_f32_e32 v4, v4, v55
	v_mov_b32_e32 v55, v17
	v_dot4c_i32_i8_e32 v61, v89, v50
	v_dot4c_i32_i8_e32 v55, 0x1010101, v50
	v_mov_b32_e32 v56, v17
	v_lshrrev_b16_e32 v58, 8, v54
	v_dot4c_i32_i8_e32 v61, v94, v49
	v_and_b32_sdwa v54, s34, v54 dst_sel:DWORD dst_unused:UNUSED_PAD src0_sel:DWORD src1_sel:BYTE_0
	v_dot4c_i32_i8_e32 v55, 0x1010101, v49
	v_dot4c_i32_i8_e32 v56, 0x1010101, v48
	v_lshrrev_b16_e32 v57, 8, v53
	v_mul_lo_u32 v54, v61, v54
	v_and_b32_sdwa v53, s34, v53 dst_sel:DWORD dst_unused:UNUSED_PAD src0_sel:DWORD src1_sel:BYTE_0
	v_mov_b32_e32 v61, v17
	v_dot4c_i32_i8_e32 v56, 0x1010101, v47
	v_mul_lo_u32 v53, v55, v53
	v_dot4c_i32_i8_e32 v61, v66, v48
	v_cvt_f32_i32_e32 v53, v53
	v_dot4c_i32_i8_e32 v61, v64, v47
	v_mul_lo_u32 v57, v56, v57
	v_cvt_f32_i32_e32 v54, v54
	v_cvt_f32_i32_e32 v57, v57
	v_mul_lo_u32 v58, v61, v58
	v_cvt_f32_i32_e32 v58, v58
	v_fma_mix_f32 v53, v45, v53, 0 op_sel_hi:[1,0,0]
	v_fma_mix_f32 v54, v45, v54, 0 op_sel_hi:[1,0,0]
	v_fma_mix_f32 v53, v46, v57, v53 op_sel_hi:[1,0,0]
	v_fma_mix_f32 v54, v46, v58, v54 op_sel_hi:[1,0,0]
	v_mul_f32_e32 v53, v53, v33
	v_mov_b32_e32 v57, v17
	v_fma_mix_f32 v53, v54, v44, -v53 op_sel_hi:[0,1,0]
	v_dot4c_i32_i8_e32 v57, v86, v50
	v_add_f32_e32 v11, v11, v53
	v_lshrrev_b16_e32 v53, 8, v51
	v_dot4c_i32_i8_e32 v57, v87, v49
	v_and_b32_sdwa v49, s34, v52 dst_sel:DWORD dst_unused:UNUSED_PAD src0_sel:DWORD src1_sel:BYTE_0
	v_and_b32_sdwa v50, s34, v51 dst_sel:DWORD dst_unused:UNUSED_PAD src0_sel:DWORD src1_sel:BYTE_0
	v_mov_b32_e32 v51, v17
	v_mul_lo_u32 v49, v57, v49
	v_mul_lo_u32 v50, v55, v50
	v_dot4c_i32_i8_e32 v51, v60, v48
	v_lshrrev_b16_e32 v54, 8, v52
	v_cvt_f32_i32_e32 v49, v49
	v_cvt_f32_i32_e32 v50, v50
	v_dot4c_i32_i8_e32 v51, v59, v47
	v_mul_lo_u32 v48, v56, v53
	v_cvt_f32_i32_e32 v48, v48
	v_fma_mix_f32 v49, v45, v49, 0 op_sel_hi:[1,0,0]
	v_mul_lo_u32 v47, v51, v54
	v_cvt_f32_i32_e32 v47, v47
	v_fma_mix_f32 v45, v45, v50, 0 op_sel_hi:[1,0,0]
	v_bfe_u32 v50, v43, 16, 8
	v_fma_mix_f32 v45, v46, v48, v45 op_sel_hi:[1,0,0]
	v_fma_mix_f32 v47, v46, v47, v49 op_sel_hi:[1,0,0]
	v_mul_f32_e32 v45, v45, v88
	v_fma_mix_f32 v45, v47, v41, -v45 op_sel_hi:[0,1,0]
	v_mov_b32_e32 v49, v17
	v_add_f32_e32 v10, v10, v45
	v_mov_b32_e32 v45, v17
	v_dot4c_i32_i8_e32 v49, v89, v40
	v_dot4c_i32_i8_e32 v45, 0x1010101, v40
	v_mov_b32_e32 v46, v17
	v_dot4c_i32_i8_e32 v49, v94, v39
	v_dot4c_i32_i8_e32 v45, 0x1010101, v39
	;; [unrolled: 1-line block ×3, first 2 shown]
	v_lshrrev_b16_e32 v47, 8, v43
	v_lshrrev_b32_e32 v48, 24, v43
	v_mul_lo_u32 v49, v49, v50
	v_and_b32_e32 v43, 0xff, v43
	v_mov_b32_e32 v50, v17
	v_dot4c_i32_i8_e32 v46, 0x1010101, v37
	v_mul_lo_u32 v43, v45, v43
	v_dot4c_i32_i8_e32 v50, v66, v38
	v_cvt_f32_i32_e32 v43, v43
	v_dot4c_i32_i8_e32 v50, v64, v37
	v_mul_lo_u32 v47, v46, v47
	v_cvt_f32_i32_e32 v49, v49
	v_cvt_f32_i32_e32 v47, v47
	v_mul_lo_u32 v48, v50, v48
	v_cvt_f32_i32_e32 v48, v48
	v_fma_mix_f32 v43, v35, v43, 0 op_sel_hi:[1,0,0]
	v_fma_mix_f32 v49, v35, v49, 0 op_sel_hi:[1,0,0]
	;; [unrolled: 1-line block ×4, first 2 shown]
	v_mul_f32_e32 v43, v43, v33
	v_mov_b32_e32 v47, v17
	v_fma_mix_f32 v43, v48, v44, -v43 op_sel_hi:[0,1,0]
	v_dot4c_i32_i8_e32 v47, v86, v40
	v_add_f32_e32 v9, v9, v43
	v_lshrrev_b16_e32 v43, 8, v42
	v_lshrrev_b32_e32 v44, 24, v42
	v_dot4c_i32_i8_e32 v47, v87, v39
	v_bfe_u32 v39, v42, 16, 8
	v_and_b32_e32 v40, 0xff, v42
	v_mov_b32_e32 v42, v17
	v_dot4c_i32_i8_e32 v42, v60, v38
	v_mul_lo_u32 v39, v47, v39
	v_dot4c_i32_i8_e32 v42, v59, v37
	v_cvt_f32_i32_e32 v39, v39
	v_mul_lo_u32 v40, v45, v40
	v_cvt_f32_i32_e32 v40, v40
	v_mul_lo_u32 v37, v42, v44
	;; [unrolled: 2-line block ×3, first 2 shown]
	v_cvt_f32_i32_e32 v38, v38
	v_fma_mix_f32 v39, v35, v39, 0 op_sel_hi:[1,0,0]
	v_fma_mix_f32 v35, v35, v40, 0 op_sel_hi:[1,0,0]
	;; [unrolled: 1-line block ×3, first 2 shown]
	v_mov_b32_e32 v37, v17
	v_fma_mix_f32 v35, v36, v38, v35 op_sel_hi:[1,0,0]
	v_pk_lshrrev_b16 v36, 8, v29 op_sel_hi:[0,1]
	v_dot4c_i32_i8_e32 v37, v89, v73
	v_and_b32_e32 v29, 0xff00ff, v29
	v_mov_b32_e32 v38, v17
	v_dot4c_i32_i8_e32 v37, v94, v72
	v_dot4c_i32_i8_e32 v38, v66, v71
	v_lshrrev_b32_e32 v39, 16, v36
	v_and_b32_e32 v42, 0xff, v36
	v_lshrrev_b32_e32 v36, 16, v29
	v_and_b32_e32 v29, 0xff, v29
	v_dot4c_i32_i8_e32 v38, v64, v70
	v_mul_lo_u32 v29, v37, v29
	v_mul_lo_u32 v31, v31, v36
	v_cvt_f32_i32_e32 v37, v31
	v_cvt_f32_i32_e32 v36, v29
	v_mul_lo_u32 v29, v38, v42
	v_mul_lo_u32 v31, v69, v39
	v_cvt_f32_i32_e32 v39, v31
	v_cvt_f32_i32_e32 v38, v29
	v_mul_f32_e32 v35, v35, v88
	v_fma_mix_f32 v29, v40, v41, -v35 op_sel_hi:[0,1,0]
	v_pk_fma_f32 v[30:31], v[30:31], v[36:37], 0 op_sel_hi:[0,1,0]
	v_add_f32_e32 v8, v8, v29
	v_pk_fma_f32 v[28:29], v[28:29], v[38:39], v[30:31] op_sel_hi:[0,1,1]
	v_pk_mul_f32 v[28:29], v[28:29], v[32:33]
	v_cmp_le_u32_e64 s[6:7], s5, v19
	v_sub_f32_e32 v28, v28, v29
	v_add_f32_e32 v3, v3, v28
	v_lshl_add_u64 v[24:25], v[24:25], 0, s[16:17]
	s_or_b64 s[12:13], s[6:7], s[12:13]
	v_add_u32_e32 v34, 32, v34
	s_andn2_b64 exec, exec, s[12:13]
	s_cbranch_execz .LBB129_47
.LBB129_3:                              ; =>This Inner Loop Header: Depth=1
	v_lshl_add_u64 v[28:29], v[24:25], 0, v[20:21]
	global_load_dword v35, v[24:25], off offset:-36
	global_load_dword v36, v[24:25], off
	global_load_dword v40, v[28:29], off offset:-32
	global_load_dword v39, v[28:29], off offset:-16
	global_load_dword v38, v[28:29], off offset:4
	global_load_dword v37, v[28:29], off offset:20
	v_add_u32_e32 v28, s11, v19
	v_mad_i64_i32 v[30:31], s[6:7], v28, s26, v[26:27]
	v_lshl_add_u64 v[28:29], v[30:31], 0, v[14:15]
	v_lshl_add_u64 v[28:29], v[28:29], 0, v[20:21]
	global_load_dword v60, v[28:29], off offset:16
	global_load_dword v59, v[28:29], off offset:32
	v_lshl_add_u64 v[28:29], v[30:31], 0, v[16:17]
                                        ; implicit-def: $vgpr42
                                        ; implicit-def: $vgpr70
                                        ; implicit-def: $vgpr71
	s_and_saveexec_b64 s[6:7], vcc
	s_xor_b64 s[6:7], exec, s[6:7]
	s_cbranch_execz .LBB129_5
; %bb.4:                                ;   in Loop: Header=BB129_3 Depth=1
	global_load_ushort v70, v[28:29], off offset:8
	global_load_ushort v71, v[28:29], off offset:4
	global_load_ushort v32, v[28:29], off
	s_waitcnt vmcnt(1)
	v_lshrrev_b16_e32 v33, 2, v71
	s_waitcnt vmcnt(0)
	v_perm_b32 v32, v32, v70, s27
	v_perm_b32 v33, v70, v33, s27
	v_pk_lshrrev_b16 v32, s28, v32
	v_and_b32_e32 v33, 0xf0f3030, v33
	v_and_or_b32 v42, v32, s29, v33
.LBB129_5:                              ;   in Loop: Header=BB129_3 Depth=1
	s_andn2_saveexec_b64 s[6:7], s[6:7]
	s_cbranch_execz .LBB129_7
; %bb.6:                                ;   in Loop: Header=BB129_3 Depth=1
	global_load_ushort v71, v[28:29], off offset:4
	global_load_ushort v70, v[28:29], off offset:8
	s_waitcnt vmcnt(0)
	v_perm_b32 v32, v71, v70, s27
	v_and_b32_e32 v42, 0x3f3f3f3f, v32
.LBB129_7:                              ;   in Loop: Header=BB129_3 Depth=1
	s_or_b64 exec, exec, s[6:7]
	v_add_u32_e32 v41, s8, v19
	v_mov_b64_e32 v[32:33], s[20:21]
	v_mad_i64_i32 v[32:33], s[6:7], v41, s26, v[32:33]
	v_lshl_add_u64 v[44:45], v[32:33], 0, v[14:15]
	v_lshl_add_u64 v[44:45], v[44:45], 0, v[20:21]
	global_load_dword v41, v[30:31], off
	global_load_dword v66, v[44:45], off offset:16
	global_load_dword v64, v[44:45], off offset:32
	v_lshl_add_u64 v[30:31], v[32:33], 0, v[16:17]
                                        ; implicit-def: $vgpr69
                                        ; implicit-def: $vgpr43
	s_and_saveexec_b64 s[6:7], vcc
	s_xor_b64 s[6:7], exec, s[6:7]
	s_cbranch_execz .LBB129_9
; %bb.8:                                ;   in Loop: Header=BB129_3 Depth=1
	global_load_ushort v44, v[30:31], off offset:8
	global_load_ushort v45, v[30:31], off offset:4
	global_load_ushort v43, v[30:31], off
	s_waitcnt vmcnt(1)
	v_lshrrev_b16_e32 v46, 2, v45
	s_waitcnt vmcnt(0)
	v_perm_b32 v43, v43, v44, s27
	v_perm_b32 v46, v44, v46, s27
	v_pk_lshrrev_b16 v43, s28, v43
	v_and_b32_e32 v46, 0xf0f3030, v46
	v_and_or_b32 v43, v43, s29, v46
	v_perm_b32 v69, v44, v45, s27
.LBB129_9:                              ;   in Loop: Header=BB129_3 Depth=1
	s_andn2_saveexec_b64 s[6:7], s[6:7]
	s_cbranch_execz .LBB129_11
; %bb.10:                               ;   in Loop: Header=BB129_3 Depth=1
	global_load_ushort v44, v[30:31], off offset:4
	global_load_ushort v45, v[30:31], off offset:8
	s_waitcnt vmcnt(0)
	v_perm_b32 v43, v44, v45, s27
	v_and_b32_e32 v43, 0x3f3f3f3f, v43
	v_perm_b32 v69, v45, v44, s27
.LBB129_11:                             ;   in Loop: Header=BB129_3 Depth=1
	s_or_b64 exec, exec, s[6:7]
	global_load_dword v44, v[32:33], off
	v_add_u32_e32 v32, s9, v34
	v_mad_u64_u32 v[52:53], s[6:7], v32, 36, v[22:23]
	v_lshlrev_b32_e32 v32, 2, v18
	v_mov_b32_e32 v33, v17
	v_lshl_add_u64 v[54:55], v[52:53], 0, v[32:33]
	global_load_dword v45, v[52:53], off
	global_load_dword v49, v[54:55], off offset:20
	global_load_dword v48, v[54:55], off offset:40
	;; [unrolled: 1-line block ×5, first 2 shown]
	v_lshrrev_b16_e32 v33, 4, v70
	v_lshrrev_b16_e32 v51, 2, v71
	v_and_b32_e32 v86, 0xf0f, v70
	v_and_b32_e32 v87, 0xf0f, v33
	v_and_b32_e32 v88, 0x3030, v51
                                        ; implicit-def: $vgpr52
                                        ; implicit-def: $vgpr51
	s_and_saveexec_b64 s[6:7], vcc
	s_xor_b64 s[6:7], exec, s[6:7]
	s_cbranch_execz .LBB129_13
; %bb.12:                               ;   in Loop: Header=BB129_3 Depth=1
	global_load_ushort v33, v[28:29], off
	v_or_b32_e32 v51, v88, v87
	s_waitcnt vmcnt(0)
	v_lshrrev_b16_e32 v33, 2, v33
	v_and_b32_e32 v33, 0x3030, v33
	v_or_b32_e32 v52, v33, v86
.LBB129_13:                             ;   in Loop: Header=BB129_3 Depth=1
	s_or_saveexec_b64 s[6:7], s[6:7]
	v_and_b32_e32 v76, 0x3f3f, v71
	v_and_b32_e32 v78, 0x3f3f, v70
	s_xor_b64 exec, exec, s[6:7]
; %bb.14:                               ;   in Loop: Header=BB129_3 Depth=1
	v_and_b32_e32 v52, 0x3f3f, v71
	v_and_b32_e32 v51, 0x3f3f, v70
; %bb.15:                               ;   in Loop: Header=BB129_3 Depth=1
	s_or_b64 exec, exec, s[6:7]
	v_lshrrev_b32_e32 v89, 20, v69
	v_and_b32_sdwa v72, v69, s30 dst_sel:DWORD dst_unused:UNUSED_PAD src0_sel:WORD_1 src1_sel:DWORD
	v_and_b32_e32 v73, 0xf0f, v89
	v_lshrrev_b16_e32 v94, 2, v69
                                        ; implicit-def: $vgpr54
                                        ; implicit-def: $vgpr53
	s_and_saveexec_b64 s[6:7], vcc
	s_xor_b64 s[6:7], exec, s[6:7]
	s_cbranch_execz .LBB129_17
; %bb.16:                               ;   in Loop: Header=BB129_3 Depth=1
	global_load_ushort v33, v[30:31], off
	v_and_b32_e32 v53, 0x3030, v94
	v_or_b32_e32 v53, v53, v73
	s_waitcnt vmcnt(0)
	v_lshrrev_b16_e32 v33, 2, v33
	v_and_b32_e32 v33, 0x3030, v33
	v_or_b32_e32 v54, v33, v72
.LBB129_17:                             ;   in Loop: Header=BB129_3 Depth=1
	s_or_saveexec_b64 s[6:7], s[6:7]
	v_and_b32_e32 v77, 0x3f3f, v69
	v_and_b32_sdwa v80, v69, s31 dst_sel:DWORD dst_unused:UNUSED_PAD src0_sel:WORD_1 src1_sel:DWORD
	s_xor_b64 exec, exec, s[6:7]
; %bb.18:                               ;   in Loop: Header=BB129_3 Depth=1
	v_and_b32_e32 v54, 0x3f3f, v69
	v_and_b32_sdwa v53, v69, s31 dst_sel:DWORD dst_unused:UNUSED_PAD src0_sel:WORD_1 src1_sel:DWORD
; %bb.19:                               ;   in Loop: Header=BB129_3 Depth=1
	s_or_b64 exec, exec, s[6:7]
	v_add_u32_e32 v33, s15, v34
	v_mad_u64_u32 v[74:75], s[6:7], v33, 36, v[22:23]
	v_mov_b32_e32 v33, v17
	v_lshl_add_u64 v[82:83], v[74:75], 0, v[32:33]
	global_load_dword v55, v[74:75], off
	global_load_dword v61, v[82:83], off offset:4
	global_load_dword v62, v[82:83], off offset:20
	;; [unrolled: 1-line block ×5, first 2 shown]
                                        ; implicit-def: $vgpr65
                                        ; implicit-def: $vgpr63
	s_and_saveexec_b64 s[6:7], vcc
	s_xor_b64 s[6:7], exec, s[6:7]
	s_cbranch_execz .LBB129_21
; %bb.20:                               ;   in Loop: Header=BB129_3 Depth=1
	global_load_ushort v33, v[28:29], off
	v_or_b32_e32 v63, v88, v87
	s_waitcnt vmcnt(0)
	v_lshrrev_b16_e32 v33, 2, v33
	v_and_b32_e32 v33, 0x3030, v33
	v_or_b32_e32 v65, v33, v86
	s_andn2_saveexec_b64 s[6:7], s[6:7]
	s_branch .LBB129_22
.LBB129_21:                             ;   in Loop: Header=BB129_3 Depth=1
	s_andn2_saveexec_b64 s[6:7], s[6:7]
.LBB129_22:                             ;   in Loop: Header=BB129_3 Depth=1
	v_and_b32_e32 v65, 0x3f3f, v71
	v_and_b32_e32 v63, 0x3f3f, v70
; %bb.23:                               ;   in Loop: Header=BB129_3 Depth=1
	s_or_b64 exec, exec, s[6:7]
                                        ; implicit-def: $vgpr68
                                        ; implicit-def: $vgpr67
	s_and_saveexec_b64 s[6:7], vcc
	s_xor_b64 s[6:7], exec, s[6:7]
	s_cbranch_execz .LBB129_25
; %bb.24:                               ;   in Loop: Header=BB129_3 Depth=1
	global_load_ushort v33, v[30:31], off
	v_and_b32_e32 v67, 0x3030, v94
	v_or_b32_e32 v67, v67, v73
	s_waitcnt vmcnt(0)
	v_lshrrev_b16_e32 v33, 2, v33
	v_and_b32_e32 v33, 0x3030, v33
	v_or_b32_e32 v68, v33, v72
	s_andn2_saveexec_b64 s[6:7], s[6:7]
	s_cbranch_execnz .LBB129_26
	s_branch .LBB129_27
.LBB129_25:                             ;   in Loop: Header=BB129_3 Depth=1
	s_andn2_saveexec_b64 s[6:7], s[6:7]
.LBB129_26:                             ;   in Loop: Header=BB129_3 Depth=1
	v_and_b32_e32 v68, 0x3f3f, v69
	v_and_b32_sdwa v67, v69, s31 dst_sel:DWORD dst_unused:UNUSED_PAD src0_sel:WORD_1 src1_sel:DWORD
.LBB129_27:                             ;   in Loop: Header=BB129_3 Depth=1
	s_or_b64 exec, exec, s[6:7]
	v_add_u32_e32 v33, s19, v34
	v_mad_u64_u32 v[84:85], s[6:7], v33, 36, v[22:23]
	v_mov_b32_e32 v33, v17
	v_lshl_add_u64 v[90:91], v[84:85], 0, v[32:33]
	global_load_dword v74, v[84:85], off
	global_load_dword v82, v[90:91], off offset:20
	global_load_dword v81, v[90:91], off offset:40
	;; [unrolled: 1-line block ×5, first 2 shown]
                                        ; implicit-def: $vgpr85
                                        ; implicit-def: $vgpr84
	s_and_saveexec_b64 s[6:7], vcc
	s_xor_b64 s[6:7], exec, s[6:7]
	s_cbranch_execz .LBB129_29
; %bb.28:                               ;   in Loop: Header=BB129_3 Depth=1
	global_load_ushort v33, v[28:29], off
	v_or_b32_e32 v84, v88, v87
	s_waitcnt vmcnt(0)
	v_lshrrev_b16_e32 v33, 2, v33
	v_and_b32_e32 v33, 0x3030, v33
	v_or_b32_e32 v85, v33, v86
	s_andn2_saveexec_b64 s[6:7], s[6:7]
	s_branch .LBB129_30
.LBB129_29:                             ;   in Loop: Header=BB129_3 Depth=1
	s_andn2_saveexec_b64 s[6:7], s[6:7]
.LBB129_30:                             ;   in Loop: Header=BB129_3 Depth=1
	v_and_b32_e32 v85, 0x3f3f, v71
	v_and_b32_e32 v84, 0x3f3f, v70
; %bb.31:                               ;   in Loop: Header=BB129_3 Depth=1
	s_or_b64 exec, exec, s[6:7]
                                        ; implicit-def: $vgpr91
                                        ; implicit-def: $vgpr90
	s_and_saveexec_b64 s[6:7], vcc
	s_xor_b64 s[6:7], exec, s[6:7]
	s_cbranch_execz .LBB129_33
; %bb.32:                               ;   in Loop: Header=BB129_3 Depth=1
	global_load_ushort v33, v[30:31], off
	v_and_b32_e32 v90, 0x3030, v94
	v_or_b32_e32 v90, v90, v73
	s_waitcnt vmcnt(0)
	v_lshrrev_b16_e32 v33, 2, v33
	v_and_b32_e32 v33, 0x3030, v33
	v_or_b32_e32 v91, v33, v72
	s_andn2_saveexec_b64 s[6:7], s[6:7]
	s_cbranch_execnz .LBB129_34
	s_branch .LBB129_35
.LBB129_33:                             ;   in Loop: Header=BB129_3 Depth=1
	s_andn2_saveexec_b64 s[6:7], s[6:7]
.LBB129_34:                             ;   in Loop: Header=BB129_3 Depth=1
	v_and_b32_e32 v91, 0x3f3f, v69
	v_and_b32_sdwa v90, v69, s31 dst_sel:DWORD dst_unused:UNUSED_PAD src0_sel:WORD_1 src1_sel:DWORD
.LBB129_35:                             ;   in Loop: Header=BB129_3 Depth=1
	s_or_b64 exec, exec, s[6:7]
	v_add_u32_e32 v33, s22, v34
	v_mad_u64_u32 v[100:101], s[6:7], v33, 36, v[22:23]
	v_mov_b32_e32 v33, v17
	v_lshl_add_u64 v[102:103], v[100:101], 0, v[32:33]
	global_load_dword v92, v[100:101], off
	global_load_dword v97, v[102:103], off offset:20
	global_load_dword v96, v[102:103], off offset:40
	;; [unrolled: 1-line block ×5, first 2 shown]
                                        ; implicit-def: $vgpr100
                                        ; implicit-def: $vgpr99
	s_and_saveexec_b64 s[6:7], vcc
	s_xor_b64 s[6:7], exec, s[6:7]
	s_cbranch_execz .LBB129_45
; %bb.36:                               ;   in Loop: Header=BB129_3 Depth=1
	global_load_ushort v33, v[28:29], off
	v_or_b32_e32 v99, v88, v87
                                        ; implicit-def: $vgpr71
                                        ; implicit-def: $vgpr70
	s_waitcnt vmcnt(0)
	v_lshrrev_b16_e32 v33, 2, v33
	v_and_b32_e32 v33, 0x3030, v33
	v_or_b32_e32 v100, v33, v86
	s_andn2_saveexec_b64 s[6:7], s[6:7]
	s_cbranch_execnz .LBB129_46
.LBB129_37:                             ;   in Loop: Header=BB129_3 Depth=1
	s_or_b64 exec, exec, s[6:7]
	s_and_saveexec_b64 s[6:7], vcc
	s_xor_b64 s[6:7], exec, s[6:7]
	s_cbranch_execz .LBB129_39
.LBB129_38:                             ;   in Loop: Header=BB129_3 Depth=1
	global_load_ushort v33, v[30:31], off
	v_and_b32_e32 v70, 0x3030, v94
	v_or_b32_e32 v80, v70, v73
	s_waitcnt vmcnt(0)
	v_lshrrev_b16_e32 v33, 2, v33
	v_and_b32_e32 v33, 0x3030, v33
	v_or_b32_e32 v77, v33, v72
.LBB129_39:                             ;   in Loop: Header=BB129_3 Depth=1
	s_andn2_saveexec_b64 s[6:7], s[6:7]
	s_or_b64 exec, exec, s[6:7]
	v_add_u32_e32 v33, s23, v34
	v_mad_u64_u32 v[102:103], s[6:7], v33, 36, v[22:23]
	v_mov_b32_e32 v33, v17
	v_lshl_add_u64 v[104:105], v[102:103], 0, v[32:33]
	global_load_dword v94, v[102:103], off
	global_load_dword v72, v[104:105], off offset:20
	global_load_dword v71, v[104:105], off offset:40
	;; [unrolled: 1-line block ×5, first 2 shown]
	s_and_saveexec_b64 s[6:7], vcc
	s_xor_b64 s[6:7], exec, s[6:7]
	s_cbranch_execz .LBB129_41
; %bb.40:                               ;   in Loop: Header=BB129_3 Depth=1
	global_load_ushort v28, v[28:29], off
	v_or_b32_e32 v78, v88, v87
	s_waitcnt vmcnt(0)
	v_lshrrev_b16_e32 v28, 2, v28
	v_and_b32_e32 v28, 0x3030, v28
	v_or_b32_e32 v76, v28, v86
.LBB129_41:                             ;   in Loop: Header=BB129_3 Depth=1
	s_andn2_saveexec_b64 s[6:7], s[6:7]
	s_or_b64 exec, exec, s[6:7]
                                        ; implicit-def: $vgpr29
	s_and_saveexec_b64 s[6:7], vcc
	s_xor_b64 s[6:7], exec, s[6:7]
	s_cbranch_execz .LBB129_43
; %bb.42:                               ;   in Loop: Header=BB129_3 Depth=1
	global_load_ushort v28, v[30:31], off
	v_alignbit_b32 v29, v89, v69, 16
	v_and_b32_e32 v29, 0xf0f0f0f, v29
	s_waitcnt vmcnt(0)
	v_perm_b32 v28, v69, v28, s27
	v_pk_lshrrev_b16 v28, 2, v28 op_sel_hi:[0,1]
	v_and_or_b32 v29, v28, s33, v29
                                        ; implicit-def: $vgpr69
.LBB129_43:                             ;   in Loop: Header=BB129_3 Depth=1
	s_andn2_saveexec_b64 s[6:7], s[6:7]
	s_cbranch_execz .LBB129_2
; %bb.44:                               ;   in Loop: Header=BB129_3 Depth=1
	v_and_b32_e32 v29, 0x3f3f3f3f, v69
	s_branch .LBB129_2
.LBB129_45:                             ;   in Loop: Header=BB129_3 Depth=1
	s_andn2_saveexec_b64 s[6:7], s[6:7]
	s_cbranch_execz .LBB129_37
.LBB129_46:                             ;   in Loop: Header=BB129_3 Depth=1
	v_and_b32_e32 v100, 0x3f3f, v71
	v_and_b32_e32 v99, 0x3f3f, v70
	s_or_b64 exec, exec, s[6:7]
	s_and_saveexec_b64 s[6:7], vcc
	s_xor_b64 s[6:7], exec, s[6:7]
	s_cbranch_execnz .LBB129_38
	s_branch .LBB129_39
.LBB129_47:
	s_or_b64 exec, exec, s[12:13]
	scratch_store_dwordx4 off, v[8:11], off
	scratch_store_dwordx4 off, v[4:7], off offset:16
	scratch_store_dwordx4 off, v[0:3], off offset:32
.LBB129_48:
	s_or_b64 exec, exec, s[24:25]
	s_mov_b32 s5, 0
	v_cmp_eq_u32_e32 vcc, 0, v13
	s_waitcnt lgkmcnt(0)
	; wave barrier
	s_and_saveexec_b64 s[6:7], vcc
	s_cbranch_execz .LBB129_61
; %bb.49:
	scratch_load_dwordx2 v[2:3], off, off
	v_mbcnt_lo_u32_b32 v0, -1, 0
	v_mbcnt_hi_u32_b32 v13, -1, v0
	s_load_dwordx2 s[6:7], s[0:1], 0x38
	s_mul_i32 s0, s3, s14
	v_or_b32_e32 v1, s2, v12
	v_and_b32_e32 v0, 64, v13
	s_mul_i32 s4, s4, s18
	s_add_i32 s2, s0, s2
	v_cmp_gt_u32_e64 s[0:1], s10, v1
	v_xor_b32_e32 v1, 32, v13
	v_add_u32_e32 v14, 64, v0
	s_add_i32 s4, s2, s4
	v_cmp_lt_i32_e64 s[2:3], v1, v14
	v_cmp_gt_u32_e32 vcc, 2, v12
	s_nop 0
	v_cndmask_b32_e64 v0, v13, v1, s[2:3]
	v_lshlrev_b32_e32 v0, 2, v0
	v_xor_b32_e32 v1, 16, v13
	v_cmp_lt_i32_e64 s[2:3], v1, v14
	s_waitcnt vmcnt(0)
	ds_bpermute_b32 v4, v0, v2
	ds_bpermute_b32 v5, v0, v3
	v_cndmask_b32_e64 v1, v13, v1, s[2:3]
	v_lshlrev_b32_e32 v1, 2, v1
	s_waitcnt lgkmcnt(0)
	v_pk_add_f32 v[4:5], v[2:3], v[4:5]
	ds_bpermute_b32 v6, v1, v4
	ds_bpermute_b32 v7, v1, v5
	v_xor_b32_e32 v2, 8, v13
	v_cmp_lt_i32_e64 s[2:3], v2, v14
	v_xor_b32_e32 v3, 4, v13
	s_waitcnt lgkmcnt(0)
	v_pk_add_f32 v[4:5], v[4:5], v[6:7]
	v_cndmask_b32_e64 v2, v13, v2, s[2:3]
	v_lshlrev_b32_e32 v2, 2, v2
	ds_bpermute_b32 v6, v2, v4
	ds_bpermute_b32 v7, v2, v5
	v_cmp_lt_i32_e64 s[2:3], v3, v14
	s_waitcnt lgkmcnt(0)
	v_pk_add_f32 v[6:7], v[4:5], v[6:7]
	v_cndmask_b32_e64 v3, v13, v3, s[2:3]
	v_lshlrev_b32_e32 v3, 2, v3
	ds_bpermute_b32 v8, v3, v6
	ds_bpermute_b32 v9, v3, v7
	v_xor_b32_e32 v4, 2, v13
	v_cmp_lt_i32_e64 s[2:3], v4, v14
	v_xor_b32_e32 v5, 1, v13
	s_waitcnt lgkmcnt(0)
	v_pk_add_f32 v[8:9], v[6:7], v[8:9]
	v_cndmask_b32_e64 v4, v13, v4, s[2:3]
	v_lshlrev_b32_e32 v4, 2, v4
	ds_bpermute_b32 v10, v4, v8
	ds_bpermute_b32 v11, v4, v9
	v_cmp_lt_i32_e64 s[2:3], v5, v14
	s_waitcnt lgkmcnt(0)
	v_pk_add_f32 v[8:9], v[8:9], v[10:11]
	v_cndmask_b32_e64 v5, v13, v5, s[2:3]
	v_lshlrev_b32_e32 v6, 2, v5
	ds_bpermute_b32 v10, v6, v8
	ds_bpermute_b32 v11, v6, v9
	s_lshl_b64 s[2:3], s[4:5], 2
	s_add_u32 s2, s6, s2
	s_addc_u32 s3, s7, s3
	s_and_b64 s[0:1], vcc, s[0:1]
	s_waitcnt lgkmcnt(0)
	v_pk_add_f32 v[8:9], v[8:9], v[10:11]
	v_lshlrev_b32_e32 v5, 2, v12
	scratch_store_dwordx2 off, v[8:9], off
	s_and_saveexec_b64 s[4:5], s[0:1]
	s_cbranch_execz .LBB129_51
; %bb.50:
	scratch_load_dword v7, v5, off
	s_waitcnt vmcnt(0)
	global_store_dword v5, v7, s[2:3]
.LBB129_51:
	s_or_b64 exec, exec, s[4:5]
	scratch_load_dwordx2 v[8:9], off, off offset:8
	s_waitcnt vmcnt(0)
	ds_bpermute_b32 v10, v0, v8
	ds_bpermute_b32 v11, v0, v9
	s_waitcnt lgkmcnt(0)
	v_pk_add_f32 v[8:9], v[8:9], v[10:11]
	ds_bpermute_b32 v10, v1, v8
	ds_bpermute_b32 v11, v1, v9
	s_waitcnt lgkmcnt(0)
	v_pk_add_f32 v[8:9], v[8:9], v[10:11]
	;; [unrolled: 4-line block ×6, first 2 shown]
	scratch_store_dwordx2 off, v[8:9], off offset:8
	s_and_saveexec_b64 s[4:5], s[0:1]
	s_cbranch_execz .LBB129_53
; %bb.52:
	scratch_load_dword v7, v5, off offset:8
	v_add_u32_e32 v8, s10, v12
	v_mov_b32_e32 v9, 0
	v_lshl_add_u64 v[8:9], v[8:9], 2, s[2:3]
	s_waitcnt vmcnt(0)
	global_store_dword v[8:9], v7, off
.LBB129_53:
	s_or_b64 exec, exec, s[4:5]
	scratch_load_dwordx2 v[8:9], off, off offset:16
	s_waitcnt vmcnt(0)
	ds_bpermute_b32 v10, v0, v8
	ds_bpermute_b32 v11, v0, v9
	s_waitcnt lgkmcnt(0)
	v_pk_add_f32 v[8:9], v[8:9], v[10:11]
	ds_bpermute_b32 v10, v1, v8
	ds_bpermute_b32 v11, v1, v9
	s_waitcnt lgkmcnt(0)
	v_pk_add_f32 v[8:9], v[8:9], v[10:11]
	;; [unrolled: 4-line block ×6, first 2 shown]
	scratch_store_dwordx2 off, v[8:9], off offset:16
	s_and_saveexec_b64 s[4:5], s[0:1]
	s_cbranch_execz .LBB129_55
; %bb.54:
	scratch_load_dword v7, v5, off offset:16
	v_lshl_or_b32 v8, s10, 1, v12
	v_mov_b32_e32 v9, 0
	v_lshl_add_u64 v[8:9], v[8:9], 2, s[2:3]
	s_waitcnt vmcnt(0)
	global_store_dword v[8:9], v7, off
.LBB129_55:
	s_or_b64 exec, exec, s[4:5]
	scratch_load_dwordx2 v[8:9], off, off offset:24
	s_waitcnt vmcnt(0)
	ds_bpermute_b32 v10, v0, v8
	ds_bpermute_b32 v11, v0, v9
	s_waitcnt lgkmcnt(0)
	v_pk_add_f32 v[8:9], v[8:9], v[10:11]
	ds_bpermute_b32 v10, v1, v8
	ds_bpermute_b32 v11, v1, v9
	s_waitcnt lgkmcnt(0)
	v_pk_add_f32 v[8:9], v[8:9], v[10:11]
	;; [unrolled: 4-line block ×6, first 2 shown]
	scratch_store_dwordx2 off, v[8:9], off offset:24
	s_and_saveexec_b64 s[4:5], s[0:1]
	s_cbranch_execz .LBB129_57
; %bb.56:
	scratch_load_dword v7, v5, off offset:24
	v_mad_u64_u32 v[8:9], s[6:7], s10, 3, v[12:13]
	v_mov_b32_e32 v9, 0
	v_lshl_add_u64 v[8:9], v[8:9], 2, s[2:3]
	s_waitcnt vmcnt(0)
	global_store_dword v[8:9], v7, off
.LBB129_57:
	s_or_b64 exec, exec, s[4:5]
	scratch_load_dwordx2 v[8:9], off, off offset:32
	s_waitcnt vmcnt(0)
	ds_bpermute_b32 v10, v0, v8
	ds_bpermute_b32 v11, v0, v9
	s_waitcnt lgkmcnt(0)
	v_pk_add_f32 v[8:9], v[8:9], v[10:11]
	ds_bpermute_b32 v10, v1, v8
	ds_bpermute_b32 v11, v1, v9
	s_waitcnt lgkmcnt(0)
	v_pk_add_f32 v[8:9], v[8:9], v[10:11]
	;; [unrolled: 4-line block ×6, first 2 shown]
	scratch_store_dwordx2 off, v[8:9], off offset:32
	s_and_saveexec_b64 s[4:5], s[0:1]
	s_cbranch_execz .LBB129_59
; %bb.58:
	scratch_load_dword v7, v5, off offset:32
	v_lshl_or_b32 v8, s10, 2, v12
	v_mov_b32_e32 v9, 0
	v_lshl_add_u64 v[8:9], v[8:9], 2, s[2:3]
	s_waitcnt vmcnt(0)
	global_store_dword v[8:9], v7, off
.LBB129_59:
	s_or_b64 exec, exec, s[4:5]
	scratch_load_dwordx2 v[8:9], off, off offset:40
	s_waitcnt vmcnt(0)
	ds_bpermute_b32 v10, v0, v8
	ds_bpermute_b32 v11, v0, v9
	s_waitcnt lgkmcnt(0)
	v_pk_add_f32 v[8:9], v[8:9], v[10:11]
	ds_bpermute_b32 v0, v1, v8
	ds_bpermute_b32 v1, v1, v9
	s_waitcnt lgkmcnt(0)
	v_pk_add_f32 v[0:1], v[8:9], v[0:1]
	;; [unrolled: 4-line block ×6, first 2 shown]
	scratch_store_dwordx2 off, v[0:1], off offset:40
	s_and_b64 exec, exec, s[0:1]
	s_cbranch_execz .LBB129_61
; %bb.60:
	scratch_load_dword v2, v5, off offset:40
	v_mad_u64_u32 v[0:1], s[0:1], s10, 5, v[12:13]
	v_mov_b32_e32 v1, 0
	v_lshl_add_u64 v[0:1], v[0:1], 2, s[2:3]
	s_waitcnt vmcnt(0)
	global_store_dword v[0:1], v2, off
.LBB129_61:
	s_endpgm
	.section	.rodata,"a",@progbits
	.p2align	6, 0x0
	.amdhsa_kernel _ZL13mul_mat_vec_qIL9ggml_type12ELi6ELb0ELb0EEvPKvS2_PKi31ggml_cuda_mm_fusion_args_devicePfj15HIP_vector_typeIjLj3EEjjjS8_jjjS8_jjjj
		.amdhsa_group_segment_fixed_size 0
		.amdhsa_private_segment_fixed_size 64
		.amdhsa_kernarg_size 144
		.amdhsa_user_sgpr_count 2
		.amdhsa_user_sgpr_dispatch_ptr 0
		.amdhsa_user_sgpr_queue_ptr 0
		.amdhsa_user_sgpr_kernarg_segment_ptr 1
		.amdhsa_user_sgpr_dispatch_id 0
		.amdhsa_user_sgpr_kernarg_preload_length 0
		.amdhsa_user_sgpr_kernarg_preload_offset 0
		.amdhsa_user_sgpr_private_segment_size 0
		.amdhsa_uses_dynamic_stack 0
		.amdhsa_enable_private_segment 1
		.amdhsa_system_sgpr_workgroup_id_x 1
		.amdhsa_system_sgpr_workgroup_id_y 1
		.amdhsa_system_sgpr_workgroup_id_z 1
		.amdhsa_system_sgpr_workgroup_info 0
		.amdhsa_system_vgpr_workitem_id 1
		.amdhsa_next_free_vgpr 106
		.amdhsa_next_free_sgpr 35
		.amdhsa_accum_offset 108
		.amdhsa_reserve_vcc 1
		.amdhsa_float_round_mode_32 0
		.amdhsa_float_round_mode_16_64 0
		.amdhsa_float_denorm_mode_32 3
		.amdhsa_float_denorm_mode_16_64 3
		.amdhsa_dx10_clamp 1
		.amdhsa_ieee_mode 1
		.amdhsa_fp16_overflow 0
		.amdhsa_tg_split 0
		.amdhsa_exception_fp_ieee_invalid_op 0
		.amdhsa_exception_fp_denorm_src 0
		.amdhsa_exception_fp_ieee_div_zero 0
		.amdhsa_exception_fp_ieee_overflow 0
		.amdhsa_exception_fp_ieee_underflow 0
		.amdhsa_exception_fp_ieee_inexact 0
		.amdhsa_exception_int_div_zero 0
	.end_amdhsa_kernel
	.section	.text._ZL13mul_mat_vec_qIL9ggml_type12ELi6ELb0ELb0EEvPKvS2_PKi31ggml_cuda_mm_fusion_args_devicePfj15HIP_vector_typeIjLj3EEjjjS8_jjjS8_jjjj,"axG",@progbits,_ZL13mul_mat_vec_qIL9ggml_type12ELi6ELb0ELb0EEvPKvS2_PKi31ggml_cuda_mm_fusion_args_devicePfj15HIP_vector_typeIjLj3EEjjjS8_jjjS8_jjjj,comdat
.Lfunc_end129:
	.size	_ZL13mul_mat_vec_qIL9ggml_type12ELi6ELb0ELb0EEvPKvS2_PKi31ggml_cuda_mm_fusion_args_devicePfj15HIP_vector_typeIjLj3EEjjjS8_jjjS8_jjjj, .Lfunc_end129-_ZL13mul_mat_vec_qIL9ggml_type12ELi6ELb0ELb0EEvPKvS2_PKi31ggml_cuda_mm_fusion_args_devicePfj15HIP_vector_typeIjLj3EEjjjS8_jjjS8_jjjj
                                        ; -- End function
	.section	.AMDGPU.csdata,"",@progbits
; Kernel info:
; codeLenInByte = 6048
; NumSgprs: 41
; NumVgprs: 106
; NumAgprs: 0
; TotalNumVgprs: 106
; ScratchSize: 64
; MemoryBound: 0
; FloatMode: 240
; IeeeMode: 1
; LDSByteSize: 0 bytes/workgroup (compile time only)
; SGPRBlocks: 5
; VGPRBlocks: 13
; NumSGPRsForWavesPerEU: 41
; NumVGPRsForWavesPerEU: 106
; AccumOffset: 108
; Occupancy: 4
; WaveLimiterHint : 0
; COMPUTE_PGM_RSRC2:SCRATCH_EN: 1
; COMPUTE_PGM_RSRC2:USER_SGPR: 2
; COMPUTE_PGM_RSRC2:TRAP_HANDLER: 0
; COMPUTE_PGM_RSRC2:TGID_X_EN: 1
; COMPUTE_PGM_RSRC2:TGID_Y_EN: 1
; COMPUTE_PGM_RSRC2:TGID_Z_EN: 1
; COMPUTE_PGM_RSRC2:TIDIG_COMP_CNT: 1
; COMPUTE_PGM_RSRC3_GFX90A:ACCUM_OFFSET: 26
; COMPUTE_PGM_RSRC3_GFX90A:TG_SPLIT: 0
	.section	.text._ZL13mul_mat_vec_qIL9ggml_type12ELi7ELb0ELb0EEvPKvS2_PKi31ggml_cuda_mm_fusion_args_devicePfj15HIP_vector_typeIjLj3EEjjjS8_jjjS8_jjjj,"axG",@progbits,_ZL13mul_mat_vec_qIL9ggml_type12ELi7ELb0ELb0EEvPKvS2_PKi31ggml_cuda_mm_fusion_args_devicePfj15HIP_vector_typeIjLj3EEjjjS8_jjjS8_jjjj,comdat
	.globl	_ZL13mul_mat_vec_qIL9ggml_type12ELi7ELb0ELb0EEvPKvS2_PKi31ggml_cuda_mm_fusion_args_devicePfj15HIP_vector_typeIjLj3EEjjjS8_jjjS8_jjjj ; -- Begin function _ZL13mul_mat_vec_qIL9ggml_type12ELi7ELb0ELb0EEvPKvS2_PKi31ggml_cuda_mm_fusion_args_devicePfj15HIP_vector_typeIjLj3EEjjjS8_jjjS8_jjjj
	.p2align	8
	.type	_ZL13mul_mat_vec_qIL9ggml_type12ELi7ELb0ELb0EEvPKvS2_PKi31ggml_cuda_mm_fusion_args_devicePfj15HIP_vector_typeIjLj3EEjjjS8_jjjS8_jjjj,@function
_ZL13mul_mat_vec_qIL9ggml_type12ELi7ELb0ELb0EEvPKvS2_PKi31ggml_cuda_mm_fusion_args_devicePfj15HIP_vector_typeIjLj3EEjjjS8_jjjS8_jjjj: ; @_ZL13mul_mat_vec_qIL9ggml_type12ELi7ELb0ELb0EEvPKvS2_PKi31ggml_cuda_mm_fusion_args_devicePfj15HIP_vector_typeIjLj3EEjjjS8_jjjS8_jjjj
; %bb.0:
	v_bfe_u32 v13, v0, 10, 10
	v_and_b32_e32 v12, 0x3ff, v0
	s_mov_b32 s20, 0
	s_load_dword s5, s[0:1], 0x40
	s_load_dwordx4 s[8:11], s[0:1], 0x50
	s_load_dword s7, s[0:1], 0x60
	s_load_dwordx4 s[12:15], s[0:1], 0x68
	;; [unrolled: 2-line block ×3, first 2 shown]
	v_lshl_or_b32 v4, v13, 6, v12
	s_mov_b32 s21, s20
	s_waitcnt lgkmcnt(0)
	s_lshr_b32 s5, s5, 8
	v_mov_b32_e32 v15, 0
	s_mov_b32 s22, s20
	s_mov_b32 s23, s20
	v_mov_b64_e32 v[0:1], s[20:21]
	v_lshrrev_b32_e32 v19, 4, v4
	s_lshl_b32 s2, s2, 1
	v_mov_b32_e32 v14, v15
	v_mov_b64_e32 v[2:3], s[22:23]
	v_cmp_gt_u32_e32 vcc, s5, v19
	scratch_store_dwordx2 off, v[14:15], off offset:48
	scratch_store_dwordx4 off, v[0:3], off offset:32
	scratch_store_dwordx4 off, v[0:3], off offset:16
	scratch_store_dwordx4 off, v[0:3], off
	s_and_saveexec_b64 s[24:25], vcc
	s_cbranch_execz .LBB130_56
; %bb.1:
	s_mul_hi_u32 s11, s11, s3
	s_add_i32 s11, s3, s11
	s_lshr_b32 s7, s11, s7
	s_load_dwordx4 s[20:23], s[0:1], 0x0
	s_mul_i32 s11, s7, s12
	s_mul_hi_u32 s7, s15, s4
	s_add_i32 s7, s4, s7
	s_lshr_b32 s6, s7, s6
	s_mul_i32 s15, s6, s16
	s_mul_i32 s6, s4, s17
	s_mul_hi_u32 s7, s6, 36
	s_mul_i32 s6, s6, 36
	s_waitcnt lgkmcnt(0)
	s_add_u32 s6, s22, s6
	s_mul_i32 s12, s3, s13
	s_addc_u32 s7, s23, s7
	s_mul_hi_u32 s13, s12, 36
	s_mul_i32 s12, s12, 36
	v_lshlrev_b32_e32 v0, 1, v12
	s_add_u32 s6, s6, s12
	v_and_b32_e32 v1, 30, v0
	v_bfe_u32 v0, v0, 3, 2
	s_addc_u32 s7, s7, s13
	v_cmp_lt_u32_e32 vcc, 15, v1
	v_lshlrev_b32_e32 v1, 1, v0
	v_mad_u64_u32 v[22:23], s[12:13], v1, 36, s[6:7]
	v_lshl_add_u32 v1, v13, 6, v12
	v_bfe_u32 v2, v12, 2, 2
	v_lshrrev_b32_e32 v1, 4, v1
	v_mul_hi_u32_u24_e32 v3, 0x48, v2
	v_mul_u32_u24_e32 v2, 0x48, v2
	s_movk_i32 s12, 0x120
	v_mad_u64_u32 v[2:3], s[12:13], v1, s12, v[2:3]
	v_lshl_add_u64 v[2:3], s[6:7], 0, v[2:3]
	s_add_i32 s7, s2, 1
	v_and_b32_e32 v18, 3, v12
	s_mul_i32 s16, s2, s8
	s_add_i32 s6, s15, s11
	s_mul_i32 s7, s8, s7
	v_lshlrev_b32_e32 v16, 5, v0
	v_mov_b32_e32 v17, v15
	v_lshlrev_b32_e32 v20, 2, v18
	v_mov_b32_e32 v21, v15
	v_lshl_add_u64 v[24:25], v[2:3], 0, 36
	s_add_i32 s11, s6, s16
	s_lshl_b32 s15, s9, 1
	v_lshlrev_b32_e32 v36, 3, v19
	s_mul_i32 s19, s9, 3
	s_lshl_b32 s22, s9, 2
	s_mul_i32 s23, s9, 5
	s_mul_i32 s26, s9, 6
	s_add_i32 s8, s6, s7
	s_mov_b64 s[12:13], 0
	s_movk_i32 s27, 0x90
	v_mov_b64_e32 v[28:29], s[20:21]
	v_lshlrev_b32_e32 v14, 1, v0
	s_mov_b32 s28, 0x5040100
	s_mov_b32 s29, 0x20004
	s_mov_b32 s30, 0x30300f0f
	s_movk_i32 s31, 0xf0f
	s_movk_i32 s33, 0x3f3f
	s_mov_b32 s34, 0x30303030
	s_mov_b32 s35, 0xffff
	s_mov_b64 s[16:17], 0x480
	v_mov_b32_e32 v27, v15
	v_mov_b32_e32 v26, v15
	;; [unrolled: 1-line block ×14, first 2 shown]
	s_branch .LBB130_3
.LBB130_2:                              ;   in Loop: Header=BB130_3 Depth=1
	s_or_b64 exec, exec, s[6:7]
	s_waitcnt vmcnt(41)
	v_and_b32_e32 v90, 0xf0f0f0f, v66
	v_mov_b32_e32 v113, v15
	s_waitcnt vmcnt(40)
	v_and_b32_e32 v91, 0xf0f0f0f, v65
	s_waitcnt vmcnt(1)
	v_dot4c_i32_i8_e32 v113, v90, v83
	v_mov_b32_e32 v33, v15
	v_lshrrev_b32_e32 v35, 4, v66
	v_lshrrev_b16_e32 v93, 8, v84
	v_dot4c_i32_i8_e32 v113, v91, v82
	v_and_b32_sdwa v84, s35, v84 dst_sel:DWORD dst_unused:UNUSED_PAD src0_sel:DWORD src1_sel:BYTE_0
	v_dot4c_i32_i8_e32 v33, 0x1010101, v83
	v_mov_b32_e32 v79, v15
	v_and_b32_e32 v66, 0xf0f0f0f, v35
	v_lshrrev_b32_e32 v35, 4, v65
	v_mul_lo_u32 v84, v113, v84
	v_mov_b32_e32 v113, v15
	v_dot4c_i32_i8_e32 v33, 0x1010101, v82
	v_dot4c_i32_i8_e32 v79, 0x1010101, v81
	v_and_b32_e32 v65, 0xf0f0f0f, v35
	v_lshrrev_b16_e32 v35, 8, v86
	v_and_b32_sdwa v86, s35, v86 dst_sel:DWORD dst_unused:UNUSED_PAD src0_sel:DWORD src1_sel:BYTE_0
	v_dot4c_i32_i8_e32 v113, v66, v81
	v_dot4c_i32_i8_e32 v79, 0x1010101, v80
	v_mul_lo_u32 v86, v33, v86
	v_dot4c_i32_i8_e32 v113, v65, v80
	v_cvt_f32_i32_e32 v84, v84
	v_cvt_f32_i32_e32 v86, v86
	v_mul_lo_u32 v35, v79, v35
	v_mul_lo_u32 v93, v113, v93
	v_cvt_f32_i32_e32 v93, v93
	v_cvt_f32_i32_e32 v35, v35
	v_cvt_f32_f16_sdwa v92, v43 dst_sel:DWORD dst_unused:UNUSED_PAD src0_sel:WORD_1
	v_fma_mix_f32 v84, v102, v84, 0 op_sel_hi:[1,0,0]
	v_fma_mix_f32 v86, v102, v86, 0 op_sel_hi:[1,0,0]
	s_waitcnt vmcnt(0)
	v_cvt_f32_f16_e32 v30, v34
	v_fma_mix_f32 v84, v34, v93, v84 op_sel_hi:[1,0,0]
	v_fma_mix_f32 v34, v34, v35, v86 op_sel_hi:[1,0,0]
	v_and_b32_e32 v93, 0xf0f0f0f, v70
	v_mul_f32_e32 v34, v34, v92
	v_mov_b32_e32 v115, v15
	v_cvt_f32_f16_e32 v32, v102
	v_fma_mix_f32 v34, v84, v43, -v34 op_sel_hi:[0,1,0]
	v_mov_b32_e32 v84, v15
	v_and_b32_e32 v102, 0xf0f0f0f, v69
	v_dot4c_i32_i8_e32 v115, v93, v110
	v_add_f32_e32 v26, v26, v34
	v_dot4c_i32_i8_e32 v84, 0x1010101, v110
	v_mov_b32_e32 v86, v15
	v_lshrrev_b32_e32 v34, 4, v70
	v_lshrrev_b16_e32 v114, 8, v85
	v_dot4c_i32_i8_e32 v115, v102, v109
	v_and_b32_sdwa v85, s35, v85 dst_sel:DWORD dst_unused:UNUSED_PAD src0_sel:DWORD src1_sel:BYTE_0
	v_dot4c_i32_i8_e32 v84, 0x1010101, v109
	v_dot4c_i32_i8_e32 v86, 0x1010101, v108
	v_and_b32_e32 v70, 0xf0f0f0f, v34
	v_lshrrev_b32_e32 v34, 4, v69
	v_lshrrev_b16_e32 v113, 8, v87
	v_mul_lo_u32 v85, v115, v85
	v_and_b32_sdwa v87, s35, v87 dst_sel:DWORD dst_unused:UNUSED_PAD src0_sel:DWORD src1_sel:BYTE_0
	v_mov_b32_e32 v115, v15
	v_dot4c_i32_i8_e32 v86, 0x1010101, v107
	v_and_b32_e32 v69, 0xf0f0f0f, v34
	v_mul_lo_u32 v87, v84, v87
	v_dot4c_i32_i8_e32 v115, v70, v108
	v_cvt_f32_i32_e32 v87, v87
	v_dot4c_i32_i8_e32 v115, v69, v107
	v_mul_lo_u32 v113, v86, v113
	v_cvt_f32_i32_e32 v85, v85
	v_cvt_f32_i32_e32 v113, v113
	v_mul_lo_u32 v114, v115, v114
	v_cvt_f32_f16_sdwa v35, v46 dst_sel:DWORD dst_unused:UNUSED_PAD src0_sel:WORD_1
	v_cvt_f32_i32_e32 v114, v114
	v_fma_mix_f32 v87, v105, v87, 0 op_sel_hi:[1,0,0]
	v_fma_mix_f32 v85, v105, v85, 0 op_sel_hi:[1,0,0]
	;; [unrolled: 1-line block ×3, first 2 shown]
	v_mov_b32_e32 v113, v15
	v_fma_mix_f32 v85, v106, v114, v85 op_sel_hi:[1,0,0]
	v_mul_f32_e32 v87, v87, v35
	v_dot4c_i32_i8_e32 v113, v90, v110
	v_and_b32_sdwa v110, s35, v111 dst_sel:DWORD dst_unused:UNUSED_PAD src0_sel:DWORD src1_sel:BYTE_0
	v_fma_mix_f32 v85, v85, v46, -v87 op_sel_hi:[0,1,0]
	v_mul_lo_u32 v84, v84, v110
	v_mov_b32_e32 v110, v15
	v_add_f32_e32 v3, v3, v85
	v_lshrrev_b16_e32 v85, 8, v111
	v_dot4c_i32_i8_e32 v113, v91, v109
	v_and_b32_sdwa v109, s35, v112 dst_sel:DWORD dst_unused:UNUSED_PAD src0_sel:DWORD src1_sel:BYTE_0
	v_dot4c_i32_i8_e32 v110, v66, v108
	v_lshrrev_b16_e32 v87, 8, v112
	v_mul_lo_u32 v109, v113, v109
	v_cvt_f32_i32_e32 v84, v84
	v_dot4c_i32_i8_e32 v110, v65, v107
	v_mul_lo_u32 v85, v86, v85
	v_cvt_f32_i32_e32 v109, v109
	v_cvt_f32_i32_e32 v85, v85
	v_mul_lo_u32 v87, v110, v87
	v_cvt_f32_i32_e32 v87, v87
	v_fma_mix_f32 v84, v105, v84, 0 op_sel_hi:[1,0,0]
	v_fma_mix_f32 v86, v105, v109, 0 op_sel_hi:[1,0,0]
	;; [unrolled: 1-line block ×4, first 2 shown]
	v_mul_f32_e32 v84, v84, v92
	v_fma_mix_f32 v84, v86, v43, -v84 op_sel_hi:[0,1,0]
	v_mov_b32_e32 v105, v15
	v_add_f32_e32 v2, v2, v84
	v_mov_b32_e32 v84, v15
	v_dot4c_i32_i8_e32 v105, v93, v99
	v_dot4c_i32_i8_e32 v84, 0x1010101, v99
	v_mov_b32_e32 v85, v15
	v_lshrrev_b16_e32 v87, 8, v104
	v_dot4c_i32_i8_e32 v105, v102, v98
	v_and_b32_sdwa v104, s35, v104 dst_sel:DWORD dst_unused:UNUSED_PAD src0_sel:DWORD src1_sel:BYTE_0
	v_dot4c_i32_i8_e32 v84, 0x1010101, v98
	v_dot4c_i32_i8_e32 v85, 0x1010101, v97
	v_lshrrev_b16_e32 v86, 8, v103
	v_mul_lo_u32 v104, v105, v104
	v_and_b32_sdwa v103, s35, v103 dst_sel:DWORD dst_unused:UNUSED_PAD src0_sel:DWORD src1_sel:BYTE_0
	v_mov_b32_e32 v105, v15
	v_dot4c_i32_i8_e32 v85, 0x1010101, v96
	v_mul_lo_u32 v103, v84, v103
	v_dot4c_i32_i8_e32 v105, v70, v97
	v_cvt_f32_i32_e32 v103, v103
	v_dot4c_i32_i8_e32 v105, v69, v96
	v_mul_lo_u32 v86, v85, v86
	v_cvt_f32_i32_e32 v104, v104
	v_cvt_f32_i32_e32 v86, v86
	v_mul_lo_u32 v87, v105, v87
	v_cvt_f32_i32_e32 v87, v87
	v_fma_mix_f32 v103, v94, v103, 0 op_sel_hi:[1,0,0]
	v_fma_mix_f32 v104, v94, v104, 0 op_sel_hi:[1,0,0]
	;; [unrolled: 1-line block ×3, first 2 shown]
	v_mov_b32_e32 v103, v15
	v_fma_mix_f32 v87, v95, v87, v104 op_sel_hi:[1,0,0]
	v_mul_f32_e32 v86, v86, v35
	v_dot4c_i32_i8_e32 v103, v90, v99
	v_and_b32_sdwa v99, s35, v100 dst_sel:DWORD dst_unused:UNUSED_PAD src0_sel:DWORD src1_sel:BYTE_0
	v_fma_mix_f32 v86, v87, v46, -v86 op_sel_hi:[0,1,0]
	v_mul_lo_u32 v84, v84, v99
	v_mov_b32_e32 v99, v15
	v_add_f32_e32 v1, v1, v86
	v_lshrrev_b16_e32 v86, 8, v100
	v_dot4c_i32_i8_e32 v103, v91, v98
	v_and_b32_sdwa v98, s35, v101 dst_sel:DWORD dst_unused:UNUSED_PAD src0_sel:DWORD src1_sel:BYTE_0
	v_dot4c_i32_i8_e32 v99, v66, v97
	v_lshrrev_b16_e32 v87, 8, v101
	v_mul_lo_u32 v98, v103, v98
	v_cvt_f32_i32_e32 v84, v84
	v_dot4c_i32_i8_e32 v99, v65, v96
	v_mul_lo_u32 v85, v85, v86
	v_cvt_f32_i32_e32 v98, v98
	v_cvt_f32_i32_e32 v85, v85
	v_mul_lo_u32 v87, v99, v87
	v_cvt_f32_i32_e32 v87, v87
	v_fma_mix_f32 v84, v94, v84, 0 op_sel_hi:[1,0,0]
	v_fma_mix_f32 v86, v94, v98, 0 op_sel_hi:[1,0,0]
	v_fma_mix_f32 v84, v95, v85, v84 op_sel_hi:[1,0,0]
	v_fma_mix_f32 v86, v95, v87, v86 op_sel_hi:[1,0,0]
	v_mul_f32_e32 v84, v84, v92
	v_fma_mix_f32 v84, v86, v43, -v84 op_sel_hi:[0,1,0]
	v_mov_b32_e32 v94, v15
	v_add_f32_e32 v0, v0, v84
	v_mov_b32_e32 v84, v15
	v_dot4c_i32_i8_e32 v94, v93, v76
	v_dot4c_i32_i8_e32 v84, 0x1010101, v76
	v_mov_b32_e32 v85, v15
	v_lshrrev_b16_e32 v87, 8, v89
	v_dot4c_i32_i8_e32 v94, v102, v75
	v_and_b32_sdwa v89, s35, v89 dst_sel:DWORD dst_unused:UNUSED_PAD src0_sel:DWORD src1_sel:BYTE_0
	v_dot4c_i32_i8_e32 v84, 0x1010101, v75
	v_dot4c_i32_i8_e32 v85, 0x1010101, v74
	v_lshrrev_b16_e32 v86, 8, v88
	v_mul_lo_u32 v89, v94, v89
	v_and_b32_sdwa v88, s35, v88 dst_sel:DWORD dst_unused:UNUSED_PAD src0_sel:DWORD src1_sel:BYTE_0
	v_mov_b32_e32 v94, v15
	v_dot4c_i32_i8_e32 v85, 0x1010101, v73
	v_mul_lo_u32 v88, v84, v88
	v_dot4c_i32_i8_e32 v94, v70, v74
	v_cvt_f32_i32_e32 v88, v88
	v_dot4c_i32_i8_e32 v94, v69, v73
	v_mul_lo_u32 v86, v85, v86
	v_cvt_f32_i32_e32 v89, v89
	v_cvt_f32_i32_e32 v86, v86
	v_mul_lo_u32 v87, v94, v87
	v_cvt_f32_i32_e32 v87, v87
	v_fma_mix_f32 v88, v71, v88, 0 op_sel_hi:[1,0,0]
	v_fma_mix_f32 v89, v71, v89, 0 op_sel_hi:[1,0,0]
	;; [unrolled: 1-line block ×4, first 2 shown]
	v_mul_f32_e32 v86, v86, v35
	v_mov_b32_e32 v88, v15
	v_fma_mix_f32 v86, v87, v46, -v86 op_sel_hi:[0,1,0]
	v_dot4c_i32_i8_e32 v88, v90, v76
	v_add_f32_e32 v7, v7, v86
	v_lshrrev_b16_e32 v86, 8, v77
	v_dot4c_i32_i8_e32 v88, v91, v75
	v_and_b32_sdwa v75, s35, v78 dst_sel:DWORD dst_unused:UNUSED_PAD src0_sel:DWORD src1_sel:BYTE_0
	v_and_b32_sdwa v76, s35, v77 dst_sel:DWORD dst_unused:UNUSED_PAD src0_sel:DWORD src1_sel:BYTE_0
	v_mov_b32_e32 v77, v15
	v_mul_lo_u32 v75, v88, v75
	v_mul_lo_u32 v76, v84, v76
	v_dot4c_i32_i8_e32 v77, v66, v74
	v_lshrrev_b16_e32 v87, 8, v78
	v_cvt_f32_i32_e32 v75, v75
	v_cvt_f32_i32_e32 v76, v76
	v_dot4c_i32_i8_e32 v77, v65, v73
	v_mul_lo_u32 v74, v85, v86
	v_cvt_f32_i32_e32 v74, v74
	v_fma_mix_f32 v75, v71, v75, 0 op_sel_hi:[1,0,0]
	v_mul_lo_u32 v73, v77, v87
	v_cvt_f32_i32_e32 v73, v73
	v_fma_mix_f32 v71, v71, v76, 0 op_sel_hi:[1,0,0]
	v_cvt_f32_f16_e32 v34, v46
	v_fma_mix_f32 v71, v72, v74, v71 op_sel_hi:[1,0,0]
	v_fma_mix_f32 v73, v72, v73, v75 op_sel_hi:[1,0,0]
	v_mul_f32_e32 v71, v71, v92
	v_fma_mix_f32 v71, v73, v43, -v71 op_sel_hi:[0,1,0]
	v_mov_b32_e32 v75, v15
	v_add_f32_e32 v6, v6, v71
	v_mov_b32_e32 v71, v15
	v_dot4c_i32_i8_e32 v75, v93, v62
	v_dot4c_i32_i8_e32 v71, 0x1010101, v62
	v_mov_b32_e32 v72, v15
	v_lshrrev_b16_e32 v74, 8, v68
	v_dot4c_i32_i8_e32 v75, v102, v61
	v_and_b32_sdwa v68, s35, v68 dst_sel:DWORD dst_unused:UNUSED_PAD src0_sel:DWORD src1_sel:BYTE_0
	v_dot4c_i32_i8_e32 v71, 0x1010101, v61
	v_dot4c_i32_i8_e32 v72, 0x1010101, v60
	v_lshrrev_b16_e32 v73, 8, v67
	v_mul_lo_u32 v68, v75, v68
	v_and_b32_sdwa v67, s35, v67 dst_sel:DWORD dst_unused:UNUSED_PAD src0_sel:DWORD src1_sel:BYTE_0
	v_mov_b32_e32 v75, v15
	v_dot4c_i32_i8_e32 v72, 0x1010101, v59
	v_mul_lo_u32 v67, v71, v67
	v_dot4c_i32_i8_e32 v75, v70, v60
	v_cvt_f32_i32_e32 v67, v67
	v_dot4c_i32_i8_e32 v75, v69, v59
	v_mul_lo_u32 v73, v72, v73
	v_cvt_f32_i32_e32 v68, v68
	v_cvt_f32_i32_e32 v73, v73
	v_mul_lo_u32 v74, v75, v74
	v_cvt_f32_i32_e32 v74, v74
	v_fma_mix_f32 v67, v57, v67, 0 op_sel_hi:[1,0,0]
	v_fma_mix_f32 v68, v57, v68, 0 op_sel_hi:[1,0,0]
	;; [unrolled: 1-line block ×4, first 2 shown]
	v_mul_f32_e32 v67, v67, v35
	v_mov_b32_e32 v73, v15
	v_fma_mix_f32 v67, v68, v46, -v67 op_sel_hi:[0,1,0]
	v_dot4c_i32_i8_e32 v73, v90, v62
	v_add_f32_e32 v5, v5, v67
	v_lshrrev_b16_e32 v67, 8, v63
	v_dot4c_i32_i8_e32 v73, v91, v61
	v_and_b32_sdwa v61, s35, v64 dst_sel:DWORD dst_unused:UNUSED_PAD src0_sel:DWORD src1_sel:BYTE_0
	v_and_b32_sdwa v62, s35, v63 dst_sel:DWORD dst_unused:UNUSED_PAD src0_sel:DWORD src1_sel:BYTE_0
	v_mov_b32_e32 v63, v15
	v_mul_lo_u32 v61, v73, v61
	v_mul_lo_u32 v62, v71, v62
	v_dot4c_i32_i8_e32 v63, v66, v60
	v_lshrrev_b16_e32 v68, 8, v64
	v_cvt_f32_i32_e32 v61, v61
	v_cvt_f32_i32_e32 v62, v62
	v_dot4c_i32_i8_e32 v63, v65, v59
	v_mul_lo_u32 v60, v72, v67
	v_cvt_f32_i32_e32 v60, v60
	v_fma_mix_f32 v61, v57, v61, 0 op_sel_hi:[1,0,0]
	v_mul_lo_u32 v59, v63, v68
	v_cvt_f32_i32_e32 v59, v59
	v_fma_mix_f32 v57, v57, v62, 0 op_sel_hi:[1,0,0]
	v_add_u32_e32 v19, 4, v19
	v_fma_mix_f32 v57, v58, v60, v57 op_sel_hi:[1,0,0]
	v_fma_mix_f32 v59, v58, v59, v61 op_sel_hi:[1,0,0]
	v_mul_f32_e32 v57, v57, v92
	v_fma_mix_f32 v57, v59, v43, -v57 op_sel_hi:[0,1,0]
	v_mov_b32_e32 v61, v15
	v_add_f32_e32 v4, v4, v57
	v_mov_b32_e32 v57, v15
	v_dot4c_i32_i8_e32 v61, v93, v52
	v_dot4c_i32_i8_e32 v57, 0x1010101, v52
	v_mov_b32_e32 v58, v15
	v_lshrrev_b16_e32 v60, 8, v56
	v_dot4c_i32_i8_e32 v61, v102, v51
	v_and_b32_sdwa v56, s35, v56 dst_sel:DWORD dst_unused:UNUSED_PAD src0_sel:DWORD src1_sel:BYTE_0
	v_dot4c_i32_i8_e32 v57, 0x1010101, v51
	v_dot4c_i32_i8_e32 v58, 0x1010101, v50
	v_lshrrev_b16_e32 v59, 8, v55
	v_mul_lo_u32 v56, v61, v56
	v_and_b32_sdwa v55, s35, v55 dst_sel:DWORD dst_unused:UNUSED_PAD src0_sel:DWORD src1_sel:BYTE_0
	v_mov_b32_e32 v61, v15
	v_dot4c_i32_i8_e32 v58, 0x1010101, v49
	v_mul_lo_u32 v55, v57, v55
	v_dot4c_i32_i8_e32 v61, v70, v50
	v_cvt_f32_i32_e32 v55, v55
	v_dot4c_i32_i8_e32 v61, v69, v49
	v_mul_lo_u32 v59, v58, v59
	v_cvt_f32_i32_e32 v56, v56
	v_cvt_f32_i32_e32 v59, v59
	v_mul_lo_u32 v60, v61, v60
	v_cvt_f32_i32_e32 v60, v60
	v_fma_mix_f32 v55, v47, v55, 0 op_sel_hi:[1,0,0]
	v_fma_mix_f32 v56, v47, v56, 0 op_sel_hi:[1,0,0]
	;; [unrolled: 1-line block ×4, first 2 shown]
	v_mul_f32_e32 v55, v55, v35
	v_mov_b32_e32 v59, v15
	v_fma_mix_f32 v55, v56, v46, -v55 op_sel_hi:[0,1,0]
	v_dot4c_i32_i8_e32 v59, v90, v52
	v_add_f32_e32 v11, v11, v55
	v_lshrrev_b16_e32 v55, 8, v53
	v_dot4c_i32_i8_e32 v59, v91, v51
	v_and_b32_sdwa v51, s35, v54 dst_sel:DWORD dst_unused:UNUSED_PAD src0_sel:DWORD src1_sel:BYTE_0
	v_and_b32_sdwa v52, s35, v53 dst_sel:DWORD dst_unused:UNUSED_PAD src0_sel:DWORD src1_sel:BYTE_0
	v_mov_b32_e32 v53, v15
	v_mul_lo_u32 v51, v59, v51
	v_mul_lo_u32 v52, v57, v52
	v_dot4c_i32_i8_e32 v53, v66, v50
	v_lshrrev_b16_e32 v56, 8, v54
	v_cvt_f32_i32_e32 v51, v51
	v_cvt_f32_i32_e32 v52, v52
	v_dot4c_i32_i8_e32 v53, v65, v49
	v_mul_lo_u32 v50, v58, v55
	v_cvt_f32_i32_e32 v50, v50
	v_fma_mix_f32 v51, v47, v51, 0 op_sel_hi:[1,0,0]
	v_mul_lo_u32 v49, v53, v56
	v_cvt_f32_i32_e32 v49, v49
	v_fma_mix_f32 v47, v47, v52, 0 op_sel_hi:[1,0,0]
	v_bfe_u32 v52, v45, 16, 8
	v_fma_mix_f32 v47, v48, v50, v47 op_sel_hi:[1,0,0]
	v_fma_mix_f32 v49, v48, v49, v51 op_sel_hi:[1,0,0]
	v_mul_f32_e32 v47, v47, v92
	v_fma_mix_f32 v47, v49, v43, -v47 op_sel_hi:[0,1,0]
	v_mov_b32_e32 v51, v15
	v_add_f32_e32 v10, v10, v47
	v_mov_b32_e32 v47, v15
	v_dot4c_i32_i8_e32 v51, v93, v42
	v_dot4c_i32_i8_e32 v47, 0x1010101, v42
	v_mov_b32_e32 v48, v15
	v_dot4c_i32_i8_e32 v51, v102, v41
	v_dot4c_i32_i8_e32 v47, 0x1010101, v41
	;; [unrolled: 1-line block ×3, first 2 shown]
	v_lshrrev_b16_e32 v49, 8, v45
	v_lshrrev_b32_e32 v50, 24, v45
	v_mul_lo_u32 v51, v51, v52
	v_and_b32_e32 v45, 0xff, v45
	v_mov_b32_e32 v52, v15
	v_dot4c_i32_i8_e32 v48, 0x1010101, v39
	v_mul_lo_u32 v45, v47, v45
	v_dot4c_i32_i8_e32 v52, v70, v40
	v_cvt_f32_i32_e32 v45, v45
	v_dot4c_i32_i8_e32 v52, v69, v39
	v_mul_lo_u32 v49, v48, v49
	v_cvt_f32_i32_e32 v51, v51
	v_cvt_f32_i32_e32 v49, v49
	v_mul_lo_u32 v50, v52, v50
	v_cvt_f32_i32_e32 v50, v50
	v_fma_mix_f32 v45, v37, v45, 0 op_sel_hi:[1,0,0]
	v_fma_mix_f32 v51, v37, v51, 0 op_sel_hi:[1,0,0]
	;; [unrolled: 1-line block ×4, first 2 shown]
	v_mul_f32_e32 v45, v45, v35
	v_mov_b32_e32 v49, v15
	v_fma_mix_f32 v45, v50, v46, -v45 op_sel_hi:[0,1,0]
	v_dot4c_i32_i8_e32 v49, v90, v42
	v_add_f32_e32 v9, v9, v45
	v_lshrrev_b16_e32 v45, 8, v44
	v_lshrrev_b32_e32 v46, 24, v44
	v_dot4c_i32_i8_e32 v49, v91, v41
	v_bfe_u32 v41, v44, 16, 8
	v_and_b32_e32 v42, 0xff, v44
	v_mov_b32_e32 v44, v15
	v_dot4c_i32_i8_e32 v44, v66, v40
	v_mul_lo_u32 v41, v49, v41
	v_dot4c_i32_i8_e32 v44, v65, v39
	v_cvt_f32_i32_e32 v41, v41
	v_mul_lo_u32 v42, v47, v42
	v_cvt_f32_i32_e32 v42, v42
	v_mul_lo_u32 v39, v44, v46
	;; [unrolled: 2-line block ×3, first 2 shown]
	v_cvt_f32_i32_e32 v40, v40
	v_fma_mix_f32 v41, v37, v41, 0 op_sel_hi:[1,0,0]
	v_fma_mix_f32 v37, v37, v42, 0 op_sel_hi:[1,0,0]
	;; [unrolled: 1-line block ×3, first 2 shown]
	v_mov_b32_e32 v39, v15
	v_fma_mix_f32 v37, v38, v40, v37 op_sel_hi:[1,0,0]
	v_pk_lshrrev_b16 v38, 8, v31 op_sel_hi:[0,1]
	v_dot4c_i32_i8_e32 v39, v93, v83
	v_and_b32_e32 v31, 0xff00ff, v31
	v_mov_b32_e32 v40, v15
	v_dot4c_i32_i8_e32 v39, v102, v82
	v_dot4c_i32_i8_e32 v40, v70, v81
	v_lshrrev_b32_e32 v41, 16, v38
	v_and_b32_e32 v44, 0xff, v38
	v_lshrrev_b32_e32 v38, 16, v31
	v_and_b32_e32 v31, 0xff, v31
	v_dot4c_i32_i8_e32 v40, v69, v80
	v_mul_lo_u32 v31, v39, v31
	v_mul_lo_u32 v33, v33, v38
	v_cvt_f32_i32_e32 v39, v33
	v_cvt_f32_i32_e32 v38, v31
	v_mul_lo_u32 v31, v40, v44
	v_mul_lo_u32 v33, v79, v41
	v_cvt_f32_i32_e32 v41, v33
	v_cvt_f32_i32_e32 v40, v31
	v_mul_f32_e32 v37, v37, v92
	v_fma_mix_f32 v31, v42, v43, -v37 op_sel_hi:[0,1,0]
	v_pk_fma_f32 v[32:33], v[32:33], v[38:39], 0 op_sel_hi:[0,1,0]
	v_add_f32_e32 v8, v8, v31
	v_pk_fma_f32 v[30:31], v[30:31], v[40:41], v[32:33] op_sel_hi:[0,1,1]
	v_pk_mul_f32 v[30:31], v[30:31], v[34:35]
	v_cmp_le_u32_e64 s[6:7], s5, v19
	v_sub_f32_e32 v30, v30, v31
	v_add_f32_e32 v27, v27, v30
	v_lshl_add_u64 v[24:25], v[24:25], 0, s[16:17]
	s_or_b64 s[12:13], s[6:7], s[12:13]
	v_add_u32_e32 v36, 32, v36
	s_andn2_b64 exec, exec, s[12:13]
	s_cbranch_execz .LBB130_55
.LBB130_3:                              ; =>This Inner Loop Header: Depth=1
	v_lshl_add_u64 v[30:31], v[24:25], 0, v[20:21]
	global_load_dword v37, v[24:25], off offset:-36
	global_load_dword v38, v[24:25], off
	global_load_dword v42, v[30:31], off offset:-32
	global_load_dword v41, v[30:31], off offset:-16
	global_load_dword v40, v[30:31], off offset:4
	global_load_dword v39, v[30:31], off offset:20
	v_add_u32_e32 v30, s11, v19
	v_mad_i64_i32 v[32:33], s[6:7], v30, s27, v[28:29]
	v_lshl_add_u64 v[30:31], v[32:33], 0, v[16:17]
	v_lshl_add_u64 v[30:31], v[30:31], 0, v[20:21]
	global_load_dword v66, v[30:31], off offset:16
	global_load_dword v65, v[30:31], off offset:32
	v_lshl_add_u64 v[30:31], v[32:33], 0, v[14:15]
                                        ; implicit-def: $vgpr44
                                        ; implicit-def: $vgpr80
                                        ; implicit-def: $vgpr81
	s_and_saveexec_b64 s[6:7], vcc
	s_xor_b64 s[6:7], exec, s[6:7]
	s_cbranch_execz .LBB130_5
; %bb.4:                                ;   in Loop: Header=BB130_3 Depth=1
	global_load_ushort v80, v[30:31], off offset:8
	global_load_ushort v81, v[30:31], off offset:4
	global_load_ushort v34, v[30:31], off
	s_waitcnt vmcnt(1)
	v_lshrrev_b16_e32 v35, 2, v81
	s_waitcnt vmcnt(0)
	v_perm_b32 v34, v34, v80, s28
	v_perm_b32 v35, v80, v35, s28
	v_pk_lshrrev_b16 v34, s29, v34
	v_and_b32_e32 v35, 0xf0f3030, v35
	v_and_or_b32 v44, v34, s30, v35
.LBB130_5:                              ;   in Loop: Header=BB130_3 Depth=1
	s_andn2_saveexec_b64 s[6:7], s[6:7]
	s_cbranch_execz .LBB130_7
; %bb.6:                                ;   in Loop: Header=BB130_3 Depth=1
	global_load_ushort v81, v[30:31], off offset:4
	global_load_ushort v80, v[30:31], off offset:8
	s_waitcnt vmcnt(0)
	v_perm_b32 v34, v81, v80, s28
	v_and_b32_e32 v44, 0x3f3f3f3f, v34
.LBB130_7:                              ;   in Loop: Header=BB130_3 Depth=1
	s_or_b64 exec, exec, s[6:7]
	v_add_u32_e32 v43, s8, v19
	v_mov_b64_e32 v[34:35], s[20:21]
	v_mad_i64_i32 v[34:35], s[6:7], v43, s27, v[34:35]
	v_lshl_add_u64 v[46:47], v[34:35], 0, v[16:17]
	v_lshl_add_u64 v[46:47], v[46:47], 0, v[20:21]
	global_load_dword v43, v[32:33], off
	global_load_dword v70, v[46:47], off offset:16
	global_load_dword v69, v[46:47], off offset:32
	v_lshl_add_u64 v[32:33], v[34:35], 0, v[14:15]
                                        ; implicit-def: $vgpr79
                                        ; implicit-def: $vgpr45
	s_and_saveexec_b64 s[6:7], vcc
	s_xor_b64 s[6:7], exec, s[6:7]
	s_cbranch_execz .LBB130_9
; %bb.8:                                ;   in Loop: Header=BB130_3 Depth=1
	global_load_ushort v46, v[32:33], off offset:8
	global_load_ushort v47, v[32:33], off offset:4
	global_load_ushort v45, v[32:33], off
	s_waitcnt vmcnt(1)
	v_lshrrev_b16_e32 v48, 2, v47
	s_waitcnt vmcnt(0)
	v_perm_b32 v45, v45, v46, s28
	v_perm_b32 v48, v46, v48, s28
	v_pk_lshrrev_b16 v45, s29, v45
	v_and_b32_e32 v48, 0xf0f3030, v48
	v_and_or_b32 v45, v45, s30, v48
	v_perm_b32 v79, v46, v47, s28
.LBB130_9:                              ;   in Loop: Header=BB130_3 Depth=1
	s_andn2_saveexec_b64 s[6:7], s[6:7]
	s_cbranch_execz .LBB130_11
; %bb.10:                               ;   in Loop: Header=BB130_3 Depth=1
	global_load_ushort v46, v[32:33], off offset:4
	global_load_ushort v47, v[32:33], off offset:8
	s_waitcnt vmcnt(0)
	v_perm_b32 v45, v46, v47, s28
	v_and_b32_e32 v45, 0x3f3f3f3f, v45
	v_perm_b32 v79, v47, v46, s28
.LBB130_11:                             ;   in Loop: Header=BB130_3 Depth=1
	s_or_b64 exec, exec, s[6:7]
	global_load_dword v46, v[34:35], off
	v_add_u32_e32 v34, s9, v36
	v_mad_u64_u32 v[54:55], s[6:7], v34, 36, v[22:23]
	v_lshlrev_b32_e32 v34, 2, v18
	v_mov_b32_e32 v35, v15
	v_lshl_add_u64 v[56:57], v[54:55], 0, v[34:35]
	global_load_dword v47, v[54:55], off
	global_load_dword v51, v[56:57], off offset:20
	global_load_dword v50, v[56:57], off offset:40
	;; [unrolled: 1-line block ×5, first 2 shown]
	v_lshrrev_b16_e32 v35, 4, v80
	v_lshrrev_b16_e32 v53, 2, v81
	v_and_b32_e32 v90, 0xf0f, v80
	v_and_b32_e32 v91, 0xf0f, v35
	;; [unrolled: 1-line block ×3, first 2 shown]
                                        ; implicit-def: $vgpr54
                                        ; implicit-def: $vgpr53
	s_and_saveexec_b64 s[6:7], vcc
	s_xor_b64 s[6:7], exec, s[6:7]
	s_cbranch_execz .LBB130_13
; %bb.12:                               ;   in Loop: Header=BB130_3 Depth=1
	global_load_ushort v35, v[30:31], off
	v_or_b32_e32 v53, v92, v91
	s_waitcnt vmcnt(0)
	v_lshrrev_b16_e32 v35, 2, v35
	v_and_b32_e32 v35, 0x3030, v35
	v_or_b32_e32 v54, v35, v90
.LBB130_13:                             ;   in Loop: Header=BB130_3 Depth=1
	s_or_saveexec_b64 s[6:7], s[6:7]
	v_and_b32_e32 v84, 0x3f3f, v81
	v_and_b32_e32 v86, 0x3f3f, v80
	s_xor_b64 exec, exec, s[6:7]
; %bb.14:                               ;   in Loop: Header=BB130_3 Depth=1
	v_and_b32_e32 v54, 0x3f3f, v81
	v_and_b32_e32 v53, 0x3f3f, v80
; %bb.15:                               ;   in Loop: Header=BB130_3 Depth=1
	s_or_b64 exec, exec, s[6:7]
	v_lshrrev_b32_e32 v93, 20, v79
	v_and_b32_sdwa v82, v79, s31 dst_sel:DWORD dst_unused:UNUSED_PAD src0_sel:WORD_1 src1_sel:DWORD
	v_and_b32_e32 v83, 0xf0f, v93
	v_lshrrev_b16_e32 v102, 2, v79
                                        ; implicit-def: $vgpr56
                                        ; implicit-def: $vgpr55
	s_and_saveexec_b64 s[6:7], vcc
	s_xor_b64 s[6:7], exec, s[6:7]
	s_cbranch_execz .LBB130_17
; %bb.16:                               ;   in Loop: Header=BB130_3 Depth=1
	global_load_ushort v35, v[32:33], off
	v_and_b32_e32 v55, 0x3030, v102
	v_or_b32_e32 v55, v55, v83
	s_waitcnt vmcnt(0)
	v_lshrrev_b16_e32 v35, 2, v35
	v_and_b32_e32 v35, 0x3030, v35
	v_or_b32_e32 v56, v35, v82
.LBB130_17:                             ;   in Loop: Header=BB130_3 Depth=1
	s_or_saveexec_b64 s[6:7], s[6:7]
	v_and_b32_e32 v85, 0x3f3f, v79
	v_and_b32_sdwa v87, v79, s33 dst_sel:DWORD dst_unused:UNUSED_PAD src0_sel:WORD_1 src1_sel:DWORD
	s_xor_b64 exec, exec, s[6:7]
; %bb.18:                               ;   in Loop: Header=BB130_3 Depth=1
	v_and_b32_e32 v56, 0x3f3f, v79
	v_and_b32_sdwa v55, v79, s33 dst_sel:DWORD dst_unused:UNUSED_PAD src0_sel:WORD_1 src1_sel:DWORD
; %bb.19:                               ;   in Loop: Header=BB130_3 Depth=1
	s_or_b64 exec, exec, s[6:7]
	v_add_u32_e32 v35, s15, v36
	v_mad_u64_u32 v[72:73], s[6:7], v35, 36, v[22:23]
	v_mov_b32_e32 v35, v15
	v_lshl_add_u64 v[74:75], v[72:73], 0, v[34:35]
	global_load_dword v57, v[72:73], off
	global_load_dword v61, v[74:75], off offset:20
	global_load_dword v60, v[74:75], off offset:40
	;; [unrolled: 1-line block ×5, first 2 shown]
                                        ; implicit-def: $vgpr64
                                        ; implicit-def: $vgpr63
	s_and_saveexec_b64 s[6:7], vcc
	s_xor_b64 s[6:7], exec, s[6:7]
	s_cbranch_execz .LBB130_21
; %bb.20:                               ;   in Loop: Header=BB130_3 Depth=1
	global_load_ushort v35, v[30:31], off
	v_or_b32_e32 v63, v92, v91
	s_waitcnt vmcnt(0)
	v_lshrrev_b16_e32 v35, 2, v35
	v_and_b32_e32 v35, 0x3030, v35
	v_or_b32_e32 v64, v35, v90
	s_andn2_saveexec_b64 s[6:7], s[6:7]
	s_branch .LBB130_22
.LBB130_21:                             ;   in Loop: Header=BB130_3 Depth=1
	s_andn2_saveexec_b64 s[6:7], s[6:7]
.LBB130_22:                             ;   in Loop: Header=BB130_3 Depth=1
	v_and_b32_e32 v64, 0x3f3f, v81
	v_and_b32_e32 v63, 0x3f3f, v80
; %bb.23:                               ;   in Loop: Header=BB130_3 Depth=1
	s_or_b64 exec, exec, s[6:7]
                                        ; implicit-def: $vgpr68
                                        ; implicit-def: $vgpr67
	s_and_saveexec_b64 s[6:7], vcc
	s_xor_b64 s[6:7], exec, s[6:7]
	s_cbranch_execz .LBB130_25
; %bb.24:                               ;   in Loop: Header=BB130_3 Depth=1
	global_load_ushort v35, v[32:33], off
	v_and_b32_e32 v67, 0x3030, v102
	v_or_b32_e32 v67, v67, v83
	s_waitcnt vmcnt(0)
	v_lshrrev_b16_e32 v35, 2, v35
	v_and_b32_e32 v35, 0x3030, v35
	v_or_b32_e32 v68, v35, v82
	s_andn2_saveexec_b64 s[6:7], s[6:7]
	s_cbranch_execnz .LBB130_26
	s_branch .LBB130_27
.LBB130_25:                             ;   in Loop: Header=BB130_3 Depth=1
	s_andn2_saveexec_b64 s[6:7], s[6:7]
.LBB130_26:                             ;   in Loop: Header=BB130_3 Depth=1
	v_and_b32_e32 v68, 0x3f3f, v79
	v_and_b32_sdwa v67, v79, s33 dst_sel:DWORD dst_unused:UNUSED_PAD src0_sel:WORD_1 src1_sel:DWORD
.LBB130_27:                             ;   in Loop: Header=BB130_3 Depth=1
	s_or_b64 exec, exec, s[6:7]
	v_add_u32_e32 v35, s19, v36
	v_mad_u64_u32 v[88:89], s[6:7], v35, 36, v[22:23]
	v_mov_b32_e32 v35, v15
	v_lshl_add_u64 v[94:95], v[88:89], 0, v[34:35]
	global_load_dword v71, v[88:89], off
	global_load_dword v75, v[94:95], off offset:20
	global_load_dword v74, v[94:95], off offset:40
	;; [unrolled: 1-line block ×5, first 2 shown]
                                        ; implicit-def: $vgpr78
                                        ; implicit-def: $vgpr77
	s_and_saveexec_b64 s[6:7], vcc
	s_xor_b64 s[6:7], exec, s[6:7]
	s_cbranch_execz .LBB130_29
; %bb.28:                               ;   in Loop: Header=BB130_3 Depth=1
	global_load_ushort v35, v[30:31], off
	v_or_b32_e32 v77, v92, v91
	s_waitcnt vmcnt(0)
	v_lshrrev_b16_e32 v35, 2, v35
	v_and_b32_e32 v35, 0x3030, v35
	v_or_b32_e32 v78, v35, v90
	s_andn2_saveexec_b64 s[6:7], s[6:7]
	s_branch .LBB130_30
.LBB130_29:                             ;   in Loop: Header=BB130_3 Depth=1
	s_andn2_saveexec_b64 s[6:7], s[6:7]
.LBB130_30:                             ;   in Loop: Header=BB130_3 Depth=1
	v_and_b32_e32 v78, 0x3f3f, v81
	v_and_b32_e32 v77, 0x3f3f, v80
; %bb.31:                               ;   in Loop: Header=BB130_3 Depth=1
	s_or_b64 exec, exec, s[6:7]
                                        ; implicit-def: $vgpr89
                                        ; implicit-def: $vgpr88
	s_and_saveexec_b64 s[6:7], vcc
	s_xor_b64 s[6:7], exec, s[6:7]
	s_cbranch_execz .LBB130_33
; %bb.32:                               ;   in Loop: Header=BB130_3 Depth=1
	global_load_ushort v35, v[32:33], off
	v_and_b32_e32 v88, 0x3030, v102
	v_or_b32_e32 v88, v88, v83
	s_waitcnt vmcnt(0)
	v_lshrrev_b16_e32 v35, 2, v35
	v_and_b32_e32 v35, 0x3030, v35
	v_or_b32_e32 v89, v35, v82
	s_andn2_saveexec_b64 s[6:7], s[6:7]
	s_cbranch_execnz .LBB130_34
	s_branch .LBB130_35
.LBB130_33:                             ;   in Loop: Header=BB130_3 Depth=1
	s_andn2_saveexec_b64 s[6:7], s[6:7]
.LBB130_34:                             ;   in Loop: Header=BB130_3 Depth=1
	v_and_b32_e32 v89, 0x3f3f, v79
	v_and_b32_sdwa v88, v79, s33 dst_sel:DWORD dst_unused:UNUSED_PAD src0_sel:WORD_1 src1_sel:DWORD
.LBB130_35:                             ;   in Loop: Header=BB130_3 Depth=1
	s_or_b64 exec, exec, s[6:7]
	v_add_u32_e32 v35, s22, v36
	v_mad_u64_u32 v[100:101], s[6:7], v35, 36, v[22:23]
	v_mov_b32_e32 v35, v15
	v_lshl_add_u64 v[104:105], v[100:101], 0, v[34:35]
	global_load_dword v94, v[100:101], off
	global_load_dword v98, v[104:105], off offset:20
	global_load_dword v97, v[104:105], off offset:40
	;; [unrolled: 1-line block ×5, first 2 shown]
                                        ; implicit-def: $vgpr101
                                        ; implicit-def: $vgpr100
	s_and_saveexec_b64 s[6:7], vcc
	s_xor_b64 s[6:7], exec, s[6:7]
	s_cbranch_execz .LBB130_37
; %bb.36:                               ;   in Loop: Header=BB130_3 Depth=1
	global_load_ushort v35, v[30:31], off
	v_or_b32_e32 v100, v92, v91
	s_waitcnt vmcnt(0)
	v_lshrrev_b16_e32 v35, 2, v35
	v_and_b32_e32 v35, 0x3030, v35
	v_or_b32_e32 v101, v35, v90
	s_andn2_saveexec_b64 s[6:7], s[6:7]
	s_branch .LBB130_38
.LBB130_37:                             ;   in Loop: Header=BB130_3 Depth=1
	s_andn2_saveexec_b64 s[6:7], s[6:7]
.LBB130_38:                             ;   in Loop: Header=BB130_3 Depth=1
	v_and_b32_e32 v101, 0x3f3f, v81
	v_and_b32_e32 v100, 0x3f3f, v80
; %bb.39:                               ;   in Loop: Header=BB130_3 Depth=1
	s_or_b64 exec, exec, s[6:7]
                                        ; implicit-def: $vgpr104
                                        ; implicit-def: $vgpr103
	s_and_saveexec_b64 s[6:7], vcc
	s_xor_b64 s[6:7], exec, s[6:7]
	s_cbranch_execz .LBB130_41
; %bb.40:                               ;   in Loop: Header=BB130_3 Depth=1
	global_load_ushort v35, v[32:33], off
	v_and_b32_e32 v103, 0x3030, v102
	v_or_b32_e32 v103, v103, v83
	s_waitcnt vmcnt(0)
	v_lshrrev_b16_e32 v35, 2, v35
	v_and_b32_e32 v35, 0x3030, v35
	v_or_b32_e32 v104, v35, v82
	s_andn2_saveexec_b64 s[6:7], s[6:7]
	s_cbranch_execnz .LBB130_42
	s_branch .LBB130_43
.LBB130_41:                             ;   in Loop: Header=BB130_3 Depth=1
	s_andn2_saveexec_b64 s[6:7], s[6:7]
.LBB130_42:                             ;   in Loop: Header=BB130_3 Depth=1
	v_and_b32_e32 v104, 0x3f3f, v79
	v_and_b32_sdwa v103, v79, s33 dst_sel:DWORD dst_unused:UNUSED_PAD src0_sel:WORD_1 src1_sel:DWORD
.LBB130_43:                             ;   in Loop: Header=BB130_3 Depth=1
	s_or_b64 exec, exec, s[6:7]
	v_add_u32_e32 v35, s23, v36
	v_mad_u64_u32 v[112:113], s[6:7], v35, 36, v[22:23]
	v_mov_b32_e32 v35, v15
	v_lshl_add_u64 v[114:115], v[112:113], 0, v[34:35]
	global_load_dword v105, v[112:113], off
	global_load_dword v109, v[114:115], off offset:20
	global_load_dword v108, v[114:115], off offset:40
	;; [unrolled: 1-line block ×5, first 2 shown]
                                        ; implicit-def: $vgpr112
                                        ; implicit-def: $vgpr111
	s_and_saveexec_b64 s[6:7], vcc
	s_xor_b64 s[6:7], exec, s[6:7]
	s_cbranch_execz .LBB130_53
; %bb.44:                               ;   in Loop: Header=BB130_3 Depth=1
	global_load_ushort v35, v[30:31], off
	v_or_b32_e32 v111, v92, v91
                                        ; implicit-def: $vgpr81
                                        ; implicit-def: $vgpr80
	s_waitcnt vmcnt(0)
	v_lshrrev_b16_e32 v35, 2, v35
	v_and_b32_e32 v35, 0x3030, v35
	v_or_b32_e32 v112, v35, v90
	s_andn2_saveexec_b64 s[6:7], s[6:7]
	s_cbranch_execnz .LBB130_54
.LBB130_45:                             ;   in Loop: Header=BB130_3 Depth=1
	s_or_b64 exec, exec, s[6:7]
	s_and_saveexec_b64 s[6:7], vcc
	s_xor_b64 s[6:7], exec, s[6:7]
	s_cbranch_execz .LBB130_47
.LBB130_46:                             ;   in Loop: Header=BB130_3 Depth=1
	global_load_ushort v35, v[32:33], off
	v_and_b32_e32 v80, 0x3030, v102
	v_or_b32_e32 v87, v80, v83
	s_waitcnt vmcnt(0)
	v_lshrrev_b16_e32 v35, 2, v35
	v_and_b32_e32 v35, 0x3030, v35
	v_or_b32_e32 v85, v35, v82
.LBB130_47:                             ;   in Loop: Header=BB130_3 Depth=1
	s_andn2_saveexec_b64 s[6:7], s[6:7]
	s_or_b64 exec, exec, s[6:7]
	v_add_u32_e32 v35, s26, v36
	v_mad_u64_u32 v[114:115], s[6:7], v35, 36, v[22:23]
	v_mov_b32_e32 v35, v15
	v_lshl_add_u64 v[116:117], v[114:115], 0, v[34:35]
	global_load_dword v102, v[114:115], off
	global_load_dword v82, v[116:117], off offset:20
	global_load_dword v81, v[116:117], off offset:40
	;; [unrolled: 1-line block ×5, first 2 shown]
	s_and_saveexec_b64 s[6:7], vcc
	s_xor_b64 s[6:7], exec, s[6:7]
	s_cbranch_execz .LBB130_49
; %bb.48:                               ;   in Loop: Header=BB130_3 Depth=1
	global_load_ushort v30, v[30:31], off
	v_or_b32_e32 v86, v92, v91
	s_waitcnt vmcnt(0)
	v_lshrrev_b16_e32 v30, 2, v30
	v_and_b32_e32 v30, 0x3030, v30
	v_or_b32_e32 v84, v30, v90
.LBB130_49:                             ;   in Loop: Header=BB130_3 Depth=1
	s_andn2_saveexec_b64 s[6:7], s[6:7]
	s_or_b64 exec, exec, s[6:7]
                                        ; implicit-def: $vgpr31
	s_and_saveexec_b64 s[6:7], vcc
	s_xor_b64 s[6:7], exec, s[6:7]
	s_cbranch_execz .LBB130_51
; %bb.50:                               ;   in Loop: Header=BB130_3 Depth=1
	global_load_ushort v30, v[32:33], off
	v_alignbit_b32 v31, v93, v79, 16
	v_and_b32_e32 v31, 0xf0f0f0f, v31
	s_waitcnt vmcnt(0)
	v_perm_b32 v30, v79, v30, s28
	v_pk_lshrrev_b16 v30, 2, v30 op_sel_hi:[0,1]
	v_and_or_b32 v31, v30, s34, v31
                                        ; implicit-def: $vgpr79
.LBB130_51:                             ;   in Loop: Header=BB130_3 Depth=1
	s_andn2_saveexec_b64 s[6:7], s[6:7]
	s_cbranch_execz .LBB130_2
; %bb.52:                               ;   in Loop: Header=BB130_3 Depth=1
	v_and_b32_e32 v31, 0x3f3f3f3f, v79
	s_branch .LBB130_2
.LBB130_53:                             ;   in Loop: Header=BB130_3 Depth=1
	s_andn2_saveexec_b64 s[6:7], s[6:7]
	s_cbranch_execz .LBB130_45
.LBB130_54:                             ;   in Loop: Header=BB130_3 Depth=1
	v_and_b32_e32 v112, 0x3f3f, v81
	v_and_b32_e32 v111, 0x3f3f, v80
	s_or_b64 exec, exec, s[6:7]
	s_and_saveexec_b64 s[6:7], vcc
	s_xor_b64 s[6:7], exec, s[6:7]
	s_cbranch_execnz .LBB130_46
	s_branch .LBB130_47
.LBB130_55:
	s_or_b64 exec, exec, s[12:13]
	scratch_store_dwordx4 off, v[8:11], off
	scratch_store_dwordx4 off, v[4:7], off offset:16
	scratch_store_dwordx4 off, v[0:3], off offset:32
	scratch_store_dwordx2 off, v[26:27], off offset:48
.LBB130_56:
	s_or_b64 exec, exec, s[24:25]
	s_mov_b32 s5, 0
	v_cmp_eq_u32_e32 vcc, 0, v13
	s_waitcnt lgkmcnt(0)
	; wave barrier
	s_and_saveexec_b64 s[6:7], vcc
	s_cbranch_execz .LBB130_71
; %bb.57:
	scratch_load_dwordx2 v[2:3], off, off
	v_mbcnt_lo_u32_b32 v0, -1, 0
	v_mbcnt_hi_u32_b32 v13, -1, v0
	s_load_dwordx2 s[6:7], s[0:1], 0x38
	s_mul_i32 s0, s3, s14
	v_or_b32_e32 v1, s2, v12
	v_and_b32_e32 v0, 64, v13
	s_mul_i32 s4, s4, s18
	s_add_i32 s2, s0, s2
	v_cmp_gt_u32_e64 s[0:1], s10, v1
	v_xor_b32_e32 v1, 32, v13
	v_add_u32_e32 v14, 64, v0
	s_add_i32 s4, s2, s4
	v_cmp_lt_i32_e64 s[2:3], v1, v14
	v_cmp_gt_u32_e32 vcc, 2, v12
	s_nop 0
	v_cndmask_b32_e64 v0, v13, v1, s[2:3]
	v_lshlrev_b32_e32 v0, 2, v0
	v_xor_b32_e32 v1, 16, v13
	v_cmp_lt_i32_e64 s[2:3], v1, v14
	s_waitcnt vmcnt(0)
	ds_bpermute_b32 v4, v0, v2
	ds_bpermute_b32 v5, v0, v3
	v_cndmask_b32_e64 v1, v13, v1, s[2:3]
	v_lshlrev_b32_e32 v1, 2, v1
	s_waitcnt lgkmcnt(0)
	v_pk_add_f32 v[4:5], v[2:3], v[4:5]
	ds_bpermute_b32 v6, v1, v4
	ds_bpermute_b32 v7, v1, v5
	v_xor_b32_e32 v2, 8, v13
	v_cmp_lt_i32_e64 s[2:3], v2, v14
	v_xor_b32_e32 v3, 4, v13
	s_waitcnt lgkmcnt(0)
	v_pk_add_f32 v[4:5], v[4:5], v[6:7]
	v_cndmask_b32_e64 v2, v13, v2, s[2:3]
	v_lshlrev_b32_e32 v2, 2, v2
	ds_bpermute_b32 v6, v2, v4
	ds_bpermute_b32 v7, v2, v5
	v_cmp_lt_i32_e64 s[2:3], v3, v14
	s_waitcnt lgkmcnt(0)
	v_pk_add_f32 v[6:7], v[4:5], v[6:7]
	v_cndmask_b32_e64 v3, v13, v3, s[2:3]
	v_lshlrev_b32_e32 v3, 2, v3
	ds_bpermute_b32 v8, v3, v6
	ds_bpermute_b32 v9, v3, v7
	v_xor_b32_e32 v4, 2, v13
	v_cmp_lt_i32_e64 s[2:3], v4, v14
	v_xor_b32_e32 v5, 1, v13
	s_waitcnt lgkmcnt(0)
	v_pk_add_f32 v[8:9], v[6:7], v[8:9]
	v_cndmask_b32_e64 v4, v13, v4, s[2:3]
	v_lshlrev_b32_e32 v4, 2, v4
	ds_bpermute_b32 v10, v4, v8
	ds_bpermute_b32 v11, v4, v9
	v_cmp_lt_i32_e64 s[2:3], v5, v14
	s_waitcnt lgkmcnt(0)
	v_pk_add_f32 v[8:9], v[8:9], v[10:11]
	v_cndmask_b32_e64 v5, v13, v5, s[2:3]
	v_lshlrev_b32_e32 v6, 2, v5
	ds_bpermute_b32 v10, v6, v8
	ds_bpermute_b32 v11, v6, v9
	s_lshl_b64 s[2:3], s[4:5], 2
	s_add_u32 s2, s6, s2
	s_addc_u32 s3, s7, s3
	s_and_b64 s[0:1], vcc, s[0:1]
	s_waitcnt lgkmcnt(0)
	v_pk_add_f32 v[8:9], v[8:9], v[10:11]
	v_lshlrev_b32_e32 v5, 2, v12
	scratch_store_dwordx2 off, v[8:9], off
	s_and_saveexec_b64 s[4:5], s[0:1]
	s_cbranch_execz .LBB130_59
; %bb.58:
	scratch_load_dword v7, v5, off
	s_waitcnt vmcnt(0)
	global_store_dword v5, v7, s[2:3]
.LBB130_59:
	s_or_b64 exec, exec, s[4:5]
	scratch_load_dwordx2 v[8:9], off, off offset:8
	s_waitcnt vmcnt(0)
	ds_bpermute_b32 v10, v0, v8
	ds_bpermute_b32 v11, v0, v9
	s_waitcnt lgkmcnt(0)
	v_pk_add_f32 v[8:9], v[8:9], v[10:11]
	ds_bpermute_b32 v10, v1, v8
	ds_bpermute_b32 v11, v1, v9
	s_waitcnt lgkmcnt(0)
	v_pk_add_f32 v[8:9], v[8:9], v[10:11]
	;; [unrolled: 4-line block ×6, first 2 shown]
	scratch_store_dwordx2 off, v[8:9], off offset:8
	s_and_saveexec_b64 s[4:5], s[0:1]
	s_cbranch_execz .LBB130_61
; %bb.60:
	scratch_load_dword v7, v5, off offset:8
	v_add_u32_e32 v8, s10, v12
	v_mov_b32_e32 v9, 0
	v_lshl_add_u64 v[8:9], v[8:9], 2, s[2:3]
	s_waitcnt vmcnt(0)
	global_store_dword v[8:9], v7, off
.LBB130_61:
	s_or_b64 exec, exec, s[4:5]
	scratch_load_dwordx2 v[8:9], off, off offset:16
	s_waitcnt vmcnt(0)
	ds_bpermute_b32 v10, v0, v8
	ds_bpermute_b32 v11, v0, v9
	s_waitcnt lgkmcnt(0)
	v_pk_add_f32 v[8:9], v[8:9], v[10:11]
	ds_bpermute_b32 v10, v1, v8
	ds_bpermute_b32 v11, v1, v9
	s_waitcnt lgkmcnt(0)
	v_pk_add_f32 v[8:9], v[8:9], v[10:11]
	;; [unrolled: 4-line block ×6, first 2 shown]
	scratch_store_dwordx2 off, v[8:9], off offset:16
	s_and_saveexec_b64 s[4:5], s[0:1]
	s_cbranch_execz .LBB130_63
; %bb.62:
	scratch_load_dword v7, v5, off offset:16
	v_lshl_or_b32 v8, s10, 1, v12
	v_mov_b32_e32 v9, 0
	v_lshl_add_u64 v[8:9], v[8:9], 2, s[2:3]
	s_waitcnt vmcnt(0)
	global_store_dword v[8:9], v7, off
.LBB130_63:
	s_or_b64 exec, exec, s[4:5]
	scratch_load_dwordx2 v[8:9], off, off offset:24
	s_waitcnt vmcnt(0)
	ds_bpermute_b32 v10, v0, v8
	ds_bpermute_b32 v11, v0, v9
	s_waitcnt lgkmcnt(0)
	v_pk_add_f32 v[8:9], v[8:9], v[10:11]
	ds_bpermute_b32 v10, v1, v8
	ds_bpermute_b32 v11, v1, v9
	s_waitcnt lgkmcnt(0)
	v_pk_add_f32 v[8:9], v[8:9], v[10:11]
	;; [unrolled: 4-line block ×6, first 2 shown]
	scratch_store_dwordx2 off, v[8:9], off offset:24
	s_and_saveexec_b64 s[4:5], s[0:1]
	s_cbranch_execz .LBB130_65
; %bb.64:
	scratch_load_dword v7, v5, off offset:24
	v_mad_u64_u32 v[8:9], s[6:7], s10, 3, v[12:13]
	v_mov_b32_e32 v9, 0
	v_lshl_add_u64 v[8:9], v[8:9], 2, s[2:3]
	s_waitcnt vmcnt(0)
	global_store_dword v[8:9], v7, off
.LBB130_65:
	s_or_b64 exec, exec, s[4:5]
	scratch_load_dwordx2 v[8:9], off, off offset:32
	s_waitcnt vmcnt(0)
	ds_bpermute_b32 v10, v0, v8
	ds_bpermute_b32 v11, v0, v9
	s_waitcnt lgkmcnt(0)
	v_pk_add_f32 v[8:9], v[8:9], v[10:11]
	ds_bpermute_b32 v10, v1, v8
	ds_bpermute_b32 v11, v1, v9
	s_waitcnt lgkmcnt(0)
	v_pk_add_f32 v[8:9], v[8:9], v[10:11]
	;; [unrolled: 4-line block ×6, first 2 shown]
	scratch_store_dwordx2 off, v[8:9], off offset:32
	s_and_saveexec_b64 s[4:5], s[0:1]
	s_cbranch_execz .LBB130_67
; %bb.66:
	scratch_load_dword v7, v5, off offset:32
	v_lshl_or_b32 v8, s10, 2, v12
	v_mov_b32_e32 v9, 0
	v_lshl_add_u64 v[8:9], v[8:9], 2, s[2:3]
	s_waitcnt vmcnt(0)
	global_store_dword v[8:9], v7, off
.LBB130_67:
	s_or_b64 exec, exec, s[4:5]
	scratch_load_dwordx2 v[8:9], off, off offset:40
	s_waitcnt vmcnt(0)
	ds_bpermute_b32 v10, v0, v8
	ds_bpermute_b32 v11, v0, v9
	s_waitcnt lgkmcnt(0)
	v_pk_add_f32 v[8:9], v[8:9], v[10:11]
	ds_bpermute_b32 v10, v1, v8
	ds_bpermute_b32 v11, v1, v9
	s_waitcnt lgkmcnt(0)
	v_pk_add_f32 v[8:9], v[8:9], v[10:11]
	;; [unrolled: 4-line block ×6, first 2 shown]
	scratch_store_dwordx2 off, v[8:9], off offset:40
	s_and_saveexec_b64 s[4:5], s[0:1]
	s_cbranch_execz .LBB130_69
; %bb.68:
	scratch_load_dword v7, v5, off offset:40
	v_mad_u64_u32 v[8:9], s[6:7], s10, 5, v[12:13]
	v_mov_b32_e32 v9, 0
	v_lshl_add_u64 v[8:9], v[8:9], 2, s[2:3]
	s_waitcnt vmcnt(0)
	global_store_dword v[8:9], v7, off
.LBB130_69:
	s_or_b64 exec, exec, s[4:5]
	scratch_load_dwordx2 v[8:9], off, off offset:48
	s_waitcnt vmcnt(0)
	ds_bpermute_b32 v10, v0, v8
	ds_bpermute_b32 v11, v0, v9
	s_waitcnt lgkmcnt(0)
	v_pk_add_f32 v[8:9], v[8:9], v[10:11]
	ds_bpermute_b32 v0, v1, v8
	ds_bpermute_b32 v1, v1, v9
	s_waitcnt lgkmcnt(0)
	v_pk_add_f32 v[0:1], v[8:9], v[0:1]
	ds_bpermute_b32 v8, v2, v0
	ds_bpermute_b32 v9, v2, v1
	s_waitcnt lgkmcnt(0)
	v_pk_add_f32 v[0:1], v[0:1], v[8:9]
	ds_bpermute_b32 v2, v3, v0
	ds_bpermute_b32 v3, v3, v1
	s_waitcnt lgkmcnt(0)
	v_pk_add_f32 v[0:1], v[0:1], v[2:3]
	ds_bpermute_b32 v2, v4, v0
	ds_bpermute_b32 v3, v4, v1
	s_waitcnt lgkmcnt(0)
	v_pk_add_f32 v[0:1], v[0:1], v[2:3]
	ds_bpermute_b32 v2, v6, v0
	ds_bpermute_b32 v3, v6, v1
	s_waitcnt lgkmcnt(0)
	v_pk_add_f32 v[0:1], v[0:1], v[2:3]
	scratch_store_dwordx2 off, v[0:1], off offset:48
	s_and_b64 exec, exec, s[0:1]
	s_cbranch_execz .LBB130_71
; %bb.70:
	scratch_load_dword v2, v5, off offset:48
	s_mul_i32 s0, s10, 6
	v_or_b32_e32 v0, s0, v12
	v_mov_b32_e32 v1, 0
	v_lshl_add_u64 v[0:1], v[0:1], 2, s[2:3]
	s_waitcnt vmcnt(0)
	global_store_dword v[0:1], v2, off
.LBB130_71:
	s_endpgm
	.section	.rodata,"a",@progbits
	.p2align	6, 0x0
	.amdhsa_kernel _ZL13mul_mat_vec_qIL9ggml_type12ELi7ELb0ELb0EEvPKvS2_PKi31ggml_cuda_mm_fusion_args_devicePfj15HIP_vector_typeIjLj3EEjjjS8_jjjS8_jjjj
		.amdhsa_group_segment_fixed_size 0
		.amdhsa_private_segment_fixed_size 64
		.amdhsa_kernarg_size 144
		.amdhsa_user_sgpr_count 2
		.amdhsa_user_sgpr_dispatch_ptr 0
		.amdhsa_user_sgpr_queue_ptr 0
		.amdhsa_user_sgpr_kernarg_segment_ptr 1
		.amdhsa_user_sgpr_dispatch_id 0
		.amdhsa_user_sgpr_kernarg_preload_length 0
		.amdhsa_user_sgpr_kernarg_preload_offset 0
		.amdhsa_user_sgpr_private_segment_size 0
		.amdhsa_uses_dynamic_stack 0
		.amdhsa_enable_private_segment 1
		.amdhsa_system_sgpr_workgroup_id_x 1
		.amdhsa_system_sgpr_workgroup_id_y 1
		.amdhsa_system_sgpr_workgroup_id_z 1
		.amdhsa_system_sgpr_workgroup_info 0
		.amdhsa_system_vgpr_workitem_id 1
		.amdhsa_next_free_vgpr 118
		.amdhsa_next_free_sgpr 36
		.amdhsa_accum_offset 120
		.amdhsa_reserve_vcc 1
		.amdhsa_float_round_mode_32 0
		.amdhsa_float_round_mode_16_64 0
		.amdhsa_float_denorm_mode_32 3
		.amdhsa_float_denorm_mode_16_64 3
		.amdhsa_dx10_clamp 1
		.amdhsa_ieee_mode 1
		.amdhsa_fp16_overflow 0
		.amdhsa_tg_split 0
		.amdhsa_exception_fp_ieee_invalid_op 0
		.amdhsa_exception_fp_denorm_src 0
		.amdhsa_exception_fp_ieee_div_zero 0
		.amdhsa_exception_fp_ieee_overflow 0
		.amdhsa_exception_fp_ieee_underflow 0
		.amdhsa_exception_fp_ieee_inexact 0
		.amdhsa_exception_int_div_zero 0
	.end_amdhsa_kernel
	.section	.text._ZL13mul_mat_vec_qIL9ggml_type12ELi7ELb0ELb0EEvPKvS2_PKi31ggml_cuda_mm_fusion_args_devicePfj15HIP_vector_typeIjLj3EEjjjS8_jjjS8_jjjj,"axG",@progbits,_ZL13mul_mat_vec_qIL9ggml_type12ELi7ELb0ELb0EEvPKvS2_PKi31ggml_cuda_mm_fusion_args_devicePfj15HIP_vector_typeIjLj3EEjjjS8_jjjS8_jjjj,comdat
.Lfunc_end130:
	.size	_ZL13mul_mat_vec_qIL9ggml_type12ELi7ELb0ELb0EEvPKvS2_PKi31ggml_cuda_mm_fusion_args_devicePfj15HIP_vector_typeIjLj3EEjjjS8_jjjS8_jjjj, .Lfunc_end130-_ZL13mul_mat_vec_qIL9ggml_type12ELi7ELb0ELb0EEvPKvS2_PKi31ggml_cuda_mm_fusion_args_devicePfj15HIP_vector_typeIjLj3EEjjjS8_jjjS8_jjjj
                                        ; -- End function
	.section	.AMDGPU.csdata,"",@progbits
; Kernel info:
; codeLenInByte = 6884
; NumSgprs: 42
; NumVgprs: 118
; NumAgprs: 0
; TotalNumVgprs: 118
; ScratchSize: 64
; MemoryBound: 0
; FloatMode: 240
; IeeeMode: 1
; LDSByteSize: 0 bytes/workgroup (compile time only)
; SGPRBlocks: 5
; VGPRBlocks: 14
; NumSGPRsForWavesPerEU: 42
; NumVGPRsForWavesPerEU: 118
; AccumOffset: 120
; Occupancy: 4
; WaveLimiterHint : 0
; COMPUTE_PGM_RSRC2:SCRATCH_EN: 1
; COMPUTE_PGM_RSRC2:USER_SGPR: 2
; COMPUTE_PGM_RSRC2:TRAP_HANDLER: 0
; COMPUTE_PGM_RSRC2:TGID_X_EN: 1
; COMPUTE_PGM_RSRC2:TGID_Y_EN: 1
; COMPUTE_PGM_RSRC2:TGID_Z_EN: 1
; COMPUTE_PGM_RSRC2:TIDIG_COMP_CNT: 1
; COMPUTE_PGM_RSRC3_GFX90A:ACCUM_OFFSET: 29
; COMPUTE_PGM_RSRC3_GFX90A:TG_SPLIT: 0
	.section	.text._ZL13mul_mat_vec_qIL9ggml_type12ELi8ELb0ELb0EEvPKvS2_PKi31ggml_cuda_mm_fusion_args_devicePfj15HIP_vector_typeIjLj3EEjjjS8_jjjS8_jjjj,"axG",@progbits,_ZL13mul_mat_vec_qIL9ggml_type12ELi8ELb0ELb0EEvPKvS2_PKi31ggml_cuda_mm_fusion_args_devicePfj15HIP_vector_typeIjLj3EEjjjS8_jjjS8_jjjj,comdat
	.globl	_ZL13mul_mat_vec_qIL9ggml_type12ELi8ELb0ELb0EEvPKvS2_PKi31ggml_cuda_mm_fusion_args_devicePfj15HIP_vector_typeIjLj3EEjjjS8_jjjS8_jjjj ; -- Begin function _ZL13mul_mat_vec_qIL9ggml_type12ELi8ELb0ELb0EEvPKvS2_PKi31ggml_cuda_mm_fusion_args_devicePfj15HIP_vector_typeIjLj3EEjjjS8_jjjS8_jjjj
	.p2align	8
	.type	_ZL13mul_mat_vec_qIL9ggml_type12ELi8ELb0ELb0EEvPKvS2_PKi31ggml_cuda_mm_fusion_args_devicePfj15HIP_vector_typeIjLj3EEjjjS8_jjjS8_jjjj,@function
_ZL13mul_mat_vec_qIL9ggml_type12ELi8ELb0ELb0EEvPKvS2_PKi31ggml_cuda_mm_fusion_args_devicePfj15HIP_vector_typeIjLj3EEjjjS8_jjjS8_jjjj: ; @_ZL13mul_mat_vec_qIL9ggml_type12ELi8ELb0ELb0EEvPKvS2_PKi31ggml_cuda_mm_fusion_args_devicePfj15HIP_vector_typeIjLj3EEjjjS8_jjjS8_jjjj
; %bb.0:
	v_bfe_u32 v17, v0, 10, 10
	v_and_b32_e32 v16, 0x3ff, v0
	s_mov_b32 s20, 0
	s_load_dword s5, s[0:1], 0x40
	s_load_dwordx4 s[8:11], s[0:1], 0x50
	s_load_dword s7, s[0:1], 0x60
	s_load_dwordx4 s[12:15], s[0:1], 0x68
	;; [unrolled: 2-line block ×3, first 2 shown]
	v_lshl_or_b32 v4, v17, 6, v16
	s_mov_b32 s21, s20
	s_waitcnt lgkmcnt(0)
	s_lshr_b32 s5, s5, 8
	s_mov_b32 s22, s20
	s_mov_b32 s23, s20
	v_mov_b64_e32 v[0:1], s[20:21]
	v_lshrrev_b32_e32 v23, 4, v4
	s_lshl_b32 s2, s2, 1
	v_mov_b64_e32 v[2:3], s[22:23]
	v_cmp_gt_u32_e32 vcc, s5, v23
	scratch_store_dwordx4 off, v[0:3], off offset:48
	scratch_store_dwordx4 off, v[0:3], off offset:32
	;; [unrolled: 1-line block ×3, first 2 shown]
	scratch_store_dwordx4 off, v[0:3], off
	s_and_saveexec_b64 s[24:25], vcc
	s_cbranch_execz .LBB131_64
; %bb.1:
	s_mul_hi_u32 s11, s11, s3
	s_add_i32 s11, s3, s11
	s_lshr_b32 s7, s11, s7
	s_load_dwordx4 s[20:23], s[0:1], 0x0
	s_mul_i32 s11, s7, s12
	s_mul_hi_u32 s7, s15, s4
	s_add_i32 s7, s4, s7
	s_lshr_b32 s6, s7, s6
	s_mul_i32 s15, s6, s16
	s_mul_i32 s6, s4, s17
	s_mul_hi_u32 s7, s6, 36
	s_mul_i32 s6, s6, 36
	s_waitcnt lgkmcnt(0)
	s_add_u32 s6, s22, s6
	s_mul_i32 s12, s3, s13
	s_addc_u32 s7, s23, s7
	s_mul_hi_u32 s13, s12, 36
	s_mul_i32 s12, s12, 36
	v_lshlrev_b32_e32 v0, 1, v16
	s_add_u32 s6, s6, s12
	v_and_b32_e32 v1, 30, v0
	v_bfe_u32 v0, v0, 3, 2
	s_addc_u32 s7, s7, s13
	v_cmp_lt_u32_e32 vcc, 15, v1
	v_lshlrev_b32_e32 v1, 1, v0
	v_mad_u64_u32 v[26:27], s[12:13], v1, 36, s[6:7]
	v_lshl_add_u32 v1, v17, 6, v16
	v_bfe_u32 v2, v16, 2, 2
	v_lshrrev_b32_e32 v1, 4, v1
	v_mul_hi_u32_u24_e32 v3, 0x48, v2
	v_mul_u32_u24_e32 v2, 0x48, v2
	s_movk_i32 s12, 0x120
	v_mad_u64_u32 v[2:3], s[12:13], v1, s12, v[2:3]
	v_lshl_add_u64 v[2:3], s[6:7], 0, v[2:3]
	s_add_i32 s7, s2, 1
	v_mov_b32_e32 v21, 0
	v_and_b32_e32 v22, 3, v16
	s_mul_i32 s16, s2, s8
	s_add_i32 s6, s15, s11
	s_mul_i32 s7, s8, s7
	v_lshlrev_b32_e32 v18, 5, v0
	v_mov_b32_e32 v19, v21
	v_lshlrev_b32_e32 v24, 2, v22
	v_mov_b32_e32 v25, v21
	v_lshl_add_u64 v[28:29], v[2:3], 0, 36
	s_add_i32 s11, s6, s16
	s_lshl_b32 s15, s9, 1
	v_lshlrev_b32_e32 v38, 3, v23
	s_mul_i32 s19, s9, 3
	s_lshl_b32 s22, s9, 2
	s_mul_i32 s23, s9, 5
	s_mul_i32 s26, s9, 6
	;; [unrolled: 1-line block ×3, first 2 shown]
	s_add_i32 s8, s6, s7
	s_mov_b64 s[12:13], 0
	s_movk_i32 s28, 0x90
	v_mov_b64_e32 v[30:31], s[20:21]
	v_lshlrev_b32_e32 v20, 1, v0
	s_mov_b32 s29, 0x5040100
	s_mov_b32 s30, 0x20004
	s_mov_b32 s31, 0x30300f0f
	s_movk_i32 s33, 0xf0f
	s_movk_i32 s34, 0x3f3f
	s_mov_b32 s35, 0x30303030
	s_mov_b32 s36, 0xffff
	s_mov_b64 s[16:17], 0x480
	v_mov_b32_e32 v3, v21
	v_mov_b32_e32 v2, v21
	;; [unrolled: 1-line block ×16, first 2 shown]
	s_branch .LBB131_3
.LBB131_2:                              ;   in Loop: Header=BB131_3 Depth=1
	s_or_b64 exec, exec, s[6:7]
	s_waitcnt vmcnt(47)
	v_and_b32_e32 v100, 0xf0f0f0f, v71
	v_mov_b32_e32 v125, v21
	s_waitcnt vmcnt(46)
	v_and_b32_e32 v101, 0xf0f0f0f, v70
	s_waitcnt vmcnt(1)
	v_dot4c_i32_i8_e32 v125, v100, v92
	v_mov_b32_e32 v83, v21
	v_lshrrev_b32_e32 v37, 4, v71
	v_lshrrev_b16_e32 v103, 8, v84
	v_dot4c_i32_i8_e32 v125, v101, v91
	v_and_b32_sdwa v84, s36, v84 dst_sel:DWORD dst_unused:UNUSED_PAD src0_sel:DWORD src1_sel:BYTE_0
	v_dot4c_i32_i8_e32 v83, 0x1010101, v92
	v_mov_b32_e32 v35, v21
	v_and_b32_e32 v71, 0xf0f0f0f, v37
	v_lshrrev_b32_e32 v37, 4, v70
	v_mul_lo_u32 v84, v125, v84
	v_mov_b32_e32 v125, v21
	v_dot4c_i32_i8_e32 v83, 0x1010101, v91
	v_dot4c_i32_i8_e32 v35, 0x1010101, v89
	v_and_b32_e32 v102, 0xf0f0f0f, v37
	v_lshrrev_b16_e32 v37, 8, v86
	v_and_b32_sdwa v86, s36, v86 dst_sel:DWORD dst_unused:UNUSED_PAD src0_sel:DWORD src1_sel:BYTE_0
	v_dot4c_i32_i8_e32 v125, v71, v89
	v_dot4c_i32_i8_e32 v35, 0x1010101, v88
	v_mul_lo_u32 v86, v83, v86
	v_dot4c_i32_i8_e32 v125, v102, v88
	v_cvt_f32_i32_e32 v84, v84
	v_cvt_f32_i32_e32 v86, v86
	v_mul_lo_u32 v37, v35, v37
	v_mul_lo_u32 v103, v125, v103
	v_cvt_f32_i32_e32 v103, v103
	v_cvt_f32_i32_e32 v37, v37
	v_cvt_f32_f16_sdwa v70, v45 dst_sel:DWORD dst_unused:UNUSED_PAD src0_sel:WORD_1
	v_fma_mix_f32 v84, v106, v84, 0 op_sel_hi:[1,0,0]
	v_fma_mix_f32 v86, v106, v86, 0 op_sel_hi:[1,0,0]
	s_waitcnt vmcnt(0)
	v_cvt_f32_f16_e32 v32, v36
	v_fma_mix_f32 v84, v36, v103, v84 op_sel_hi:[1,0,0]
	v_fma_mix_f32 v36, v36, v37, v86 op_sel_hi:[1,0,0]
	v_and_b32_e32 v103, 0xf0f0f0f, v76
	v_mul_f32_e32 v36, v36, v70
	v_mov_b32_e32 v127, v21
	v_cvt_f32_f16_e32 v34, v106
	v_fma_mix_f32 v36, v84, v45, -v36 op_sel_hi:[0,1,0]
	v_mov_b32_e32 v84, v21
	v_and_b32_e32 v106, 0xf0f0f0f, v75
	v_dot4c_i32_i8_e32 v127, v103, v122
	v_add_f32_e32 v2, v2, v36
	v_dot4c_i32_i8_e32 v84, 0x1010101, v122
	v_mov_b32_e32 v86, v21
	v_lshrrev_b32_e32 v36, 4, v76
	v_lshrrev_b16_e32 v126, 8, v85
	v_dot4c_i32_i8_e32 v127, v106, v121
	v_and_b32_sdwa v85, s36, v85 dst_sel:DWORD dst_unused:UNUSED_PAD src0_sel:DWORD src1_sel:BYTE_0
	v_dot4c_i32_i8_e32 v84, 0x1010101, v121
	v_dot4c_i32_i8_e32 v86, 0x1010101, v120
	v_and_b32_e32 v76, 0xf0f0f0f, v36
	v_lshrrev_b32_e32 v36, 4, v75
	v_lshrrev_b16_e32 v125, 8, v87
	v_mul_lo_u32 v85, v127, v85
	v_and_b32_sdwa v87, s36, v87 dst_sel:DWORD dst_unused:UNUSED_PAD src0_sel:DWORD src1_sel:BYTE_0
	v_mov_b32_e32 v127, v21
	v_dot4c_i32_i8_e32 v86, 0x1010101, v119
	v_and_b32_e32 v75, 0xf0f0f0f, v36
	v_mul_lo_u32 v87, v84, v87
	v_dot4c_i32_i8_e32 v127, v76, v120
	v_cvt_f32_i32_e32 v87, v87
	v_dot4c_i32_i8_e32 v127, v75, v119
	v_mul_lo_u32 v125, v86, v125
	v_cvt_f32_i32_e32 v85, v85
	v_cvt_f32_i32_e32 v125, v125
	v_mul_lo_u32 v126, v127, v126
	v_cvt_f32_f16_sdwa v37, v48 dst_sel:DWORD dst_unused:UNUSED_PAD src0_sel:WORD_1
	v_cvt_f32_i32_e32 v126, v126
	v_fma_mix_f32 v87, v117, v87, 0 op_sel_hi:[1,0,0]
	v_fma_mix_f32 v85, v117, v85, 0 op_sel_hi:[1,0,0]
	v_fma_mix_f32 v87, v118, v125, v87 op_sel_hi:[1,0,0]
	v_mov_b32_e32 v125, v21
	v_fma_mix_f32 v85, v118, v126, v85 op_sel_hi:[1,0,0]
	v_mul_f32_e32 v87, v87, v37
	v_dot4c_i32_i8_e32 v125, v100, v122
	v_and_b32_sdwa v122, s36, v123 dst_sel:DWORD dst_unused:UNUSED_PAD src0_sel:DWORD src1_sel:BYTE_0
	v_fma_mix_f32 v85, v85, v48, -v87 op_sel_hi:[0,1,0]
	v_mul_lo_u32 v84, v84, v122
	v_mov_b32_e32 v122, v21
	v_add_f32_e32 v1, v1, v85
	v_lshrrev_b16_e32 v85, 8, v123
	v_dot4c_i32_i8_e32 v125, v101, v121
	v_and_b32_sdwa v121, s36, v124 dst_sel:DWORD dst_unused:UNUSED_PAD src0_sel:DWORD src1_sel:BYTE_0
	v_dot4c_i32_i8_e32 v122, v71, v120
	v_lshrrev_b16_e32 v87, 8, v124
	v_mul_lo_u32 v121, v125, v121
	v_cvt_f32_i32_e32 v84, v84
	v_dot4c_i32_i8_e32 v122, v102, v119
	v_mul_lo_u32 v85, v86, v85
	v_cvt_f32_i32_e32 v121, v121
	v_cvt_f32_i32_e32 v85, v85
	v_mul_lo_u32 v87, v122, v87
	v_cvt_f32_i32_e32 v87, v87
	v_fma_mix_f32 v84, v117, v84, 0 op_sel_hi:[1,0,0]
	v_fma_mix_f32 v86, v117, v121, 0 op_sel_hi:[1,0,0]
	v_fma_mix_f32 v84, v118, v85, v84 op_sel_hi:[1,0,0]
	v_fma_mix_f32 v86, v118, v87, v86 op_sel_hi:[1,0,0]
	v_mul_f32_e32 v84, v84, v70
	v_fma_mix_f32 v84, v86, v45, -v84 op_sel_hi:[0,1,0]
	v_mov_b32_e32 v117, v21
	v_add_f32_e32 v0, v0, v84
	v_mov_b32_e32 v84, v21
	v_dot4c_i32_i8_e32 v117, v103, v112
	v_dot4c_i32_i8_e32 v84, 0x1010101, v112
	v_mov_b32_e32 v85, v21
	v_lshrrev_b16_e32 v87, 8, v116
	v_dot4c_i32_i8_e32 v117, v106, v111
	v_and_b32_sdwa v116, s36, v116 dst_sel:DWORD dst_unused:UNUSED_PAD src0_sel:DWORD src1_sel:BYTE_0
	v_dot4c_i32_i8_e32 v84, 0x1010101, v111
	v_dot4c_i32_i8_e32 v85, 0x1010101, v110
	v_lshrrev_b16_e32 v86, 8, v115
	v_mul_lo_u32 v116, v117, v116
	v_and_b32_sdwa v115, s36, v115 dst_sel:DWORD dst_unused:UNUSED_PAD src0_sel:DWORD src1_sel:BYTE_0
	v_mov_b32_e32 v117, v21
	v_dot4c_i32_i8_e32 v85, 0x1010101, v109
	v_mul_lo_u32 v115, v84, v115
	v_dot4c_i32_i8_e32 v117, v76, v110
	v_cvt_f32_i32_e32 v115, v115
	v_dot4c_i32_i8_e32 v117, v75, v109
	v_mul_lo_u32 v86, v85, v86
	v_cvt_f32_i32_e32 v116, v116
	v_cvt_f32_i32_e32 v86, v86
	v_mul_lo_u32 v87, v117, v87
	v_cvt_f32_i32_e32 v87, v87
	v_fma_mix_f32 v115, v107, v115, 0 op_sel_hi:[1,0,0]
	v_fma_mix_f32 v116, v107, v116, 0 op_sel_hi:[1,0,0]
	v_fma_mix_f32 v86, v108, v86, v115 op_sel_hi:[1,0,0]
	v_mov_b32_e32 v115, v21
	v_fma_mix_f32 v87, v108, v87, v116 op_sel_hi:[1,0,0]
	v_mul_f32_e32 v86, v86, v37
	v_dot4c_i32_i8_e32 v115, v100, v112
	v_and_b32_sdwa v112, s36, v113 dst_sel:DWORD dst_unused:UNUSED_PAD src0_sel:DWORD src1_sel:BYTE_0
	v_fma_mix_f32 v86, v87, v48, -v86 op_sel_hi:[0,1,0]
	v_mul_lo_u32 v84, v84, v112
	v_mov_b32_e32 v112, v21
	v_add_f32_e32 v7, v7, v86
	v_lshrrev_b16_e32 v86, 8, v113
	v_dot4c_i32_i8_e32 v115, v101, v111
	v_and_b32_sdwa v111, s36, v114 dst_sel:DWORD dst_unused:UNUSED_PAD src0_sel:DWORD src1_sel:BYTE_0
	v_dot4c_i32_i8_e32 v112, v71, v110
	v_lshrrev_b16_e32 v87, 8, v114
	v_mul_lo_u32 v111, v115, v111
	v_cvt_f32_i32_e32 v84, v84
	v_dot4c_i32_i8_e32 v112, v102, v109
	v_mul_lo_u32 v85, v85, v86
	v_cvt_f32_i32_e32 v111, v111
	v_cvt_f32_i32_e32 v85, v85
	v_mul_lo_u32 v87, v112, v87
	v_cvt_f32_i32_e32 v87, v87
	v_fma_mix_f32 v84, v107, v84, 0 op_sel_hi:[1,0,0]
	v_fma_mix_f32 v86, v107, v111, 0 op_sel_hi:[1,0,0]
	v_fma_mix_f32 v84, v108, v85, v84 op_sel_hi:[1,0,0]
	v_fma_mix_f32 v86, v108, v87, v86 op_sel_hi:[1,0,0]
	v_mul_f32_e32 v84, v84, v70
	v_fma_mix_f32 v84, v86, v45, -v84 op_sel_hi:[0,1,0]
	v_mov_b32_e32 v107, v21
	v_add_f32_e32 v6, v6, v84
	v_mov_b32_e32 v84, v21
	v_dot4c_i32_i8_e32 v107, v103, v97
	v_dot4c_i32_i8_e32 v84, 0x1010101, v97
	v_mov_b32_e32 v85, v21
	v_lshrrev_b16_e32 v87, 8, v105
	v_dot4c_i32_i8_e32 v107, v106, v96
	v_and_b32_sdwa v105, s36, v105 dst_sel:DWORD dst_unused:UNUSED_PAD src0_sel:DWORD src1_sel:BYTE_0
	v_dot4c_i32_i8_e32 v84, 0x1010101, v96
	v_dot4c_i32_i8_e32 v85, 0x1010101, v95
	v_lshrrev_b16_e32 v86, 8, v104
	v_mul_lo_u32 v105, v107, v105
	v_and_b32_sdwa v104, s36, v104 dst_sel:DWORD dst_unused:UNUSED_PAD src0_sel:DWORD src1_sel:BYTE_0
	v_mov_b32_e32 v107, v21
	v_dot4c_i32_i8_e32 v85, 0x1010101, v94
	v_mul_lo_u32 v104, v84, v104
	v_dot4c_i32_i8_e32 v107, v76, v95
	v_cvt_f32_i32_e32 v104, v104
	v_dot4c_i32_i8_e32 v107, v75, v94
	v_mul_lo_u32 v86, v85, v86
	v_cvt_f32_i32_e32 v105, v105
	v_cvt_f32_i32_e32 v86, v86
	v_mul_lo_u32 v87, v107, v87
	;; [unrolled: 56-line block ×3, first 2 shown]
	v_cvt_f32_i32_e32 v87, v87
	v_fma_mix_f32 v81, v69, v81, 0 op_sel_hi:[1,0,0]
	v_fma_mix_f32 v82, v69, v82, 0 op_sel_hi:[1,0,0]
	;; [unrolled: 1-line block ×4, first 2 shown]
	v_mul_f32_e32 v81, v81, v37
	v_mov_b32_e32 v86, v21
	v_fma_mix_f32 v81, v82, v48, -v81 op_sel_hi:[0,1,0]
	v_dot4c_i32_i8_e32 v86, v100, v78
	v_add_f32_e32 v11, v11, v81
	v_lshrrev_b16_e32 v81, 8, v79
	v_dot4c_i32_i8_e32 v86, v101, v77
	v_and_b32_sdwa v77, s36, v80 dst_sel:DWORD dst_unused:UNUSED_PAD src0_sel:DWORD src1_sel:BYTE_0
	v_and_b32_sdwa v78, s36, v79 dst_sel:DWORD dst_unused:UNUSED_PAD src0_sel:DWORD src1_sel:BYTE_0
	v_mov_b32_e32 v79, v21
	v_mul_lo_u32 v77, v86, v77
	v_mul_lo_u32 v78, v84, v78
	v_dot4c_i32_i8_e32 v79, v71, v74
	v_lshrrev_b16_e32 v82, 8, v80
	v_cvt_f32_i32_e32 v77, v77
	v_cvt_f32_i32_e32 v78, v78
	v_dot4c_i32_i8_e32 v79, v102, v73
	v_mul_lo_u32 v74, v85, v81
	v_cvt_f32_i32_e32 v74, v74
	v_fma_mix_f32 v77, v69, v77, 0 op_sel_hi:[1,0,0]
	v_mul_lo_u32 v73, v79, v82
	v_cvt_f32_i32_e32 v73, v73
	v_fma_mix_f32 v69, v69, v78, 0 op_sel_hi:[1,0,0]
	v_cvt_f32_f16_e32 v36, v48
	v_fma_mix_f32 v69, v72, v74, v69 op_sel_hi:[1,0,0]
	v_fma_mix_f32 v73, v72, v73, v77 op_sel_hi:[1,0,0]
	v_mul_f32_e32 v69, v69, v70
	v_fma_mix_f32 v69, v73, v45, -v69 op_sel_hi:[0,1,0]
	v_mov_b32_e32 v77, v21
	v_add_f32_e32 v10, v10, v69
	v_mov_b32_e32 v69, v21
	v_dot4c_i32_i8_e32 v77, v103, v64
	v_dot4c_i32_i8_e32 v69, 0x1010101, v64
	v_mov_b32_e32 v72, v21
	v_lshrrev_b16_e32 v74, 8, v68
	v_dot4c_i32_i8_e32 v77, v106, v63
	v_and_b32_sdwa v68, s36, v68 dst_sel:DWORD dst_unused:UNUSED_PAD src0_sel:DWORD src1_sel:BYTE_0
	v_dot4c_i32_i8_e32 v69, 0x1010101, v63
	v_dot4c_i32_i8_e32 v72, 0x1010101, v62
	v_lshrrev_b16_e32 v73, 8, v67
	v_mul_lo_u32 v68, v77, v68
	v_and_b32_sdwa v67, s36, v67 dst_sel:DWORD dst_unused:UNUSED_PAD src0_sel:DWORD src1_sel:BYTE_0
	v_mov_b32_e32 v77, v21
	v_dot4c_i32_i8_e32 v72, 0x1010101, v61
	v_mul_lo_u32 v67, v69, v67
	v_dot4c_i32_i8_e32 v77, v76, v62
	v_cvt_f32_i32_e32 v67, v67
	v_dot4c_i32_i8_e32 v77, v75, v61
	v_mul_lo_u32 v73, v72, v73
	v_cvt_f32_i32_e32 v68, v68
	v_cvt_f32_i32_e32 v73, v73
	v_mul_lo_u32 v74, v77, v74
	v_cvt_f32_i32_e32 v74, v74
	v_fma_mix_f32 v67, v59, v67, 0 op_sel_hi:[1,0,0]
	v_fma_mix_f32 v68, v59, v68, 0 op_sel_hi:[1,0,0]
	;; [unrolled: 1-line block ×4, first 2 shown]
	v_mul_f32_e32 v67, v67, v37
	v_mov_b32_e32 v73, v21
	v_fma_mix_f32 v67, v68, v48, -v67 op_sel_hi:[0,1,0]
	v_dot4c_i32_i8_e32 v73, v100, v64
	v_add_f32_e32 v9, v9, v67
	v_lshrrev_b16_e32 v67, 8, v65
	v_dot4c_i32_i8_e32 v73, v101, v63
	v_and_b32_sdwa v63, s36, v66 dst_sel:DWORD dst_unused:UNUSED_PAD src0_sel:DWORD src1_sel:BYTE_0
	v_and_b32_sdwa v64, s36, v65 dst_sel:DWORD dst_unused:UNUSED_PAD src0_sel:DWORD src1_sel:BYTE_0
	v_mov_b32_e32 v65, v21
	v_mul_lo_u32 v63, v73, v63
	v_mul_lo_u32 v64, v69, v64
	v_dot4c_i32_i8_e32 v65, v71, v62
	v_lshrrev_b16_e32 v68, 8, v66
	v_cvt_f32_i32_e32 v63, v63
	v_cvt_f32_i32_e32 v64, v64
	v_dot4c_i32_i8_e32 v65, v102, v61
	v_mul_lo_u32 v62, v72, v67
	v_cvt_f32_i32_e32 v62, v62
	v_fma_mix_f32 v63, v59, v63, 0 op_sel_hi:[1,0,0]
	v_mul_lo_u32 v61, v65, v68
	v_cvt_f32_i32_e32 v61, v61
	v_fma_mix_f32 v59, v59, v64, 0 op_sel_hi:[1,0,0]
	v_add_u32_e32 v23, 4, v23
	v_fma_mix_f32 v59, v60, v62, v59 op_sel_hi:[1,0,0]
	v_fma_mix_f32 v61, v60, v61, v63 op_sel_hi:[1,0,0]
	v_mul_f32_e32 v59, v59, v70
	v_fma_mix_f32 v59, v61, v45, -v59 op_sel_hi:[0,1,0]
	v_mov_b32_e32 v63, v21
	v_add_f32_e32 v8, v8, v59
	v_mov_b32_e32 v59, v21
	v_dot4c_i32_i8_e32 v63, v103, v54
	v_dot4c_i32_i8_e32 v59, 0x1010101, v54
	v_mov_b32_e32 v60, v21
	v_lshrrev_b16_e32 v62, 8, v58
	v_dot4c_i32_i8_e32 v63, v106, v53
	v_and_b32_sdwa v58, s36, v58 dst_sel:DWORD dst_unused:UNUSED_PAD src0_sel:DWORD src1_sel:BYTE_0
	v_dot4c_i32_i8_e32 v59, 0x1010101, v53
	v_dot4c_i32_i8_e32 v60, 0x1010101, v52
	v_lshrrev_b16_e32 v61, 8, v57
	v_mul_lo_u32 v58, v63, v58
	v_and_b32_sdwa v57, s36, v57 dst_sel:DWORD dst_unused:UNUSED_PAD src0_sel:DWORD src1_sel:BYTE_0
	v_mov_b32_e32 v63, v21
	v_dot4c_i32_i8_e32 v60, 0x1010101, v51
	v_mul_lo_u32 v57, v59, v57
	v_dot4c_i32_i8_e32 v63, v76, v52
	v_cvt_f32_i32_e32 v57, v57
	v_dot4c_i32_i8_e32 v63, v75, v51
	v_mul_lo_u32 v61, v60, v61
	v_cvt_f32_i32_e32 v58, v58
	v_cvt_f32_i32_e32 v61, v61
	v_mul_lo_u32 v62, v63, v62
	v_cvt_f32_i32_e32 v62, v62
	v_fma_mix_f32 v57, v49, v57, 0 op_sel_hi:[1,0,0]
	v_fma_mix_f32 v58, v49, v58, 0 op_sel_hi:[1,0,0]
	;; [unrolled: 1-line block ×4, first 2 shown]
	v_mul_f32_e32 v57, v57, v37
	v_mov_b32_e32 v61, v21
	v_fma_mix_f32 v57, v58, v48, -v57 op_sel_hi:[0,1,0]
	v_dot4c_i32_i8_e32 v61, v100, v54
	v_add_f32_e32 v15, v15, v57
	v_lshrrev_b16_e32 v57, 8, v55
	v_dot4c_i32_i8_e32 v61, v101, v53
	v_and_b32_sdwa v53, s36, v56 dst_sel:DWORD dst_unused:UNUSED_PAD src0_sel:DWORD src1_sel:BYTE_0
	v_and_b32_sdwa v54, s36, v55 dst_sel:DWORD dst_unused:UNUSED_PAD src0_sel:DWORD src1_sel:BYTE_0
	v_mov_b32_e32 v55, v21
	v_mul_lo_u32 v53, v61, v53
	v_mul_lo_u32 v54, v59, v54
	v_dot4c_i32_i8_e32 v55, v71, v52
	v_lshrrev_b16_e32 v58, 8, v56
	v_cvt_f32_i32_e32 v53, v53
	v_cvt_f32_i32_e32 v54, v54
	v_dot4c_i32_i8_e32 v55, v102, v51
	v_mul_lo_u32 v52, v60, v57
	v_cvt_f32_i32_e32 v52, v52
	v_fma_mix_f32 v53, v49, v53, 0 op_sel_hi:[1,0,0]
	v_mul_lo_u32 v51, v55, v58
	v_cvt_f32_i32_e32 v51, v51
	v_fma_mix_f32 v49, v49, v54, 0 op_sel_hi:[1,0,0]
	v_bfe_u32 v54, v47, 16, 8
	v_fma_mix_f32 v49, v50, v52, v49 op_sel_hi:[1,0,0]
	v_fma_mix_f32 v51, v50, v51, v53 op_sel_hi:[1,0,0]
	v_mul_f32_e32 v49, v49, v70
	v_fma_mix_f32 v49, v51, v45, -v49 op_sel_hi:[0,1,0]
	v_mov_b32_e32 v53, v21
	v_add_f32_e32 v14, v14, v49
	v_mov_b32_e32 v49, v21
	v_dot4c_i32_i8_e32 v53, v103, v44
	v_dot4c_i32_i8_e32 v49, 0x1010101, v44
	v_mov_b32_e32 v50, v21
	v_dot4c_i32_i8_e32 v53, v106, v43
	v_dot4c_i32_i8_e32 v49, 0x1010101, v43
	v_dot4c_i32_i8_e32 v50, 0x1010101, v42
	v_lshrrev_b16_e32 v51, 8, v47
	v_lshrrev_b32_e32 v52, 24, v47
	v_mul_lo_u32 v53, v53, v54
	v_and_b32_e32 v47, 0xff, v47
	v_mov_b32_e32 v54, v21
	v_dot4c_i32_i8_e32 v50, 0x1010101, v41
	v_mul_lo_u32 v47, v49, v47
	v_dot4c_i32_i8_e32 v54, v76, v42
	v_cvt_f32_i32_e32 v47, v47
	v_dot4c_i32_i8_e32 v54, v75, v41
	v_mul_lo_u32 v51, v50, v51
	v_cvt_f32_i32_e32 v53, v53
	v_cvt_f32_i32_e32 v51, v51
	v_mul_lo_u32 v52, v54, v52
	v_cvt_f32_i32_e32 v52, v52
	v_fma_mix_f32 v47, v39, v47, 0 op_sel_hi:[1,0,0]
	v_fma_mix_f32 v53, v39, v53, 0 op_sel_hi:[1,0,0]
	;; [unrolled: 1-line block ×4, first 2 shown]
	v_mul_f32_e32 v47, v47, v37
	v_mov_b32_e32 v51, v21
	v_fma_mix_f32 v47, v52, v48, -v47 op_sel_hi:[0,1,0]
	v_dot4c_i32_i8_e32 v51, v100, v44
	v_add_f32_e32 v13, v13, v47
	v_lshrrev_b16_e32 v47, 8, v46
	v_lshrrev_b32_e32 v48, 24, v46
	v_dot4c_i32_i8_e32 v51, v101, v43
	v_bfe_u32 v43, v46, 16, 8
	v_and_b32_e32 v44, 0xff, v46
	v_mov_b32_e32 v46, v21
	v_dot4c_i32_i8_e32 v46, v71, v42
	v_mul_lo_u32 v43, v51, v43
	v_dot4c_i32_i8_e32 v46, v102, v41
	v_cvt_f32_i32_e32 v43, v43
	v_mul_lo_u32 v44, v49, v44
	v_cvt_f32_i32_e32 v44, v44
	v_mul_lo_u32 v41, v46, v48
	v_cvt_f32_i32_e32 v41, v41
	v_mul_lo_u32 v42, v50, v47
	v_cvt_f32_i32_e32 v42, v42
	v_fma_mix_f32 v43, v39, v43, 0 op_sel_hi:[1,0,0]
	v_fma_mix_f32 v39, v39, v44, 0 op_sel_hi:[1,0,0]
	;; [unrolled: 1-line block ×3, first 2 shown]
	v_mov_b32_e32 v41, v21
	v_fma_mix_f32 v39, v40, v42, v39 op_sel_hi:[1,0,0]
	v_pk_lshrrev_b16 v40, 8, v33 op_sel_hi:[0,1]
	v_dot4c_i32_i8_e32 v41, v103, v92
	v_and_b32_e32 v33, 0xff00ff, v33
	v_mov_b32_e32 v42, v21
	v_dot4c_i32_i8_e32 v41, v106, v91
	v_dot4c_i32_i8_e32 v42, v76, v89
	v_lshrrev_b32_e32 v43, 16, v40
	v_and_b32_e32 v46, 0xff, v40
	v_lshrrev_b32_e32 v40, 16, v33
	v_and_b32_e32 v33, 0xff, v33
	v_dot4c_i32_i8_e32 v42, v75, v88
	v_mul_lo_u32 v33, v41, v33
	v_mul_lo_u32 v40, v83, v40
	v_cvt_f32_i32_e32 v41, v40
	v_cvt_f32_i32_e32 v40, v33
	v_mul_lo_u32 v33, v42, v46
	v_mul_lo_u32 v35, v35, v43
	v_cvt_f32_i32_e32 v43, v35
	v_cvt_f32_i32_e32 v42, v33
	v_mul_f32_e32 v39, v39, v70
	v_fma_mix_f32 v33, v44, v45, -v39 op_sel_hi:[0,1,0]
	v_pk_fma_f32 v[34:35], v[34:35], v[40:41], 0 op_sel_hi:[0,1,0]
	v_add_f32_e32 v12, v12, v33
	v_pk_fma_f32 v[32:33], v[32:33], v[42:43], v[34:35] op_sel_hi:[0,1,1]
	v_pk_mul_f32 v[32:33], v[32:33], v[36:37]
	v_cmp_le_u32_e64 s[6:7], s5, v23
	v_sub_f32_e32 v32, v32, v33
	v_add_f32_e32 v3, v3, v32
	v_lshl_add_u64 v[28:29], v[28:29], 0, s[16:17]
	s_or_b64 s[12:13], s[6:7], s[12:13]
	v_add_u32_e32 v38, 32, v38
	s_andn2_b64 exec, exec, s[12:13]
	s_cbranch_execz .LBB131_63
.LBB131_3:                              ; =>This Inner Loop Header: Depth=1
	v_lshl_add_u64 v[32:33], v[28:29], 0, v[24:25]
	global_load_dword v39, v[28:29], off offset:-36
	global_load_dword v40, v[28:29], off
	global_load_dword v44, v[32:33], off offset:-32
	global_load_dword v43, v[32:33], off offset:-16
	global_load_dword v42, v[32:33], off offset:4
	global_load_dword v41, v[32:33], off offset:20
	v_add_u32_e32 v32, s11, v23
	v_mad_i64_i32 v[34:35], s[6:7], v32, s28, v[30:31]
	v_lshl_add_u64 v[32:33], v[34:35], 0, v[18:19]
	v_lshl_add_u64 v[32:33], v[32:33], 0, v[24:25]
	global_load_dword v71, v[32:33], off offset:16
	global_load_dword v70, v[32:33], off offset:32
	v_lshl_add_u64 v[32:33], v[34:35], 0, v[20:21]
                                        ; implicit-def: $vgpr46
                                        ; implicit-def: $vgpr88
                                        ; implicit-def: $vgpr89
	s_and_saveexec_b64 s[6:7], vcc
	s_xor_b64 s[6:7], exec, s[6:7]
	s_cbranch_execz .LBB131_5
; %bb.4:                                ;   in Loop: Header=BB131_3 Depth=1
	global_load_ushort v88, v[32:33], off offset:8
	global_load_ushort v89, v[32:33], off offset:4
	global_load_ushort v36, v[32:33], off
	s_waitcnt vmcnt(1)
	v_lshrrev_b16_e32 v37, 2, v89
	s_waitcnt vmcnt(0)
	v_perm_b32 v36, v36, v88, s29
	v_perm_b32 v37, v88, v37, s29
	v_pk_lshrrev_b16 v36, s30, v36
	v_and_b32_e32 v37, 0xf0f3030, v37
	v_and_or_b32 v46, v36, s31, v37
.LBB131_5:                              ;   in Loop: Header=BB131_3 Depth=1
	s_andn2_saveexec_b64 s[6:7], s[6:7]
	s_cbranch_execz .LBB131_7
; %bb.6:                                ;   in Loop: Header=BB131_3 Depth=1
	global_load_ushort v89, v[32:33], off offset:4
	global_load_ushort v88, v[32:33], off offset:8
	s_waitcnt vmcnt(0)
	v_perm_b32 v36, v89, v88, s29
	v_and_b32_e32 v46, 0x3f3f3f3f, v36
.LBB131_7:                              ;   in Loop: Header=BB131_3 Depth=1
	s_or_b64 exec, exec, s[6:7]
	v_add_u32_e32 v45, s8, v23
	v_mov_b64_e32 v[36:37], s[20:21]
	v_mad_i64_i32 v[36:37], s[6:7], v45, s28, v[36:37]
	v_lshl_add_u64 v[48:49], v[36:37], 0, v[18:19]
	v_lshl_add_u64 v[48:49], v[48:49], 0, v[24:25]
	global_load_dword v45, v[34:35], off
	global_load_dword v76, v[48:49], off offset:16
	global_load_dword v75, v[48:49], off offset:32
	v_lshl_add_u64 v[34:35], v[36:37], 0, v[20:21]
                                        ; implicit-def: $vgpr83
                                        ; implicit-def: $vgpr47
	s_and_saveexec_b64 s[6:7], vcc
	s_xor_b64 s[6:7], exec, s[6:7]
	s_cbranch_execz .LBB131_9
; %bb.8:                                ;   in Loop: Header=BB131_3 Depth=1
	global_load_ushort v48, v[34:35], off offset:8
	global_load_ushort v49, v[34:35], off offset:4
	global_load_ushort v47, v[34:35], off
	s_waitcnt vmcnt(1)
	v_lshrrev_b16_e32 v50, 2, v49
	s_waitcnt vmcnt(0)
	v_perm_b32 v47, v47, v48, s29
	v_perm_b32 v50, v48, v50, s29
	v_pk_lshrrev_b16 v47, s30, v47
	v_and_b32_e32 v50, 0xf0f3030, v50
	v_and_or_b32 v47, v47, s31, v50
	v_perm_b32 v83, v48, v49, s29
.LBB131_9:                              ;   in Loop: Header=BB131_3 Depth=1
	s_andn2_saveexec_b64 s[6:7], s[6:7]
	s_cbranch_execz .LBB131_11
; %bb.10:                               ;   in Loop: Header=BB131_3 Depth=1
	global_load_ushort v48, v[34:35], off offset:4
	global_load_ushort v49, v[34:35], off offset:8
	s_waitcnt vmcnt(0)
	v_perm_b32 v47, v48, v49, s29
	v_and_b32_e32 v47, 0x3f3f3f3f, v47
	v_perm_b32 v83, v49, v48, s29
.LBB131_11:                             ;   in Loop: Header=BB131_3 Depth=1
	s_or_b64 exec, exec, s[6:7]
	global_load_dword v48, v[36:37], off
	v_add_u32_e32 v36, s9, v38
	v_mad_u64_u32 v[56:57], s[6:7], v36, 36, v[26:27]
	v_lshlrev_b32_e32 v36, 2, v22
	v_mov_b32_e32 v37, v21
	v_lshl_add_u64 v[58:59], v[56:57], 0, v[36:37]
	global_load_dword v49, v[56:57], off
	global_load_dword v53, v[58:59], off offset:20
	global_load_dword v52, v[58:59], off offset:40
	;; [unrolled: 1-line block ×5, first 2 shown]
	v_lshrrev_b16_e32 v37, 4, v88
	v_lshrrev_b16_e32 v55, 2, v89
	v_and_b32_e32 v100, 0xf0f, v88
	v_and_b32_e32 v101, 0xf0f, v37
	;; [unrolled: 1-line block ×3, first 2 shown]
                                        ; implicit-def: $vgpr56
                                        ; implicit-def: $vgpr55
	s_and_saveexec_b64 s[6:7], vcc
	s_xor_b64 s[6:7], exec, s[6:7]
	s_cbranch_execz .LBB131_13
; %bb.12:                               ;   in Loop: Header=BB131_3 Depth=1
	global_load_ushort v37, v[32:33], off
	v_or_b32_e32 v55, v102, v101
	s_waitcnt vmcnt(0)
	v_lshrrev_b16_e32 v37, 2, v37
	v_and_b32_e32 v37, 0x3030, v37
	v_or_b32_e32 v56, v37, v100
.LBB131_13:                             ;   in Loop: Header=BB131_3 Depth=1
	s_or_saveexec_b64 s[6:7], s[6:7]
	v_and_b32_e32 v84, 0x3f3f, v89
	v_and_b32_e32 v86, 0x3f3f, v88
	s_xor_b64 exec, exec, s[6:7]
; %bb.14:                               ;   in Loop: Header=BB131_3 Depth=1
	v_and_b32_e32 v56, 0x3f3f, v89
	v_and_b32_e32 v55, 0x3f3f, v88
; %bb.15:                               ;   in Loop: Header=BB131_3 Depth=1
	s_or_b64 exec, exec, s[6:7]
	v_lshrrev_b32_e32 v103, 20, v83
	v_and_b32_sdwa v91, v83, s33 dst_sel:DWORD dst_unused:UNUSED_PAD src0_sel:WORD_1 src1_sel:DWORD
	v_and_b32_e32 v92, 0xf0f, v103
	v_lshrrev_b16_e32 v106, 2, v83
                                        ; implicit-def: $vgpr58
                                        ; implicit-def: $vgpr57
	s_and_saveexec_b64 s[6:7], vcc
	s_xor_b64 s[6:7], exec, s[6:7]
	s_cbranch_execz .LBB131_17
; %bb.16:                               ;   in Loop: Header=BB131_3 Depth=1
	global_load_ushort v37, v[34:35], off
	v_and_b32_e32 v57, 0x3030, v106
	v_or_b32_e32 v57, v57, v92
	s_waitcnt vmcnt(0)
	v_lshrrev_b16_e32 v37, 2, v37
	v_and_b32_e32 v37, 0x3030, v37
	v_or_b32_e32 v58, v37, v91
.LBB131_17:                             ;   in Loop: Header=BB131_3 Depth=1
	s_or_saveexec_b64 s[6:7], s[6:7]
	v_and_b32_e32 v85, 0x3f3f, v83
	v_and_b32_sdwa v87, v83, s34 dst_sel:DWORD dst_unused:UNUSED_PAD src0_sel:WORD_1 src1_sel:DWORD
	s_xor_b64 exec, exec, s[6:7]
; %bb.18:                               ;   in Loop: Header=BB131_3 Depth=1
	v_and_b32_e32 v58, 0x3f3f, v83
	v_and_b32_sdwa v57, v83, s34 dst_sel:DWORD dst_unused:UNUSED_PAD src0_sel:WORD_1 src1_sel:DWORD
; %bb.19:                               ;   in Loop: Header=BB131_3 Depth=1
	s_or_b64 exec, exec, s[6:7]
	v_add_u32_e32 v37, s15, v38
	v_mad_u64_u32 v[66:67], s[6:7], v37, 36, v[26:27]
	v_mov_b32_e32 v37, v21
	v_lshl_add_u64 v[68:69], v[66:67], 0, v[36:37]
	global_load_dword v59, v[66:67], off
	global_load_dword v63, v[68:69], off offset:20
	global_load_dword v62, v[68:69], off offset:40
	;; [unrolled: 1-line block ×5, first 2 shown]
                                        ; implicit-def: $vgpr66
                                        ; implicit-def: $vgpr65
	s_and_saveexec_b64 s[6:7], vcc
	s_xor_b64 s[6:7], exec, s[6:7]
	s_cbranch_execz .LBB131_21
; %bb.20:                               ;   in Loop: Header=BB131_3 Depth=1
	global_load_ushort v37, v[32:33], off
	v_or_b32_e32 v65, v102, v101
	s_waitcnt vmcnt(0)
	v_lshrrev_b16_e32 v37, 2, v37
	v_and_b32_e32 v37, 0x3030, v37
	v_or_b32_e32 v66, v37, v100
	s_andn2_saveexec_b64 s[6:7], s[6:7]
	s_branch .LBB131_22
.LBB131_21:                             ;   in Loop: Header=BB131_3 Depth=1
	s_andn2_saveexec_b64 s[6:7], s[6:7]
.LBB131_22:                             ;   in Loop: Header=BB131_3 Depth=1
	v_and_b32_e32 v66, 0x3f3f, v89
	v_and_b32_e32 v65, 0x3f3f, v88
; %bb.23:                               ;   in Loop: Header=BB131_3 Depth=1
	s_or_b64 exec, exec, s[6:7]
                                        ; implicit-def: $vgpr68
                                        ; implicit-def: $vgpr67
	s_and_saveexec_b64 s[6:7], vcc
	s_xor_b64 s[6:7], exec, s[6:7]
	s_cbranch_execz .LBB131_25
; %bb.24:                               ;   in Loop: Header=BB131_3 Depth=1
	global_load_ushort v37, v[34:35], off
	v_and_b32_e32 v67, 0x3030, v106
	v_or_b32_e32 v67, v67, v92
	s_waitcnt vmcnt(0)
	v_lshrrev_b16_e32 v37, 2, v37
	v_and_b32_e32 v37, 0x3030, v37
	v_or_b32_e32 v68, v37, v91
	s_andn2_saveexec_b64 s[6:7], s[6:7]
	s_cbranch_execnz .LBB131_26
	s_branch .LBB131_27
.LBB131_25:                             ;   in Loop: Header=BB131_3 Depth=1
	s_andn2_saveexec_b64 s[6:7], s[6:7]
.LBB131_26:                             ;   in Loop: Header=BB131_3 Depth=1
	v_and_b32_e32 v68, 0x3f3f, v83
	v_and_b32_sdwa v67, v83, s34 dst_sel:DWORD dst_unused:UNUSED_PAD src0_sel:WORD_1 src1_sel:DWORD
.LBB131_27:                             ;   in Loop: Header=BB131_3 Depth=1
	s_or_b64 exec, exec, s[6:7]
	v_add_u32_e32 v37, s19, v38
	v_mad_u64_u32 v[80:81], s[6:7], v37, 36, v[26:27]
	v_mov_b32_e32 v37, v21
	v_lshl_add_u64 v[94:95], v[80:81], 0, v[36:37]
	global_load_dword v69, v[80:81], off
	global_load_dword v77, v[94:95], off offset:20
	global_load_dword v74, v[94:95], off offset:40
	;; [unrolled: 1-line block ×5, first 2 shown]
                                        ; implicit-def: $vgpr80
                                        ; implicit-def: $vgpr79
	s_and_saveexec_b64 s[6:7], vcc
	s_xor_b64 s[6:7], exec, s[6:7]
	s_cbranch_execz .LBB131_29
; %bb.28:                               ;   in Loop: Header=BB131_3 Depth=1
	global_load_ushort v37, v[32:33], off
	v_or_b32_e32 v79, v102, v101
	s_waitcnt vmcnt(0)
	v_lshrrev_b16_e32 v37, 2, v37
	v_and_b32_e32 v37, 0x3030, v37
	v_or_b32_e32 v80, v37, v100
	s_andn2_saveexec_b64 s[6:7], s[6:7]
	s_branch .LBB131_30
.LBB131_29:                             ;   in Loop: Header=BB131_3 Depth=1
	s_andn2_saveexec_b64 s[6:7], s[6:7]
.LBB131_30:                             ;   in Loop: Header=BB131_3 Depth=1
	v_and_b32_e32 v80, 0x3f3f, v89
	v_and_b32_e32 v79, 0x3f3f, v88
; %bb.31:                               ;   in Loop: Header=BB131_3 Depth=1
	s_or_b64 exec, exec, s[6:7]
                                        ; implicit-def: $vgpr82
                                        ; implicit-def: $vgpr81
	s_and_saveexec_b64 s[6:7], vcc
	s_xor_b64 s[6:7], exec, s[6:7]
	s_cbranch_execz .LBB131_33
; %bb.32:                               ;   in Loop: Header=BB131_3 Depth=1
	global_load_ushort v37, v[34:35], off
	v_and_b32_e32 v81, 0x3030, v106
	v_or_b32_e32 v81, v81, v92
	s_waitcnt vmcnt(0)
	v_lshrrev_b16_e32 v37, 2, v37
	v_and_b32_e32 v37, 0x3030, v37
	v_or_b32_e32 v82, v37, v91
	s_andn2_saveexec_b64 s[6:7], s[6:7]
	s_cbranch_execnz .LBB131_34
	s_branch .LBB131_35
.LBB131_33:                             ;   in Loop: Header=BB131_3 Depth=1
	s_andn2_saveexec_b64 s[6:7], s[6:7]
.LBB131_34:                             ;   in Loop: Header=BB131_3 Depth=1
	v_and_b32_e32 v82, 0x3f3f, v83
	v_and_b32_sdwa v81, v83, s34 dst_sel:DWORD dst_unused:UNUSED_PAD src0_sel:WORD_1 src1_sel:DWORD
.LBB131_35:                             ;   in Loop: Header=BB131_3 Depth=1
	s_or_b64 exec, exec, s[6:7]
	v_add_u32_e32 v37, s22, v38
	v_mad_u64_u32 v[98:99], s[6:7], v37, 36, v[26:27]
	v_mov_b32_e32 v37, v21
	v_lshl_add_u64 v[104:105], v[98:99], 0, v[36:37]
	global_load_dword v90, v[98:99], off
	global_load_dword v96, v[104:105], off offset:20
	global_load_dword v95, v[104:105], off offset:40
	;; [unrolled: 1-line block ×5, first 2 shown]
                                        ; implicit-def: $vgpr99
                                        ; implicit-def: $vgpr98
	s_and_saveexec_b64 s[6:7], vcc
	s_xor_b64 s[6:7], exec, s[6:7]
	s_cbranch_execz .LBB131_37
; %bb.36:                               ;   in Loop: Header=BB131_3 Depth=1
	global_load_ushort v37, v[32:33], off
	v_or_b32_e32 v98, v102, v101
	s_waitcnt vmcnt(0)
	v_lshrrev_b16_e32 v37, 2, v37
	v_and_b32_e32 v37, 0x3030, v37
	v_or_b32_e32 v99, v37, v100
	s_andn2_saveexec_b64 s[6:7], s[6:7]
	s_branch .LBB131_38
.LBB131_37:                             ;   in Loop: Header=BB131_3 Depth=1
	s_andn2_saveexec_b64 s[6:7], s[6:7]
.LBB131_38:                             ;   in Loop: Header=BB131_3 Depth=1
	v_and_b32_e32 v99, 0x3f3f, v89
	v_and_b32_e32 v98, 0x3f3f, v88
; %bb.39:                               ;   in Loop: Header=BB131_3 Depth=1
	s_or_b64 exec, exec, s[6:7]
                                        ; implicit-def: $vgpr105
                                        ; implicit-def: $vgpr104
	s_and_saveexec_b64 s[6:7], vcc
	s_xor_b64 s[6:7], exec, s[6:7]
	s_cbranch_execz .LBB131_41
; %bb.40:                               ;   in Loop: Header=BB131_3 Depth=1
	global_load_ushort v37, v[34:35], off
	v_and_b32_e32 v104, 0x3030, v106
	v_or_b32_e32 v104, v104, v92
	s_waitcnt vmcnt(0)
	v_lshrrev_b16_e32 v37, 2, v37
	v_and_b32_e32 v37, 0x3030, v37
	v_or_b32_e32 v105, v37, v91
	s_andn2_saveexec_b64 s[6:7], s[6:7]
	s_cbranch_execnz .LBB131_42
	s_branch .LBB131_43
.LBB131_41:                             ;   in Loop: Header=BB131_3 Depth=1
	s_andn2_saveexec_b64 s[6:7], s[6:7]
.LBB131_42:                             ;   in Loop: Header=BB131_3 Depth=1
	v_and_b32_e32 v105, 0x3f3f, v83
	v_and_b32_sdwa v104, v83, s34 dst_sel:DWORD dst_unused:UNUSED_PAD src0_sel:WORD_1 src1_sel:DWORD
.LBB131_43:                             ;   in Loop: Header=BB131_3 Depth=1
	s_or_b64 exec, exec, s[6:7]
	v_add_u32_e32 v37, s23, v38
	v_mad_u64_u32 v[114:115], s[6:7], v37, 36, v[26:27]
	v_mov_b32_e32 v37, v21
	v_lshl_add_u64 v[116:117], v[114:115], 0, v[36:37]
	global_load_dword v107, v[114:115], off
	global_load_dword v111, v[116:117], off offset:20
	global_load_dword v110, v[116:117], off offset:40
	;; [unrolled: 1-line block ×5, first 2 shown]
                                        ; implicit-def: $vgpr114
                                        ; implicit-def: $vgpr113
	s_and_saveexec_b64 s[6:7], vcc
	s_xor_b64 s[6:7], exec, s[6:7]
	s_cbranch_execz .LBB131_45
; %bb.44:                               ;   in Loop: Header=BB131_3 Depth=1
	global_load_ushort v37, v[32:33], off
	v_or_b32_e32 v113, v102, v101
	s_waitcnt vmcnt(0)
	v_lshrrev_b16_e32 v37, 2, v37
	v_and_b32_e32 v37, 0x3030, v37
	v_or_b32_e32 v114, v37, v100
	s_andn2_saveexec_b64 s[6:7], s[6:7]
	s_branch .LBB131_46
.LBB131_45:                             ;   in Loop: Header=BB131_3 Depth=1
	s_andn2_saveexec_b64 s[6:7], s[6:7]
.LBB131_46:                             ;   in Loop: Header=BB131_3 Depth=1
	v_and_b32_e32 v114, 0x3f3f, v89
	v_and_b32_e32 v113, 0x3f3f, v88
; %bb.47:                               ;   in Loop: Header=BB131_3 Depth=1
	s_or_b64 exec, exec, s[6:7]
                                        ; implicit-def: $vgpr116
                                        ; implicit-def: $vgpr115
	s_and_saveexec_b64 s[6:7], vcc
	s_xor_b64 s[6:7], exec, s[6:7]
	s_cbranch_execz .LBB131_49
; %bb.48:                               ;   in Loop: Header=BB131_3 Depth=1
	global_load_ushort v37, v[34:35], off
	v_and_b32_e32 v115, 0x3030, v106
	v_or_b32_e32 v115, v115, v92
	s_waitcnt vmcnt(0)
	v_lshrrev_b16_e32 v37, 2, v37
	v_and_b32_e32 v37, 0x3030, v37
	v_or_b32_e32 v116, v37, v91
	s_andn2_saveexec_b64 s[6:7], s[6:7]
	s_cbranch_execnz .LBB131_50
	s_branch .LBB131_51
.LBB131_49:                             ;   in Loop: Header=BB131_3 Depth=1
	s_andn2_saveexec_b64 s[6:7], s[6:7]
.LBB131_50:                             ;   in Loop: Header=BB131_3 Depth=1
	v_and_b32_e32 v116, 0x3f3f, v83
	v_and_b32_sdwa v115, v83, s34 dst_sel:DWORD dst_unused:UNUSED_PAD src0_sel:WORD_1 src1_sel:DWORD
.LBB131_51:                             ;   in Loop: Header=BB131_3 Depth=1
	s_or_b64 exec, exec, s[6:7]
	v_add_u32_e32 v37, s26, v38
	v_mad_u64_u32 v[124:125], s[6:7], v37, 36, v[26:27]
	v_mov_b32_e32 v37, v21
	v_lshl_add_u64 v[126:127], v[124:125], 0, v[36:37]
	global_load_dword v117, v[124:125], off
	global_load_dword v121, v[126:127], off offset:20
	global_load_dword v120, v[126:127], off offset:40
	;; [unrolled: 1-line block ×5, first 2 shown]
                                        ; implicit-def: $vgpr124
                                        ; implicit-def: $vgpr123
	s_and_saveexec_b64 s[6:7], vcc
	s_xor_b64 s[6:7], exec, s[6:7]
	s_cbranch_execz .LBB131_61
; %bb.52:                               ;   in Loop: Header=BB131_3 Depth=1
	global_load_ushort v37, v[32:33], off
	v_or_b32_e32 v123, v102, v101
                                        ; implicit-def: $vgpr89
                                        ; implicit-def: $vgpr88
	s_waitcnt vmcnt(0)
	v_lshrrev_b16_e32 v37, 2, v37
	v_and_b32_e32 v37, 0x3030, v37
	v_or_b32_e32 v124, v37, v100
	s_andn2_saveexec_b64 s[6:7], s[6:7]
	s_cbranch_execnz .LBB131_62
.LBB131_53:                             ;   in Loop: Header=BB131_3 Depth=1
	s_or_b64 exec, exec, s[6:7]
	s_and_saveexec_b64 s[6:7], vcc
	s_xor_b64 s[6:7], exec, s[6:7]
	s_cbranch_execz .LBB131_55
.LBB131_54:                             ;   in Loop: Header=BB131_3 Depth=1
	global_load_ushort v37, v[34:35], off
	v_and_b32_e32 v87, 0x3030, v106
	v_or_b32_e32 v87, v87, v92
	s_waitcnt vmcnt(0)
	v_lshrrev_b16_e32 v37, 2, v37
	v_and_b32_e32 v37, 0x3030, v37
	v_or_b32_e32 v85, v37, v91
.LBB131_55:                             ;   in Loop: Header=BB131_3 Depth=1
	s_andn2_saveexec_b64 s[6:7], s[6:7]
	s_or_b64 exec, exec, s[6:7]
	v_add_u32_e32 v37, s27, v38
	v_mad_u64_u32 v[126:127], s[6:7], v37, 36, v[26:27]
	v_mov_b32_e32 v37, v21
	v_lshl_add_u64 v[128:129], v[126:127], 0, v[36:37]
	global_load_dword v106, v[126:127], off
	global_load_dword v91, v[128:129], off offset:20
	global_load_dword v89, v[128:129], off offset:40
	global_load_dword v88, v[128:129], off offset:56
	global_load_dword v92, v[128:129], off offset:4
	global_load_dword v36, v[126:127], off offset:36
	s_and_saveexec_b64 s[6:7], vcc
	s_xor_b64 s[6:7], exec, s[6:7]
	s_cbranch_execz .LBB131_57
; %bb.56:                               ;   in Loop: Header=BB131_3 Depth=1
	global_load_ushort v32, v[32:33], off
	v_or_b32_e32 v86, v102, v101
	s_waitcnt vmcnt(0)
	v_lshrrev_b16_e32 v32, 2, v32
	v_and_b32_e32 v32, 0x3030, v32
	v_or_b32_e32 v84, v32, v100
.LBB131_57:                             ;   in Loop: Header=BB131_3 Depth=1
	s_andn2_saveexec_b64 s[6:7], s[6:7]
	s_or_b64 exec, exec, s[6:7]
                                        ; implicit-def: $vgpr33
	s_and_saveexec_b64 s[6:7], vcc
	s_xor_b64 s[6:7], exec, s[6:7]
	s_cbranch_execz .LBB131_59
; %bb.58:                               ;   in Loop: Header=BB131_3 Depth=1
	global_load_ushort v32, v[34:35], off
	v_alignbit_b32 v33, v103, v83, 16
	v_and_b32_e32 v33, 0xf0f0f0f, v33
	s_waitcnt vmcnt(0)
	v_perm_b32 v32, v83, v32, s29
	v_pk_lshrrev_b16 v32, 2, v32 op_sel_hi:[0,1]
	v_and_or_b32 v33, v32, s35, v33
                                        ; implicit-def: $vgpr83
.LBB131_59:                             ;   in Loop: Header=BB131_3 Depth=1
	s_andn2_saveexec_b64 s[6:7], s[6:7]
	s_cbranch_execz .LBB131_2
; %bb.60:                               ;   in Loop: Header=BB131_3 Depth=1
	v_and_b32_e32 v33, 0x3f3f3f3f, v83
	s_branch .LBB131_2
.LBB131_61:                             ;   in Loop: Header=BB131_3 Depth=1
	s_andn2_saveexec_b64 s[6:7], s[6:7]
	s_cbranch_execz .LBB131_53
.LBB131_62:                             ;   in Loop: Header=BB131_3 Depth=1
	v_and_b32_e32 v124, 0x3f3f, v89
	v_and_b32_e32 v123, 0x3f3f, v88
	s_or_b64 exec, exec, s[6:7]
	s_and_saveexec_b64 s[6:7], vcc
	s_xor_b64 s[6:7], exec, s[6:7]
	s_cbranch_execnz .LBB131_54
	s_branch .LBB131_55
.LBB131_63:
	s_or_b64 exec, exec, s[12:13]
	scratch_store_dwordx4 off, v[12:15], off
	scratch_store_dwordx4 off, v[8:11], off offset:16
	scratch_store_dwordx4 off, v[4:7], off offset:32
	;; [unrolled: 1-line block ×3, first 2 shown]
.LBB131_64:
	s_or_b64 exec, exec, s[24:25]
	s_mov_b32 s5, 0
	v_cmp_eq_u32_e32 vcc, 0, v17
	s_waitcnt lgkmcnt(0)
	; wave barrier
	s_and_saveexec_b64 s[6:7], vcc
	s_cbranch_execz .LBB131_81
; %bb.65:
	scratch_load_dwordx2 v[2:3], off, off
	v_mbcnt_lo_u32_b32 v0, -1, 0
	v_mbcnt_hi_u32_b32 v12, -1, v0
	s_load_dwordx2 s[6:7], s[0:1], 0x38
	s_mul_i32 s0, s3, s14
	v_or_b32_e32 v1, s2, v16
	v_and_b32_e32 v0, 64, v12
	s_mul_i32 s4, s4, s18
	s_add_i32 s2, s0, s2
	v_cmp_gt_u32_e64 s[0:1], s10, v1
	v_xor_b32_e32 v1, 32, v12
	v_add_u32_e32 v13, 64, v0
	s_add_i32 s4, s2, s4
	v_cmp_lt_i32_e64 s[2:3], v1, v13
	v_cmp_gt_u32_e32 vcc, 2, v16
	s_nop 0
	v_cndmask_b32_e64 v0, v12, v1, s[2:3]
	v_lshlrev_b32_e32 v0, 2, v0
	v_xor_b32_e32 v1, 16, v12
	v_cmp_lt_i32_e64 s[2:3], v1, v13
	s_waitcnt vmcnt(0)
	ds_bpermute_b32 v4, v0, v2
	ds_bpermute_b32 v5, v0, v3
	v_cndmask_b32_e64 v1, v12, v1, s[2:3]
	v_lshlrev_b32_e32 v1, 2, v1
	s_waitcnt lgkmcnt(0)
	v_pk_add_f32 v[4:5], v[2:3], v[4:5]
	ds_bpermute_b32 v6, v1, v4
	ds_bpermute_b32 v7, v1, v5
	v_xor_b32_e32 v2, 8, v12
	v_cmp_lt_i32_e64 s[2:3], v2, v13
	v_xor_b32_e32 v3, 4, v12
	s_waitcnt lgkmcnt(0)
	v_pk_add_f32 v[4:5], v[4:5], v[6:7]
	v_cndmask_b32_e64 v2, v12, v2, s[2:3]
	v_lshlrev_b32_e32 v2, 2, v2
	ds_bpermute_b32 v6, v2, v4
	ds_bpermute_b32 v7, v2, v5
	v_cmp_lt_i32_e64 s[2:3], v3, v13
	s_waitcnt lgkmcnt(0)
	v_pk_add_f32 v[6:7], v[4:5], v[6:7]
	v_cndmask_b32_e64 v3, v12, v3, s[2:3]
	v_lshlrev_b32_e32 v3, 2, v3
	ds_bpermute_b32 v8, v3, v6
	ds_bpermute_b32 v9, v3, v7
	v_xor_b32_e32 v4, 2, v12
	v_cmp_lt_i32_e64 s[2:3], v4, v13
	v_xor_b32_e32 v5, 1, v12
	s_waitcnt lgkmcnt(0)
	v_pk_add_f32 v[8:9], v[6:7], v[8:9]
	v_cndmask_b32_e64 v4, v12, v4, s[2:3]
	v_lshlrev_b32_e32 v4, 2, v4
	ds_bpermute_b32 v10, v4, v8
	ds_bpermute_b32 v11, v4, v9
	v_cmp_lt_i32_e64 s[2:3], v5, v13
	s_waitcnt lgkmcnt(0)
	v_pk_add_f32 v[8:9], v[8:9], v[10:11]
	v_cndmask_b32_e64 v5, v12, v5, s[2:3]
	v_lshlrev_b32_e32 v6, 2, v5
	ds_bpermute_b32 v10, v6, v8
	ds_bpermute_b32 v11, v6, v9
	s_lshl_b64 s[2:3], s[4:5], 2
	s_add_u32 s2, s6, s2
	s_addc_u32 s3, s7, s3
	s_and_b64 s[0:1], vcc, s[0:1]
	s_waitcnt lgkmcnt(0)
	v_pk_add_f32 v[8:9], v[8:9], v[10:11]
	v_lshlrev_b32_e32 v5, 2, v16
	scratch_store_dwordx2 off, v[8:9], off
	s_and_saveexec_b64 s[4:5], s[0:1]
	s_cbranch_execz .LBB131_67
; %bb.66:
	scratch_load_dword v7, v5, off
	s_waitcnt vmcnt(0)
	global_store_dword v5, v7, s[2:3]
.LBB131_67:
	s_or_b64 exec, exec, s[4:5]
	scratch_load_dwordx2 v[8:9], off, off offset:8
	s_waitcnt vmcnt(0)
	ds_bpermute_b32 v10, v0, v8
	ds_bpermute_b32 v11, v0, v9
	s_waitcnt lgkmcnt(0)
	v_pk_add_f32 v[8:9], v[8:9], v[10:11]
	ds_bpermute_b32 v10, v1, v8
	ds_bpermute_b32 v11, v1, v9
	s_waitcnt lgkmcnt(0)
	v_pk_add_f32 v[8:9], v[8:9], v[10:11]
	;; [unrolled: 4-line block ×6, first 2 shown]
	scratch_store_dwordx2 off, v[8:9], off offset:8
	s_and_saveexec_b64 s[4:5], s[0:1]
	s_cbranch_execz .LBB131_69
; %bb.68:
	scratch_load_dword v7, v5, off offset:8
	v_add_u32_e32 v8, s10, v16
	v_mov_b32_e32 v9, 0
	v_lshl_add_u64 v[8:9], v[8:9], 2, s[2:3]
	s_waitcnt vmcnt(0)
	global_store_dword v[8:9], v7, off
.LBB131_69:
	s_or_b64 exec, exec, s[4:5]
	scratch_load_dwordx2 v[8:9], off, off offset:16
	s_waitcnt vmcnt(0)
	ds_bpermute_b32 v10, v0, v8
	ds_bpermute_b32 v11, v0, v9
	s_waitcnt lgkmcnt(0)
	v_pk_add_f32 v[8:9], v[8:9], v[10:11]
	ds_bpermute_b32 v10, v1, v8
	ds_bpermute_b32 v11, v1, v9
	s_waitcnt lgkmcnt(0)
	v_pk_add_f32 v[8:9], v[8:9], v[10:11]
	;; [unrolled: 4-line block ×6, first 2 shown]
	scratch_store_dwordx2 off, v[8:9], off offset:16
	s_and_saveexec_b64 s[4:5], s[0:1]
	s_cbranch_execz .LBB131_71
; %bb.70:
	scratch_load_dword v7, v5, off offset:16
	v_lshl_or_b32 v8, s10, 1, v16
	v_mov_b32_e32 v9, 0
	v_lshl_add_u64 v[8:9], v[8:9], 2, s[2:3]
	s_waitcnt vmcnt(0)
	global_store_dword v[8:9], v7, off
.LBB131_71:
	s_or_b64 exec, exec, s[4:5]
	scratch_load_dwordx2 v[8:9], off, off offset:24
	s_waitcnt vmcnt(0)
	ds_bpermute_b32 v10, v0, v8
	ds_bpermute_b32 v11, v0, v9
	s_waitcnt lgkmcnt(0)
	v_pk_add_f32 v[8:9], v[8:9], v[10:11]
	ds_bpermute_b32 v10, v1, v8
	ds_bpermute_b32 v11, v1, v9
	s_waitcnt lgkmcnt(0)
	v_pk_add_f32 v[8:9], v[8:9], v[10:11]
	;; [unrolled: 4-line block ×6, first 2 shown]
	scratch_store_dwordx2 off, v[8:9], off offset:24
	s_and_saveexec_b64 s[4:5], s[0:1]
	s_cbranch_execz .LBB131_73
; %bb.72:
	scratch_load_dword v7, v5, off offset:24
	v_mad_u64_u32 v[8:9], s[6:7], s10, 3, v[16:17]
	v_mov_b32_e32 v9, 0
	v_lshl_add_u64 v[8:9], v[8:9], 2, s[2:3]
	s_waitcnt vmcnt(0)
	global_store_dword v[8:9], v7, off
.LBB131_73:
	s_or_b64 exec, exec, s[4:5]
	scratch_load_dwordx2 v[8:9], off, off offset:32
	s_waitcnt vmcnt(0)
	ds_bpermute_b32 v10, v0, v8
	ds_bpermute_b32 v11, v0, v9
	s_waitcnt lgkmcnt(0)
	v_pk_add_f32 v[8:9], v[8:9], v[10:11]
	ds_bpermute_b32 v10, v1, v8
	ds_bpermute_b32 v11, v1, v9
	s_waitcnt lgkmcnt(0)
	v_pk_add_f32 v[8:9], v[8:9], v[10:11]
	;; [unrolled: 4-line block ×6, first 2 shown]
	scratch_store_dwordx2 off, v[8:9], off offset:32
	s_and_saveexec_b64 s[4:5], s[0:1]
	s_cbranch_execz .LBB131_75
; %bb.74:
	scratch_load_dword v7, v5, off offset:32
	v_lshl_or_b32 v8, s10, 2, v16
	v_mov_b32_e32 v9, 0
	v_lshl_add_u64 v[8:9], v[8:9], 2, s[2:3]
	s_waitcnt vmcnt(0)
	global_store_dword v[8:9], v7, off
.LBB131_75:
	s_or_b64 exec, exec, s[4:5]
	scratch_load_dwordx2 v[8:9], off, off offset:40
	s_waitcnt vmcnt(0)
	ds_bpermute_b32 v10, v0, v8
	ds_bpermute_b32 v11, v0, v9
	s_waitcnt lgkmcnt(0)
	v_pk_add_f32 v[8:9], v[8:9], v[10:11]
	ds_bpermute_b32 v10, v1, v8
	ds_bpermute_b32 v11, v1, v9
	s_waitcnt lgkmcnt(0)
	v_pk_add_f32 v[8:9], v[8:9], v[10:11]
	;; [unrolled: 4-line block ×6, first 2 shown]
	scratch_store_dwordx2 off, v[8:9], off offset:40
	s_and_saveexec_b64 s[4:5], s[0:1]
	s_cbranch_execz .LBB131_77
; %bb.76:
	scratch_load_dword v7, v5, off offset:40
	v_mad_u64_u32 v[8:9], s[6:7], s10, 5, v[16:17]
	v_mov_b32_e32 v9, 0
	v_lshl_add_u64 v[8:9], v[8:9], 2, s[2:3]
	s_waitcnt vmcnt(0)
	global_store_dword v[8:9], v7, off
.LBB131_77:
	s_or_b64 exec, exec, s[4:5]
	scratch_load_dwordx2 v[8:9], off, off offset:48
	s_waitcnt vmcnt(0)
	ds_bpermute_b32 v10, v0, v8
	ds_bpermute_b32 v11, v0, v9
	s_waitcnt lgkmcnt(0)
	v_pk_add_f32 v[8:9], v[8:9], v[10:11]
	ds_bpermute_b32 v10, v1, v8
	ds_bpermute_b32 v11, v1, v9
	s_waitcnt lgkmcnt(0)
	v_pk_add_f32 v[8:9], v[8:9], v[10:11]
	;; [unrolled: 4-line block ×6, first 2 shown]
	scratch_store_dwordx2 off, v[8:9], off offset:48
	s_and_saveexec_b64 s[4:5], s[0:1]
	s_cbranch_execz .LBB131_79
; %bb.78:
	scratch_load_dword v7, v5, off offset:48
	s_mul_i32 s6, s10, 6
	v_or_b32_e32 v8, s6, v16
	v_mov_b32_e32 v9, 0
	v_lshl_add_u64 v[8:9], v[8:9], 2, s[2:3]
	s_waitcnt vmcnt(0)
	global_store_dword v[8:9], v7, off
.LBB131_79:
	s_or_b64 exec, exec, s[4:5]
	scratch_load_dwordx2 v[8:9], off, off offset:56
	s_waitcnt vmcnt(0)
	ds_bpermute_b32 v10, v0, v8
	ds_bpermute_b32 v11, v0, v9
	s_waitcnt lgkmcnt(0)
	v_pk_add_f32 v[8:9], v[8:9], v[10:11]
	ds_bpermute_b32 v0, v1, v8
	ds_bpermute_b32 v1, v1, v9
	s_waitcnt lgkmcnt(0)
	v_pk_add_f32 v[0:1], v[8:9], v[0:1]
	;; [unrolled: 4-line block ×6, first 2 shown]
	scratch_store_dwordx2 off, v[0:1], off offset:56
	s_and_b64 exec, exec, s[0:1]
	s_cbranch_execz .LBB131_81
; %bb.80:
	scratch_load_dword v2, v5, off offset:56
	v_mad_u64_u32 v[0:1], s[0:1], s10, 7, v[16:17]
	v_mov_b32_e32 v1, 0
	v_lshl_add_u64 v[0:1], v[0:1], 2, s[2:3]
	s_waitcnt vmcnt(0)
	global_store_dword v[0:1], v2, off
.LBB131_81:
	s_endpgm
	.section	.rodata,"a",@progbits
	.p2align	6, 0x0
	.amdhsa_kernel _ZL13mul_mat_vec_qIL9ggml_type12ELi8ELb0ELb0EEvPKvS2_PKi31ggml_cuda_mm_fusion_args_devicePfj15HIP_vector_typeIjLj3EEjjjS8_jjjS8_jjjj
		.amdhsa_group_segment_fixed_size 0
		.amdhsa_private_segment_fixed_size 80
		.amdhsa_kernarg_size 144
		.amdhsa_user_sgpr_count 2
		.amdhsa_user_sgpr_dispatch_ptr 0
		.amdhsa_user_sgpr_queue_ptr 0
		.amdhsa_user_sgpr_kernarg_segment_ptr 1
		.amdhsa_user_sgpr_dispatch_id 0
		.amdhsa_user_sgpr_kernarg_preload_length 0
		.amdhsa_user_sgpr_kernarg_preload_offset 0
		.amdhsa_user_sgpr_private_segment_size 0
		.amdhsa_uses_dynamic_stack 0
		.amdhsa_enable_private_segment 1
		.amdhsa_system_sgpr_workgroup_id_x 1
		.amdhsa_system_sgpr_workgroup_id_y 1
		.amdhsa_system_sgpr_workgroup_id_z 1
		.amdhsa_system_sgpr_workgroup_info 0
		.amdhsa_system_vgpr_workitem_id 1
		.amdhsa_next_free_vgpr 130
		.amdhsa_next_free_sgpr 37
		.amdhsa_accum_offset 132
		.amdhsa_reserve_vcc 1
		.amdhsa_float_round_mode_32 0
		.amdhsa_float_round_mode_16_64 0
		.amdhsa_float_denorm_mode_32 3
		.amdhsa_float_denorm_mode_16_64 3
		.amdhsa_dx10_clamp 1
		.amdhsa_ieee_mode 1
		.amdhsa_fp16_overflow 0
		.amdhsa_tg_split 0
		.amdhsa_exception_fp_ieee_invalid_op 0
		.amdhsa_exception_fp_denorm_src 0
		.amdhsa_exception_fp_ieee_div_zero 0
		.amdhsa_exception_fp_ieee_overflow 0
		.amdhsa_exception_fp_ieee_underflow 0
		.amdhsa_exception_fp_ieee_inexact 0
		.amdhsa_exception_int_div_zero 0
	.end_amdhsa_kernel
	.section	.text._ZL13mul_mat_vec_qIL9ggml_type12ELi8ELb0ELb0EEvPKvS2_PKi31ggml_cuda_mm_fusion_args_devicePfj15HIP_vector_typeIjLj3EEjjjS8_jjjS8_jjjj,"axG",@progbits,_ZL13mul_mat_vec_qIL9ggml_type12ELi8ELb0ELb0EEvPKvS2_PKi31ggml_cuda_mm_fusion_args_devicePfj15HIP_vector_typeIjLj3EEjjjS8_jjjS8_jjjj,comdat
.Lfunc_end131:
	.size	_ZL13mul_mat_vec_qIL9ggml_type12ELi8ELb0ELb0EEvPKvS2_PKi31ggml_cuda_mm_fusion_args_devicePfj15HIP_vector_typeIjLj3EEjjjS8_jjjS8_jjjj, .Lfunc_end131-_ZL13mul_mat_vec_qIL9ggml_type12ELi8ELb0ELb0EEvPKvS2_PKi31ggml_cuda_mm_fusion_args_devicePfj15HIP_vector_typeIjLj3EEjjjS8_jjjS8_jjjj
                                        ; -- End function
	.section	.AMDGPU.csdata,"",@progbits
; Kernel info:
; codeLenInByte = 7696
; NumSgprs: 43
; NumVgprs: 130
; NumAgprs: 0
; TotalNumVgprs: 130
; ScratchSize: 80
; MemoryBound: 0
; FloatMode: 240
; IeeeMode: 1
; LDSByteSize: 0 bytes/workgroup (compile time only)
; SGPRBlocks: 5
; VGPRBlocks: 16
; NumSGPRsForWavesPerEU: 43
; NumVGPRsForWavesPerEU: 130
; AccumOffset: 132
; Occupancy: 3
; WaveLimiterHint : 0
; COMPUTE_PGM_RSRC2:SCRATCH_EN: 1
; COMPUTE_PGM_RSRC2:USER_SGPR: 2
; COMPUTE_PGM_RSRC2:TRAP_HANDLER: 0
; COMPUTE_PGM_RSRC2:TGID_X_EN: 1
; COMPUTE_PGM_RSRC2:TGID_Y_EN: 1
; COMPUTE_PGM_RSRC2:TGID_Z_EN: 1
; COMPUTE_PGM_RSRC2:TIDIG_COMP_CNT: 1
; COMPUTE_PGM_RSRC3_GFX90A:ACCUM_OFFSET: 32
; COMPUTE_PGM_RSRC3_GFX90A:TG_SPLIT: 0
	.section	.text._ZL17mul_mat_vec_q_moeIL9ggml_type13ELi2EEvPKvS2_PKiPfj15HIP_vector_typeIjLj3EEjjjjjjjjj,"axG",@progbits,_ZL17mul_mat_vec_q_moeIL9ggml_type13ELi2EEvPKvS2_PKiPfj15HIP_vector_typeIjLj3EEjjjjjjjjj,comdat
	.globl	_ZL17mul_mat_vec_q_moeIL9ggml_type13ELi2EEvPKvS2_PKiPfj15HIP_vector_typeIjLj3EEjjjjjjjjj ; -- Begin function _ZL17mul_mat_vec_q_moeIL9ggml_type13ELi2EEvPKvS2_PKiPfj15HIP_vector_typeIjLj3EEjjjjjjjjj
	.p2align	8
	.type	_ZL17mul_mat_vec_q_moeIL9ggml_type13ELi2EEvPKvS2_PKiPfj15HIP_vector_typeIjLj3EEjjjjjjjjj,@function
_ZL17mul_mat_vec_q_moeIL9ggml_type13ELi2EEvPKvS2_PKiPfj15HIP_vector_typeIjLj3EEjjjjjjjjj: ; @_ZL17mul_mat_vec_q_moeIL9ggml_type13ELi2EEvPKvS2_PKiPfj15HIP_vector_typeIjLj3EEjjjjjjjjj
; %bb.0:
	s_load_dwordx8 s[4:11], s[0:1], 0x30
	v_bfe_u32 v18, v0, 10, 10
	s_waitcnt lgkmcnt(0)
	v_cmp_gt_u32_e32 vcc, s11, v18
	s_and_saveexec_b64 s[12:13], vcc
	s_cbranch_execz .LBB132_15
; %bb.1:
	s_load_dword s11, s[0:1], 0x20
	s_load_dword s20, s[0:1], 0x50
	s_load_dwordx8 s[12:19], s[0:1], 0x0
	v_and_b32_e32 v19, 0x3ff, v0
	v_lshrrev_b32_e32 v3, 4, v19
	s_waitcnt lgkmcnt(0)
	s_lshr_b32 s11, s11, 8
	s_lshl_b32 s2, s2, 1
	v_cmp_gt_u32_e32 vcc, s11, v3
	v_mov_b32_e32 v5, 0
	v_mov_b32_e32 v2, 0
	s_and_saveexec_b64 s[24:25], vcc
	s_cbranch_execz .LBB132_13
; %bb.2:
	v_mul_lo_u32 v0, v18, s20
	v_mov_b32_e32 v4, s16
	v_mov_b32_e32 v5, s17
	v_add_u32_e32 v0, s3, v0
	v_mov_b32_e32 v1, 0
	v_lshl_add_u64 v[4:5], v[0:1], 2, v[4:5]
	global_load_dword v14, v[4:5], off
	s_load_dwordx4 s[20:23], s[0:1], 0x24
	v_bfe_u32 v11, v19, 2, 2
	v_lshlrev_b32_e32 v0, 1, v19
	v_lshrrev_b32_e32 v10, 4, v19
	s_movk_i32 s0, 0x120
	v_mul_hi_u32_u24_e32 v13, 0x48, v11
	v_mul_u32_u24_e32 v12, 0x48, v11
	v_mul_lo_u32 v5, v18, s6
	v_bfe_u32 v4, v0, 3, 2
	v_mad_u64_u32 v[12:13], s[0:1], v10, s0, v[12:13]
	v_and_b32_e32 v15, 30, v0
	v_lshlrev_b32_e32 v0, 5, v4
	v_lshlrev_b32_e32 v20, 1, v4
	;; [unrolled: 1-line block ×3, first 2 shown]
	v_mad_u64_u32 v[4:5], s[0:1], v5, 36, v[12:13]
	s_waitcnt lgkmcnt(0)
	s_mul_hi_u32 s0, s20, s3
	s_add_i32 s0, s3, s0
	s_lshr_b32 s0, s0, s21
	s_mul_i32 s0, s0, s22
	s_sub_i32 s0, s3, s0
	s_mul_i32 s0, s0, s9
	s_mul_hi_u32 s1, s0, 36
	s_mul_i32 s0, s0, 36
	s_add_u32 s0, s14, s0
	s_addc_u32 s1, s15, s1
	s_add_i32 s9, s2, 1
	v_lshl_add_u64 v[4:5], s[0:1], 0, v[4:5]
	v_and_b32_e32 v2, 3, v19
	s_mul_i32 s30, s2, s5
	s_mul_i32 s0, s5, s9
	v_lshl_add_u64 v[12:13], v[4:5], 0, 36
	s_mov_b64 s[16:17], 0
	s_movk_i32 s6, 0xb0
	v_mov_b64_e32 v[6:7], s[12:13]
	s_mov_b32 s23, 0x5040100
	s_mov_b32 s26, 0x20004
	;; [unrolled: 1-line block ×5, first 2 shown]
	s_mov_b64 s[12:13], 0x480
	v_lshlrev_b32_e32 v8, 2, v2
	v_mov_b32_e32 v9, v1
	v_mov_b32_e32 v11, v1
	;; [unrolled: 1-line block ×3, first 2 shown]
	v_cmp_lt_u32_e32 vcc, 15, v15
	v_mov_b32_e32 v5, v1
	s_waitcnt vmcnt(0)
	v_mul_lo_u32 v4, v14, s8
	v_add_u32_e32 v21, s30, v4
	v_add_u32_e32 v22, s0, v4
	s_branch .LBB132_4
.LBB132_3:                              ;   in Loop: Header=BB132_4 Depth=1
	s_or_b64 exec, exec, s[0:1]
	global_load_dword v39, v[14:15], off
	s_waitcnt vmcnt(6)
	v_ashrrev_i32_e32 v14, v20, v31
	v_ashrrev_i32_e32 v15, v20, v29
	v_and_b32_e32 v31, 0xf0f0f0f, v26
	v_lshrrev_b32_e32 v26, 4, v26
	v_and_b32_e32 v29, 0xf0f0f0f, v27
	v_lshlrev_b32_e32 v40, 4, v15
	v_lshlrev_b32_e32 v41, 4, v14
	v_and_b32_e32 v26, 0xf0f0f0f, v26
	v_lshlrev_b32_e32 v14, 3, v14
	v_and_or_b32 v29, v40, s29, v29
	v_and_or_b32 v31, v41, s29, v31
	v_mov_b32_e32 v40, 0
	v_lshrrev_b32_e32 v27, 4, v27
	v_and_or_b32 v14, v14, s29, v26
	v_mov_b32_e32 v26, 0
	v_mov_b32_e32 v17, 0
	v_dot4c_i32_i8_e32 v40, v31, v25
	v_and_b32_e32 v27, 0xf0f0f0f, v27
	v_lshlrev_b32_e32 v15, 3, v15
	v_dot4c_i32_i8_e32 v26, v14, v23
	v_pk_lshrrev_b16 v14, 8, v28 op_sel_hi:[0,1]
	v_cvt_f32_f16_e32 v16, v37
	v_dot4c_i32_i8_e32 v17, 0x1010101, v25
	v_mov_b32_e32 v37, 0
	v_dot4c_i32_i8_e32 v40, v29, v24
	v_and_or_b32 v15, v15, s29, v27
	v_and_b32_e32 v27, 0xff, v14
	v_lshrrev_b32_e32 v29, 16, v14
	v_and_b32_e32 v14, 0xff00ff, v28
	v_dot4c_i32_i8_e32 v17, 0x1010101, v24
	v_dot4c_i32_i8_e32 v37, 0x1010101, v23
	;; [unrolled: 1-line block ×3, first 2 shown]
	v_and_b32_e32 v15, 0xff, v14
	v_lshrrev_b32_e32 v14, 16, v14
	v_dot4c_i32_i8_e32 v37, 0x1010101, v4
	v_mul_lo_u32 v14, v40, v14
	v_mul_lo_u32 v28, v17, v15
	v_cvt_f32_i32_e32 v15, v14
	v_cvt_f32_i32_e32 v14, v28
	v_mul_lo_u32 v26, v26, v29
	v_mul_lo_u32 v28, v37, v27
	v_cvt_f32_f16_e32 v38, v38
	v_cvt_f32_i32_e32 v27, v26
	v_cvt_f32_i32_e32 v26, v28
	v_pk_fma_f32 v[14:15], v[16:17], v[14:15], 0 op_sel_hi:[0,1,0]
	s_waitcnt vmcnt(1)
	v_ashrrev_i32_e32 v29, v20, v35
	v_ashrrev_i32_e32 v31, v20, v33
	v_and_b32_e32 v33, 0xf0f0f0f, v32
	v_lshlrev_b32_e32 v35, 4, v31
	v_lshlrev_b32_e32 v40, 4, v29
	v_and_or_b32 v33, v35, s29, v33
	v_mov_b32_e32 v35, 0
	v_lshlrev_b32_e32 v29, 3, v29
	v_lshlrev_b32_e32 v31, 3, v31
	v_pk_lshrrev_b16 v28, 8, v36 op_sel_hi:[0,1]
	v_add_u32_e32 v3, 4, v3
	v_cmp_le_u32_e64 s[0:1], s11, v3
	s_or_b64 s[16:17], s[0:1], s[16:17]
	v_lshl_add_u64 v[12:13], v[12:13], 0, s[12:13]
	s_waitcnt vmcnt(0)
	v_pk_fma_f32 v[14:15], v[38:39], v[26:27], v[14:15] op_sel_hi:[0,1,1]
	v_cvt_f32_f16_sdwa v26, v34 dst_sel:DWORD dst_unused:UNUSED_PAD src0_sel:WORD_1
	v_cvt_f32_f16_e32 v27, v34
	v_and_b32_e32 v34, 0xf0f0f0f, v30
	v_and_or_b32 v34, v40, s29, v34
	v_lshrrev_b32_e32 v30, 4, v30
	v_dot4c_i32_i8_e32 v35, v34, v25
	v_lshrrev_b32_e32 v25, 4, v32
	v_and_b32_e32 v30, 0xf0f0f0f, v30
	v_and_b32_e32 v25, 0xf0f0f0f, v25
	v_and_or_b32 v29, v29, s29, v30
	v_mov_b32_e32 v30, 0
	v_dot4c_i32_i8_e32 v35, v33, v24
	v_and_b32_e32 v24, 0xff00ff, v36
	v_and_or_b32 v25, v31, s29, v25
	v_dot4c_i32_i8_e32 v30, v29, v23
	v_dot4c_i32_i8_e32 v30, v25, v4
	v_lshrrev_b32_e32 v25, 16, v24
	v_and_b32_e32 v24, 0xff, v24
	v_lshrrev_b32_e32 v4, 16, v28
	v_and_b32_e32 v23, 0xff, v28
	v_mul_lo_u32 v24, v35, v24
	v_mul_lo_u32 v17, v17, v25
	v_cvt_f32_i32_e32 v24, v24
	v_cvt_f32_i32_e32 v25, v17
	v_mul_lo_u32 v17, v30, v23
	v_mul_lo_u32 v4, v37, v4
	v_cvt_f32_i32_e32 v28, v17
	v_cvt_f32_i32_e32 v29, v4
	v_cvt_f32_f16_sdwa v31, v39 dst_sel:DWORD dst_unused:UNUSED_PAD src0_sel:WORD_1
	v_cvt_f32_f16_e32 v30, v39
	v_pk_fma_f32 v[16:17], v[16:17], v[24:25], 0 op_sel_hi:[0,1,0]
	v_pk_fma_f32 v[16:17], v[38:39], v[28:29], v[16:17] op_sel_hi:[0,1,1]
	v_pk_mul_f32 v[14:15], v[14:15], v[26:27]
	v_pk_mul_f32 v[24:25], v[16:17], v[30:31]
	s_nop 0
	v_mov_b32_e32 v4, v25
	v_pk_fma_f32 v[16:17], v[16:17], v[30:31], v[4:5] neg_lo:[0,0,1] neg_hi:[0,0,1]
	s_nop 0
	v_mov_b32_e32 v17, v16
	v_pk_add_f32 v[4:5], v[4:5], v[16:17]
	s_nop 0
	v_sub_f32_e32 v4, v15, v14
	v_add_f32_e32 v2, v2, v4
	s_andn2_b64 exec, exec, s[16:17]
	s_cbranch_execz .LBB132_12
.LBB132_4:                              ; =>This Inner Loop Header: Depth=1
	v_lshl_add_u64 v[14:15], v[12:13], 0, v[8:9]
	global_load_dword v37, v[12:13], off offset:-36
	global_load_dword v38, v[12:13], off
	global_load_dword v24, v[14:15], off offset:-32
	global_load_dword v25, v[14:15], off offset:-16
	global_load_dword v4, v[14:15], off offset:4
	global_load_dword v23, v[14:15], off offset:20
	v_add_u32_e32 v14, v21, v3
	v_mad_i64_i32 v[16:17], s[0:1], v14, s6, v[6:7]
	v_lshl_add_u64 v[14:15], v[16:17], 0, v[8:9]
	v_lshl_add_u64 v[32:33], v[14:15], 0, v[0:1]
	global_load_dword v26, v[32:33], off offset:64
	global_load_dword v29, v[14:15], off offset:16
	global_load_dword v27, v[32:33], off offset:48
	global_load_dword v31, v[14:15], off offset:32
	v_lshl_add_u64 v[14:15], v[16:17], 0, v[10:11]
                                        ; implicit-def: $vgpr28
	s_and_saveexec_b64 s[0:1], vcc
	s_xor_b64 s[0:1], exec, s[0:1]
	s_cbranch_execz .LBB132_6
; %bb.5:                                ;   in Loop: Header=BB132_4 Depth=1
	global_load_ushort v28, v[14:15], off offset:8
	global_load_ushort v30, v[14:15], off offset:4
	global_load_ushort v32, v[14:15], off
	s_waitcnt vmcnt(1)
	v_lshrrev_b16_e32 v14, 2, v30
	s_waitcnt vmcnt(0)
	v_perm_b32 v15, v32, v28, s23
	v_perm_b32 v14, v28, v14, s23
	v_pk_lshrrev_b16 v15, s26, v15
	v_and_b32_e32 v14, 0xf0f3030, v14
	v_and_or_b32 v28, v15, s27, v14
                                        ; implicit-def: $vgpr14_vgpr15
.LBB132_6:                              ;   in Loop: Header=BB132_4 Depth=1
	s_andn2_saveexec_b64 s[0:1], s[0:1]
	s_cbranch_execz .LBB132_8
; %bb.7:                                ;   in Loop: Header=BB132_4 Depth=1
	global_load_ushort v28, v[14:15], off offset:4
	global_load_ushort v30, v[14:15], off offset:8
	s_waitcnt vmcnt(0)
	v_perm_b32 v14, v28, v30, s23
	v_and_b32_e32 v28, 0x3f3f3f3f, v14
.LBB132_8:                              ;   in Loop: Header=BB132_4 Depth=1
	s_or_b64 exec, exec, s[0:1]
	v_add_u32_e32 v14, v22, v3
	v_mad_i64_i32 v[14:15], s[0:1], v14, s6, v[6:7]
	v_lshl_add_u64 v[40:41], v[14:15], 0, v[8:9]
	v_lshl_add_u64 v[42:43], v[40:41], 0, v[0:1]
	global_load_dword v30, v[42:43], off offset:64
	global_load_dword v34, v[16:17], off
	global_load_dword v33, v[40:41], off offset:16
	global_load_dword v32, v[42:43], off offset:48
	;; [unrolled: 1-line block ×3, first 2 shown]
	v_lshl_add_u64 v[16:17], v[14:15], 0, v[10:11]
                                        ; implicit-def: $vgpr36
	s_and_saveexec_b64 s[0:1], vcc
	s_xor_b64 s[0:1], exec, s[0:1]
	s_cbranch_execz .LBB132_10
; %bb.9:                                ;   in Loop: Header=BB132_4 Depth=1
	global_load_ushort v36, v[16:17], off
	global_load_ushort v39, v[16:17], off offset:8
	global_load_ushort v40, v[16:17], off offset:4
	s_waitcnt vmcnt(1)
	v_lshrrev_b16_e32 v16, 4, v39
	s_waitcnt vmcnt(0)
	v_perm_b32 v17, v40, v36, s23
	v_perm_b32 v16, v16, v39, s23
	v_and_b32_e32 v16, 0xf0f0f0f, v16
	v_pk_lshrrev_b16 v17, 2, v17 op_sel_hi:[0,1]
	v_and_or_b32 v36, v17, s28, v16
                                        ; implicit-def: $vgpr16_vgpr17
.LBB132_10:                             ;   in Loop: Header=BB132_4 Depth=1
	s_andn2_saveexec_b64 s[0:1], s[0:1]
	s_cbranch_execz .LBB132_3
; %bb.11:                               ;   in Loop: Header=BB132_4 Depth=1
	global_load_ushort v36, v[16:17], off offset:4
	global_load_ushort v39, v[16:17], off offset:8
	s_waitcnt vmcnt(0)
	v_perm_b32 v16, v39, v36, s23
	v_and_b32_e32 v36, 0x3f3f3f3f, v16
	s_branch .LBB132_3
.LBB132_12:
	s_or_b64 exec, exec, s[16:17]
.LBB132_13:
	s_or_b64 exec, exec, s[24:25]
	v_mbcnt_lo_u32_b32 v0, -1, 0
	v_mbcnt_hi_u32_b32 v4, -1, v0
	v_and_b32_e32 v0, 64, v4
	v_add_u32_e32 v6, 64, v0
	v_xor_b32_e32 v0, 32, v4
	v_cmp_lt_i32_e32 vcc, v0, v6
	v_mov_b32_e32 v3, v5
	s_nop 0
	v_cndmask_b32_e32 v0, v4, v0, vcc
	v_lshlrev_b32_e32 v1, 2, v0
	ds_bpermute_b32 v0, v1, v2
	ds_bpermute_b32 v1, v1, v5
	v_xor_b32_e32 v5, 16, v4
	v_cmp_lt_i32_e32 vcc, v5, v6
	s_waitcnt lgkmcnt(0)
	v_pk_add_f32 v[0:1], v[2:3], v[0:1]
	v_cndmask_b32_e32 v5, v4, v5, vcc
	v_lshlrev_b32_e32 v5, 2, v5
	ds_bpermute_b32 v2, v5, v0
	ds_bpermute_b32 v3, v5, v1
	v_xor_b32_e32 v5, 8, v4
	v_cmp_lt_i32_e32 vcc, v5, v6
	s_waitcnt lgkmcnt(0)
	v_pk_add_f32 v[0:1], v[0:1], v[2:3]
	;; [unrolled: 8-line block ×5, first 2 shown]
	v_cndmask_b32_e32 v4, v4, v5, vcc
	v_lshlrev_b32_e32 v4, 2, v4
	ds_bpermute_b32 v2, v4, v0
	ds_bpermute_b32 v3, v4, v1
	v_add_u32_e32 v4, s2, v19
	v_cmp_gt_u32_e32 vcc, 2, v19
	v_cmp_gt_u32_e64 s[0:1], s4, v4
	s_and_b64 s[0:1], vcc, s[0:1]
	s_and_b64 exec, exec, s[0:1]
	s_cbranch_execz .LBB132_15
; %bb.14:
	v_cmp_eq_u32_e32 vcc, 1, v19
	s_mul_i32 s3, s3, s10
	v_mov_b32_e32 v4, s18
	s_waitcnt lgkmcnt(0)
	v_cndmask_b32_e32 v2, v2, v3, vcc
	v_cndmask_b32_e32 v0, v0, v1, vcc
	v_add_f32_e32 v2, v0, v2
	v_mul_lo_u32 v0, v18, s7
	v_or_b32_e32 v1, s2, v19
	v_mov_b32_e32 v5, s19
	v_add3_u32 v0, v1, v0, s3
	v_mov_b32_e32 v1, 0
	v_lshl_add_u64 v[0:1], v[0:1], 2, v[4:5]
	global_store_dword v[0:1], v2, off
.LBB132_15:
	s_endpgm
	.section	.rodata,"a",@progbits
	.p2align	6, 0x0
	.amdhsa_kernel _ZL17mul_mat_vec_q_moeIL9ggml_type13ELi2EEvPKvS2_PKiPfj15HIP_vector_typeIjLj3EEjjjjjjjjj
		.amdhsa_group_segment_fixed_size 0
		.amdhsa_private_segment_fixed_size 0
		.amdhsa_kernarg_size 84
		.amdhsa_user_sgpr_count 2
		.amdhsa_user_sgpr_dispatch_ptr 0
		.amdhsa_user_sgpr_queue_ptr 0
		.amdhsa_user_sgpr_kernarg_segment_ptr 1
		.amdhsa_user_sgpr_dispatch_id 0
		.amdhsa_user_sgpr_kernarg_preload_length 0
		.amdhsa_user_sgpr_kernarg_preload_offset 0
		.amdhsa_user_sgpr_private_segment_size 0
		.amdhsa_uses_dynamic_stack 0
		.amdhsa_enable_private_segment 0
		.amdhsa_system_sgpr_workgroup_id_x 1
		.amdhsa_system_sgpr_workgroup_id_y 1
		.amdhsa_system_sgpr_workgroup_id_z 0
		.amdhsa_system_sgpr_workgroup_info 0
		.amdhsa_system_vgpr_workitem_id 1
		.amdhsa_next_free_vgpr 44
		.amdhsa_next_free_sgpr 31
		.amdhsa_accum_offset 44
		.amdhsa_reserve_vcc 1
		.amdhsa_float_round_mode_32 0
		.amdhsa_float_round_mode_16_64 0
		.amdhsa_float_denorm_mode_32 3
		.amdhsa_float_denorm_mode_16_64 3
		.amdhsa_dx10_clamp 1
		.amdhsa_ieee_mode 1
		.amdhsa_fp16_overflow 0
		.amdhsa_tg_split 0
		.amdhsa_exception_fp_ieee_invalid_op 0
		.amdhsa_exception_fp_denorm_src 0
		.amdhsa_exception_fp_ieee_div_zero 0
		.amdhsa_exception_fp_ieee_overflow 0
		.amdhsa_exception_fp_ieee_underflow 0
		.amdhsa_exception_fp_ieee_inexact 0
		.amdhsa_exception_int_div_zero 0
	.end_amdhsa_kernel
	.section	.text._ZL17mul_mat_vec_q_moeIL9ggml_type13ELi2EEvPKvS2_PKiPfj15HIP_vector_typeIjLj3EEjjjjjjjjj,"axG",@progbits,_ZL17mul_mat_vec_q_moeIL9ggml_type13ELi2EEvPKvS2_PKiPfj15HIP_vector_typeIjLj3EEjjjjjjjjj,comdat
.Lfunc_end132:
	.size	_ZL17mul_mat_vec_q_moeIL9ggml_type13ELi2EEvPKvS2_PKiPfj15HIP_vector_typeIjLj3EEjjjjjjjjj, .Lfunc_end132-_ZL17mul_mat_vec_q_moeIL9ggml_type13ELi2EEvPKvS2_PKiPfj15HIP_vector_typeIjLj3EEjjjjjjjjj
                                        ; -- End function
	.section	.AMDGPU.csdata,"",@progbits
; Kernel info:
; codeLenInByte = 1920
; NumSgprs: 37
; NumVgprs: 44
; NumAgprs: 0
; TotalNumVgprs: 44
; ScratchSize: 0
; MemoryBound: 0
; FloatMode: 240
; IeeeMode: 1
; LDSByteSize: 0 bytes/workgroup (compile time only)
; SGPRBlocks: 4
; VGPRBlocks: 5
; NumSGPRsForWavesPerEU: 37
; NumVGPRsForWavesPerEU: 44
; AccumOffset: 44
; Occupancy: 8
; WaveLimiterHint : 1
; COMPUTE_PGM_RSRC2:SCRATCH_EN: 0
; COMPUTE_PGM_RSRC2:USER_SGPR: 2
; COMPUTE_PGM_RSRC2:TRAP_HANDLER: 0
; COMPUTE_PGM_RSRC2:TGID_X_EN: 1
; COMPUTE_PGM_RSRC2:TGID_Y_EN: 1
; COMPUTE_PGM_RSRC2:TGID_Z_EN: 0
; COMPUTE_PGM_RSRC2:TIDIG_COMP_CNT: 1
; COMPUTE_PGM_RSRC3_GFX90A:ACCUM_OFFSET: 10
; COMPUTE_PGM_RSRC3_GFX90A:TG_SPLIT: 0
	.section	.text._ZL13mul_mat_vec_qIL9ggml_type13ELi1ELb1ELb1EEvPKvS2_PKi31ggml_cuda_mm_fusion_args_devicePfj15HIP_vector_typeIjLj3EEjjjS8_jjjS8_jjjj,"axG",@progbits,_ZL13mul_mat_vec_qIL9ggml_type13ELi1ELb1ELb1EEvPKvS2_PKi31ggml_cuda_mm_fusion_args_devicePfj15HIP_vector_typeIjLj3EEjjjS8_jjjS8_jjjj,comdat
	.globl	_ZL13mul_mat_vec_qIL9ggml_type13ELi1ELb1ELb1EEvPKvS2_PKi31ggml_cuda_mm_fusion_args_devicePfj15HIP_vector_typeIjLj3EEjjjS8_jjjS8_jjjj ; -- Begin function _ZL13mul_mat_vec_qIL9ggml_type13ELi1ELb1ELb1EEvPKvS2_PKi31ggml_cuda_mm_fusion_args_devicePfj15HIP_vector_typeIjLj3EEjjjS8_jjjS8_jjjj
	.p2align	8
	.type	_ZL13mul_mat_vec_qIL9ggml_type13ELi1ELb1ELb1EEvPKvS2_PKi31ggml_cuda_mm_fusion_args_devicePfj15HIP_vector_typeIjLj3EEjjjS8_jjjS8_jjjj,@function
_ZL13mul_mat_vec_qIL9ggml_type13ELi1ELb1ELb1EEvPKvS2_PKi31ggml_cuda_mm_fusion_args_devicePfj15HIP_vector_typeIjLj3EEjjjS8_jjjS8_jjjj: ; @_ZL13mul_mat_vec_qIL9ggml_type13ELi1ELb1ELb1EEvPKvS2_PKi31ggml_cuda_mm_fusion_args_devicePfj15HIP_vector_typeIjLj3EEjjjS8_jjjS8_jjjj
; %bb.0:
	s_load_dwordx8 s[16:23], s[2:3], 0x0
	s_load_dwordx4 s[36:39], s[2:3], 0x20
	s_load_dwordx4 s[40:43], s[2:3], 0x40
	;; [unrolled: 1-line block ×3, first 2 shown]
	s_mov_b32 s14, s5
	s_waitcnt lgkmcnt(0)
	s_cmp_lg_u64 s[20:21], 0
	s_cselect_b64 s[8:9], -1, 0
	s_cmp_eq_u64 s[20:21], 0
	s_mov_b64 s[10:11], 0
	s_cbranch_scc1 .LBB133_5
; %bb.1:
	s_mov_b32 s15, 0
	s_lshl_b64 s[12:13], s[14:15], 2
	s_add_u32 s12, s20, s12
	s_addc_u32 s13, s21, s13
	s_load_dword s44, s[12:13], 0x0
	s_load_dword s33, s[2:3], 0x50
	;; [unrolled: 1-line block ×3, first 2 shown]
	s_andn2_b64 vcc, exec, s[10:11]
	s_cbranch_vccnz .LBB133_3
.LBB133_2:
	s_load_dwordx2 s[10:11], s[2:3], 0x5c
	s_waitcnt lgkmcnt(0)
	s_mul_hi_u32 s5, s10, s14
	s_add_i32 s5, s14, s5
	s_lshr_b32 s44, s5, s11
.LBB133_3:
	s_andn2_b64 vcc, exec, s[8:9]
	s_cbranch_vccnz .LBB133_6
; %bb.4:
	s_mul_hi_u32 s5, s41, s14
	s_add_i32 s5, s14, s5
	s_lshr_b32 s5, s5, s42
	s_mul_i32 s5, s5, s43
	s_sub_i32 s41, s14, s5
	s_waitcnt lgkmcnt(0)
	s_mov_b32 s15, s44
	s_branch .LBB133_7
.LBB133_5:
                                        ; implicit-def: $sgpr44
	s_load_dword s33, s[2:3], 0x50
	s_load_dword s45, s[2:3], 0x78
	s_branch .LBB133_2
.LBB133_6:
	s_mov_b32 s15, s14
	s_mov_b32 s41, s14
.LBB133_7:
	s_load_dword s7, s[2:3], 0x58
	s_load_dwordx4 s[28:31], s[2:3], 0x80
	s_lshl_b32 s20, s4, 1
	s_cmp_eq_u64 s[22:23], 0
	v_and_b32_e32 v18, 0x3ff, v0
	v_bfe_u32 v23, v0, 10, 10
	s_cselect_b64 s[10:11], -1, 0
	s_and_b64 vcc, exec, s[10:11]
	v_mov_b32_e32 v19, 0
	v_cmp_gt_u32_e64 s[4:5], 2, v18
	v_cmp_eq_u32_e64 s[8:9], 0, v23
	v_or_b32_e32 v1, s20, v18
	v_mov_b32_e32 v20, 0
	s_cbranch_vccnz .LBB133_11
; %bb.8:
	s_waitcnt lgkmcnt(0)
	v_cmp_gt_u32_e32 vcc, s7, v1
	s_and_b64 s[4:5], s[4:5], vcc
	s_mov_b32 s13, 0
	s_and_b64 s[8:9], s[4:5], s[8:9]
	v_mov_b32_e32 v20, 0
	s_and_saveexec_b64 s[4:5], s[8:9]
	s_cbranch_execz .LBB133_10
; %bb.9:
	s_mul_i32 s12, s6, s30
	s_lshl_b64 s[8:9], s[12:13], 2
	s_add_u32 s21, s22, s8
	s_mul_i32 s12, s15, s26
	s_addc_u32 s22, s23, s9
	s_lshl_b64 s[8:9], s[12:13], 2
	s_add_u32 s12, s21, s8
	s_addc_u32 s13, s22, s9
	s_ashr_i32 s21, s20, 31
	s_lshl_b64 s[8:9], s[20:21], 2
	s_add_u32 s8, s12, s8
	s_addc_u32 s9, s13, s9
	v_lshlrev_b32_e32 v2, 2, v18
	global_load_dword v20, v2, s[8:9]
.LBB133_10:
	s_or_b64 exec, exec, s[4:5]
.LBB133_11:
	s_cmp_lg_u64 s[36:37], 0
	s_cselect_b64 s[22:23], -1, 0
	s_cmp_lg_u64 s[38:39], 0
	s_cselect_b64 s[4:5], -1, 0
	s_and_b64 s[8:9], s[4:5], s[22:23]
	s_andn2_b64 vcc, exec, s[8:9]
	s_cbranch_vccnz .LBB133_15
; %bb.12:
	v_cmp_gt_u32_e32 vcc, 2, v18
	s_waitcnt lgkmcnt(0)
	v_cmp_gt_u32_e64 s[12:13], s7, v1
	v_cmp_eq_u32_e64 s[8:9], 0, v23
	s_and_b64 s[12:13], vcc, s[12:13]
	s_mov_b32 s35, 0
	s_and_b64 s[12:13], s[12:13], s[8:9]
	v_mov_b32_e32 v19, 0
	s_and_saveexec_b64 s[8:9], s[12:13]
	s_cbranch_execz .LBB133_14
; %bb.13:
	s_mul_i32 s34, s6, s30
	s_lshl_b64 s[12:13], s[34:35], 2
	s_add_u32 s21, s38, s12
	s_mul_i32 s34, s15, s26
	s_addc_u32 s31, s39, s13
	s_lshl_b64 s[12:13], s[34:35], 2
	s_add_u32 s15, s21, s12
	s_addc_u32 s31, s31, s13
	s_ashr_i32 s21, s20, 31
	s_lshl_b64 s[12:13], s[20:21], 2
	s_add_u32 s12, s15, s12
	s_addc_u32 s13, s31, s13
	v_lshlrev_b32_e32 v1, 2, v18
	global_load_dword v19, v1, s[12:13]
.LBB133_14:
	s_or_b64 exec, exec, s[8:9]
.LBB133_15:
	s_load_dwordx2 s[0:1], s[0:1], 0x4
	v_bfe_u32 v0, v0, 20, 10
	v_lshl_add_u32 v2, v23, 6, v18
	s_lshr_b32 s15, s40, 8
	v_lshrrev_b32_e32 v24, 4, v2
	s_waitcnt lgkmcnt(0)
	s_lshr_b32 s0, s0, 16
	v_mul_u32_u24_e32 v1, s1, v23
	s_mul_i32 s0, s0, s1
	v_mad_u32_u24 v1, s0, v18, v1
	v_add_lshl_u32 v0, v1, v0, 3
	v_add_u32_e32 v22, 0x800, v0
	v_add_u32_e32 v21, 0x400, v0
	v_mov_b32_e32 v29, 0
	v_cmp_gt_u32_e32 vcc, s15, v24
	v_mov_b32_e32 v28, 0
	v_mov_b32_e32 v26, 0
	;; [unrolled: 1-line block ×3, first 2 shown]
	ds_write2_b32 v22, v29, v29 offset1:1
	ds_write2_b32 v21, v29, v29 offset1:1
	s_and_saveexec_b64 s[12:13], vcc
	s_cbranch_execz .LBB133_39
; %bb.16:
	s_mul_hi_u32 s0, s27, s6
	s_add_i32 s0, s6, s0
	v_lshlrev_b32_e32 v0, 1, v18
	s_lshr_b32 s0, s0, s45
	v_and_b32_e32 v6, 30, v0
	s_mul_i32 s21, s44, s24
	s_mul_i32 s24, s0, s28
	v_cmp_lt_u32_e64 s[0:1], 15, v6
	v_bfe_u32 v6, v18, 2, 2
	v_lshrrev_b32_e32 v2, 4, v2
	v_mul_hi_u32_u24_e32 v7, 0x48, v6
	v_mul_u32_u24_e32 v6, 0x48, v6
	s_movk_i32 s8, 0x120
	s_mul_i32 s27, s6, s29
	v_mad_u64_u32 v[6:7], s[8:9], v2, s8, v[6:7]
	s_mul_hi_u32 s8, s27, 36
	s_mul_i32 s27, s27, 36
	s_mul_i32 s25, s41, s25
	s_add_u32 s18, s18, s27
	s_mul_hi_u32 s9, s25, 36
	s_mul_i32 s25, s25, 36
	s_addc_u32 s19, s19, s8
	s_add_u32 s8, s18, s25
	s_addc_u32 s9, s19, s9
	v_lshl_add_u64 v[6:7], s[8:9], 0, v[6:7]
	s_add_i32 s8, s20, 1
	v_bfe_u32 v10, v0, 3, 2
	v_mov_b32_e32 v3, 0
	v_and_b32_e32 v4, 3, v18
	s_mul_i32 s28, s20, s33
	s_add_i32 s27, s24, s21
	s_mul_i32 s33, s33, s8
	v_lshlrev_b32_e32 v0, 5, v10
	v_mov_b32_e32 v1, v3
	v_lshlrev_b32_e32 v4, 2, v4
	v_mov_b32_e32 v5, v3
	v_lshlrev_b32_e32 v27, 1, v10
	v_lshl_add_u64 v[6:7], v[6:7], 0, 36
	s_add_i32 s21, s27, s28
	s_add_i32 s27, s27, s33
	s_mov_b64 s[18:19], 0
	s_movk_i32 s31, 0xb0
	v_mov_b64_e32 v[8:9], s[16:17]
	v_lshlrev_b32_e32 v2, 1, v10
	s_mov_b32 s33, 0x5040100
	s_mov_b32 s34, 0x20004
	;; [unrolled: 1-line block ×5, first 2 shown]
	s_mov_b64 s[24:25], 0x900
	v_mov_b32_e32 v25, v3
	v_mov_b32_e32 v26, v3
	;; [unrolled: 1-line block ×6, first 2 shown]
	s_branch .LBB133_19
.LBB133_17:                             ;   in Loop: Header=BB133_19 Depth=1
	s_or_b64 exec, exec, s[8:9]
	global_load_dword v52, v[14:15], off
	s_waitcnt vmcnt(1)
	v_ashrrev_i32_e32 v15, v27, v50
	v_ashrrev_i32_e32 v16, v27, v49
	v_and_b32_e32 v17, 0xf0f0f0f, v48
	v_and_b32_e32 v49, 0xf0f0f0f, v40
	v_lshrrev_b32_e32 v40, 4, v40
	v_lshlrev_b32_e32 v54, 4, v16
	v_lshlrev_b32_e32 v55, 4, v15
	v_mov_b32_e32 v50, v3
	v_lshrrev_b32_e32 v48, 4, v48
	v_and_b32_e32 v40, 0xf0f0f0f, v40
	v_lshlrev_b32_e32 v15, 3, v15
	v_and_or_b32 v54, v54, s39, v17
	v_and_or_b32 v17, v55, s39, v49
	v_pk_lshrrev_b16 v14, 8, v51 op_sel_hi:[0,1]
	v_and_b32_e32 v51, 0xff00ff, v51
	v_mov_b32_e32 v53, v3
	v_and_b32_e32 v48, 0xf0f0f0f, v48
	v_lshlrev_b32_e32 v16, 3, v16
	v_and_or_b32 v15, v15, s39, v40
	v_dot4c_i32_i8_e32 v50, v17, v35
	v_lshrrev_b32_e32 v57, 16, v51
	v_and_b32_e32 v51, 0xff, v51
	v_and_or_b32 v16, v16, s39, v48
	v_dot4c_i32_i8_e32 v53, v15, v31
	v_dot4c_i32_i8_e32 v50, v54, v33
	v_lshrrev_b32_e32 v56, 16, v14
	v_and_b32_e32 v14, 0xff, v14
	v_mul_lo_u32 v40, v41, v57
	v_dot4c_i32_i8_e32 v53, v16, v30
	v_mul_lo_u32 v16, v50, v51
	v_mul_lo_u32 v48, v13, v56
	v_cvt_f32_i32_e32 v15, v40
	v_mul_lo_u32 v40, v53, v14
	v_cvt_f32_i32_e32 v14, v16
	v_cvt_f32_i32_e32 v17, v48
	v_cvt_f32_i32_e32 v16, v40
	v_pk_fma_f32 v[14:15], v[12:13], v[14:15], 0 op_sel_hi:[0,1,0]
	v_pk_fma_f32 v[14:15], v[10:11], v[16:17], v[14:15] op_sel_hi:[0,1,1]
	s_waitcnt vmcnt(0)
	v_cvt_f32_f16_sdwa v49, v52 dst_sel:DWORD dst_unused:UNUSED_PAD src0_sel:WORD_1
	v_cvt_f32_f16_e32 v48, v52
	v_pk_mul_f32 v[14:15], v[14:15], v[48:49]
	s_nop 0
	v_sub_f32_e32 v14, v14, v15
	v_add_f32_e32 v25, v25, v14
	v_mov_b32_e32 v40, v25
.LBB133_18:                             ;   in Loop: Header=BB133_19 Depth=1
	s_waitcnt vmcnt(1)
	v_ashrrev_i32_e32 v14, v27, v45
	v_ashrrev_i32_e32 v15, v27, v44
	v_and_b32_e32 v16, 0xf0f0f0f, v43
	v_and_b32_e32 v17, 0xf0f0f0f, v42
	v_lshlrev_b32_e32 v44, 4, v15
	v_lshlrev_b32_e32 v45, 4, v14
	v_lshrrev_b32_e32 v42, 4, v42
	v_and_or_b32 v16, v44, s39, v16
	v_and_or_b32 v17, v45, s39, v17
	v_mov_b32_e32 v44, v3
	v_lshrrev_b32_e32 v43, 4, v43
	v_and_b32_e32 v42, 0xf0f0f0f, v42
	v_lshlrev_b32_e32 v14, 3, v14
	v_dot4c_i32_i8_e32 v44, v17, v35
	v_and_b32_e32 v45, 0xff, v47
	v_and_b32_e32 v43, 0xf0f0f0f, v43
	v_lshlrev_b32_e32 v15, 3, v15
	v_and_or_b32 v14, v14, s39, v42
	v_mov_b32_e32 v42, v3
	v_dot4c_i32_i8_e32 v44, v16, v33
	v_bfe_u32 v16, v47, 16, 8
	v_lshrrev_b16_e32 v17, 8, v47
	v_mul_lo_u32 v45, v41, v45
	v_and_or_b32 v15, v15, s39, v43
	v_dot4c_i32_i8_e32 v42, v14, v31
	v_mul_lo_u32 v16, v44, v16
	v_lshrrev_b32_e32 v44, 24, v47
	v_cvt_f32_i32_e32 v45, v45
	v_dot4c_i32_i8_e32 v42, v15, v30
	v_mul_lo_u32 v15, v13, v17
	v_cvt_f32_i32_e32 v16, v16
	v_cvt_f32_i32_e32 v15, v15
	v_mul_lo_u32 v14, v42, v44
	v_cvt_f32_i32_e32 v14, v14
	s_waitcnt vmcnt(0)
	v_cvt_f32_f16_sdwa v17, v46 dst_sel:DWORD dst_unused:UNUSED_PAD src0_sel:WORD_1
	v_fma_f32 v42, v12, v45, 0
	v_fma_f32 v16, v12, v16, 0
	v_fmac_f32_e32 v42, v10, v15
	v_fmac_f32_e32 v16, v10, v14
	v_mul_f32_e32 v14, v42, v17
	v_fma_mix_f32 v14, v16, v46, -v14 op_sel_hi:[0,1,0]
	v_ashrrev_i32_e32 v15, v27, v37
	v_ashrrev_i32_e32 v16, v27, v36
	v_and_b32_e32 v17, 0xf0f0f0f, v34
	v_and_b32_e32 v36, 0xf0f0f0f, v32
	v_lshlrev_b32_e32 v37, 4, v16
	v_lshlrev_b32_e32 v42, 4, v15
	v_and_or_b32 v17, v37, s39, v17
	v_and_or_b32 v36, v42, s39, v36
	v_mov_b32_e32 v37, v3
	v_lshrrev_b32_e32 v32, 4, v32
	v_dot4c_i32_i8_e32 v37, v36, v35
	v_lshrrev_b32_e32 v34, 4, v34
	v_and_b32_e32 v32, 0xf0f0f0f, v32
	v_lshlrev_b32_e32 v15, 3, v15
	v_dot4c_i32_i8_e32 v37, v17, v33
	v_bfe_u32 v17, v38, 16, 8
	v_and_b32_e32 v35, 0xff, v38
	v_and_b32_e32 v34, 0xf0f0f0f, v34
	v_lshlrev_b32_e32 v16, 3, v16
	v_and_or_b32 v15, v15, s39, v32
	v_mov_b32_e32 v32, v3
	v_mul_lo_u32 v17, v37, v17
	v_add_f32_e32 v26, v26, v14
	v_lshrrev_b16_e32 v14, 8, v38
	v_mul_lo_u32 v35, v41, v35
	v_and_or_b32 v16, v16, s39, v34
	v_dot4c_i32_i8_e32 v32, v15, v31
	v_cvt_f32_i32_e32 v17, v17
	v_lshrrev_b32_e32 v33, 24, v38
	v_cvt_f32_i32_e32 v35, v35
	v_dot4c_i32_i8_e32 v32, v16, v30
	v_mul_lo_u32 v13, v13, v14
	v_cvt_f32_i32_e32 v13, v13
	v_cvt_f32_f16_sdwa v14, v11 dst_sel:DWORD dst_unused:UNUSED_PAD src0_sel:WORD_1
	v_mul_lo_u32 v15, v32, v33
	v_cvt_f32_i32_e32 v15, v15
	v_fma_f32 v17, v12, v17, 0
	v_fma_f32 v12, v12, v35, 0
	v_fmac_f32_e32 v12, v10, v13
	v_fmac_f32_e32 v17, v10, v15
	v_mul_f32_e32 v10, v12, v14
	v_add_u32_e32 v24, 8, v24
	v_fma_mix_f32 v10, v17, v11, -v10 op_sel_hi:[0,1,0]
	v_cmp_le_u32_e32 vcc, s15, v24
	v_add_f32_e32 v29, v29, v10
	s_or_b64 s[18:19], vcc, s[18:19]
	v_lshl_add_u64 v[6:7], v[6:7], 0, s[24:25]
	s_andn2_b64 exec, exec, s[18:19]
	s_cbranch_execz .LBB133_38
.LBB133_19:                             ; =>This Inner Loop Header: Depth=1
	v_lshl_add_u64 v[10:11], v[6:7], 0, v[4:5]
	v_add_u32_e32 v14, s21, v24
	global_load_dword v15, v[6:7], off offset:-36
	global_load_dword v16, v[6:7], off
	global_load_dword v33, v[10:11], off offset:-32
	global_load_dword v35, v[10:11], off offset:-16
	global_load_dword v30, v[10:11], off offset:4
	global_load_dword v31, v[10:11], off offset:20
	v_mad_i64_i32 v[10:11], s[8:9], v14, s31, v[8:9]
	v_lshl_add_u64 v[12:13], v[10:11], 0, v[4:5]
	v_lshl_add_u64 v[42:43], v[12:13], 0, v[0:1]
	global_load_dword v32, v[42:43], off offset:64
	global_load_dword v36, v[12:13], off offset:16
	;; [unrolled: 1-line block ×4, first 2 shown]
	v_lshl_add_u64 v[12:13], v[10:11], 0, v[2:3]
                                        ; implicit-def: $vgpr38
	s_and_saveexec_b64 s[8:9], s[0:1]
	s_xor_b64 s[8:9], exec, s[8:9]
	s_cbranch_execz .LBB133_21
; %bb.20:                               ;   in Loop: Header=BB133_19 Depth=1
	global_load_ushort v17, v[12:13], off offset:8
	global_load_ushort v38, v[12:13], off offset:4
	global_load_ushort v41, v[12:13], off
	s_waitcnt vmcnt(1)
	v_lshrrev_b16_e32 v12, 2, v38
	s_waitcnt vmcnt(0)
	v_perm_b32 v13, v41, v17, s33
	v_perm_b32 v12, v17, v12, s33
	v_pk_lshrrev_b16 v13, s34, v13
	v_and_b32_e32 v12, 0xf0f3030, v12
	v_and_or_b32 v38, v13, s35, v12
                                        ; implicit-def: $vgpr12_vgpr13
.LBB133_21:                             ;   in Loop: Header=BB133_19 Depth=1
	s_andn2_saveexec_b64 s[8:9], s[8:9]
	s_cbranch_execz .LBB133_23
; %bb.22:                               ;   in Loop: Header=BB133_19 Depth=1
	global_load_ushort v17, v[12:13], off offset:4
	global_load_ushort v38, v[12:13], off offset:8
	s_waitcnt vmcnt(0)
	v_perm_b32 v12, v17, v38, s33
	v_and_b32_e32 v38, 0x3f3f3f3f, v12
.LBB133_23:                             ;   in Loop: Header=BB133_19 Depth=1
	s_or_b64 exec, exec, s[8:9]
	global_load_dword v11, v[10:11], off
	s_waitcnt vmcnt(10)
	v_cvt_f32_f16_e32 v12, v15
	s_waitcnt vmcnt(9)
	v_cvt_f32_f16_e32 v10, v16
	v_mov_b32_e32 v41, 0
	v_mov_b32_e32 v13, 0
	s_waitcnt vmcnt(7)
	v_dot4c_i32_i8_e32 v41, 0x1010101, v35
	s_waitcnt vmcnt(5)
	v_dot4c_i32_i8_e32 v13, 0x1010101, v31
	v_cndmask_b32_e64 v15, 0, 1, s[22:23]
	v_dot4c_i32_i8_e32 v41, 0x1010101, v33
	v_cmp_ne_u32_e64 s[8:9], 1, v15
	s_andn2_b64 vcc, exec, s[22:23]
	v_dot4c_i32_i8_e32 v13, 0x1010101, v30
	s_cbranch_vccnz .LBB133_29
; %bb.24:                               ;   in Loop: Header=BB133_19 Depth=1
	v_mov_b64_e32 v[16:17], s[36:37]
	v_mad_i64_i32 v[14:15], s[28:29], v14, s31, v[16:17]
	v_lshl_add_u64 v[16:17], v[14:15], 0, v[4:5]
	v_lshl_add_u64 v[46:47], v[16:17], 0, v[0:1]
	global_load_dword v39, v[46:47], off offset:64
	global_load_dword v43, v[16:17], off offset:16
	;; [unrolled: 1-line block ×4, first 2 shown]
	v_lshl_add_u64 v[16:17], v[14:15], 0, v[2:3]
                                        ; implicit-def: $vgpr45
	s_and_saveexec_b64 s[28:29], s[0:1]
	s_xor_b64 s[28:29], exec, s[28:29]
	s_cbranch_execz .LBB133_26
; %bb.25:                               ;   in Loop: Header=BB133_19 Depth=1
	global_load_ushort v45, v[16:17], off
	global_load_ushort v46, v[16:17], off offset:8
	global_load_ushort v47, v[16:17], off offset:4
	s_waitcnt vmcnt(1)
	v_lshrrev_b16_e32 v16, 4, v46
	s_waitcnt vmcnt(0)
	v_perm_b32 v17, v47, v45, s33
	v_perm_b32 v16, v16, v46, s33
	v_and_b32_e32 v16, 0xf0f0f0f, v16
	v_pk_lshrrev_b16 v17, 2, v17 op_sel_hi:[0,1]
	v_and_or_b32 v45, v17, s38, v16
                                        ; implicit-def: $vgpr16_vgpr17
.LBB133_26:                             ;   in Loop: Header=BB133_19 Depth=1
	s_andn2_saveexec_b64 s[28:29], s[28:29]
	s_cbranch_execz .LBB133_28
; %bb.27:                               ;   in Loop: Header=BB133_19 Depth=1
	global_load_ushort v45, v[16:17], off offset:4
	global_load_ushort v46, v[16:17], off offset:8
	s_waitcnt vmcnt(0)
	v_perm_b32 v16, v46, v45, s33
	v_and_b32_e32 v45, 0x3f3f3f3f, v16
.LBB133_28:                             ;   in Loop: Header=BB133_19 Depth=1
	s_or_b64 exec, exec, s[28:29]
	global_load_dword v46, v[14:15], off
	s_waitcnt vmcnt(1)
	v_ashrrev_i32_e32 v15, v27, v44
	v_ashrrev_i32_e32 v16, v27, v43
	v_and_b32_e32 v17, 0xf0f0f0f, v42
	v_and_b32_e32 v43, 0xf0f0f0f, v39
	v_lshrrev_b32_e32 v39, 4, v39
	v_lshlrev_b32_e32 v48, 4, v16
	v_lshlrev_b32_e32 v49, 4, v15
	v_mov_b32_e32 v44, v3
	v_lshrrev_b32_e32 v42, 4, v42
	v_and_b32_e32 v39, 0xf0f0f0f, v39
	v_lshlrev_b32_e32 v15, 3, v15
	v_and_or_b32 v48, v48, s39, v17
	v_and_or_b32 v17, v49, s39, v43
	v_pk_lshrrev_b16 v14, 8, v45 op_sel_hi:[0,1]
	v_and_b32_e32 v45, 0xff00ff, v45
	v_mov_b32_e32 v47, v3
	v_and_b32_e32 v42, 0xf0f0f0f, v42
	v_lshlrev_b32_e32 v16, 3, v16
	v_and_or_b32 v15, v15, s39, v39
	v_dot4c_i32_i8_e32 v44, v17, v35
	v_lshrrev_b32_e32 v51, 16, v45
	v_and_b32_e32 v45, 0xff, v45
	v_and_or_b32 v16, v16, s39, v42
	v_dot4c_i32_i8_e32 v47, v15, v31
	v_dot4c_i32_i8_e32 v44, v48, v33
	v_lshrrev_b32_e32 v50, 16, v14
	v_and_b32_e32 v14, 0xff, v14
	v_mul_lo_u32 v39, v41, v51
	v_dot4c_i32_i8_e32 v47, v16, v30
	v_mul_lo_u32 v16, v44, v45
	v_mul_lo_u32 v42, v13, v50
	v_cvt_f32_i32_e32 v15, v39
	v_mul_lo_u32 v39, v47, v14
	v_cvt_f32_i32_e32 v14, v16
	v_cvt_f32_i32_e32 v17, v42
	;; [unrolled: 1-line block ×3, first 2 shown]
	v_pk_fma_f32 v[14:15], v[12:13], v[14:15], 0 op_sel_hi:[0,1,0]
	v_pk_fma_f32 v[14:15], v[10:11], v[16:17], v[14:15] op_sel_hi:[0,1,1]
	s_waitcnt vmcnt(0)
	v_cvt_f32_f16_sdwa v43, v46 dst_sel:DWORD dst_unused:UNUSED_PAD src0_sel:WORD_1
	v_cvt_f32_f16_e32 v42, v46
	v_pk_mul_f32 v[14:15], v[14:15], v[42:43]
	s_nop 0
	v_sub_f32_e32 v14, v14, v15
	v_add_f32_e32 v28, v28, v14
	v_mov_b32_e32 v39, v28
.LBB133_29:                             ;   in Loop: Header=BB133_19 Depth=1
	v_add_u32_e32 v48, s27, v24
	v_mov_b64_e32 v[14:15], s[16:17]
	v_mad_i64_i32 v[14:15], s[28:29], v48, s31, v[14:15]
	v_lshl_add_u64 v[16:17], v[14:15], 0, v[4:5]
	v_lshl_add_u64 v[46:47], v[16:17], 0, v[0:1]
	global_load_dword v42, v[46:47], off offset:64
	global_load_dword v44, v[16:17], off offset:16
	;; [unrolled: 1-line block ×4, first 2 shown]
	v_lshl_add_u64 v[16:17], v[14:15], 0, v[2:3]
                                        ; implicit-def: $vgpr47
	s_and_saveexec_b64 s[28:29], s[0:1]
	s_xor_b64 s[28:29], exec, s[28:29]
	s_cbranch_execnz .LBB133_32
; %bb.30:                               ;   in Loop: Header=BB133_19 Depth=1
	s_andn2_saveexec_b64 s[28:29], s[28:29]
	s_cbranch_execnz .LBB133_33
.LBB133_31:                             ;   in Loop: Header=BB133_19 Depth=1
	s_or_b64 exec, exec, s[28:29]
	global_load_dword v46, v[14:15], off
	s_and_b64 vcc, exec, s[8:9]
	s_cbranch_vccz .LBB133_34
	s_branch .LBB133_18
.LBB133_32:                             ;   in Loop: Header=BB133_19 Depth=1
	global_load_ushort v46, v[16:17], off offset:8
	global_load_ushort v47, v[16:17], off offset:4
	global_load_ushort v49, v[16:17], off
	s_waitcnt vmcnt(1)
	v_lshrrev_b16_e32 v16, 2, v47
	s_waitcnt vmcnt(0)
	v_perm_b32 v17, v49, v46, s33
	v_perm_b32 v16, v46, v16, s33
	v_pk_lshrrev_b16 v17, s34, v17
	v_and_b32_e32 v16, 0xf0f3030, v16
	v_and_or_b32 v47, v17, s35, v16
                                        ; implicit-def: $vgpr16_vgpr17
	s_andn2_saveexec_b64 s[28:29], s[28:29]
	s_cbranch_execz .LBB133_31
.LBB133_33:                             ;   in Loop: Header=BB133_19 Depth=1
	global_load_ushort v46, v[16:17], off offset:4
	global_load_ushort v47, v[16:17], off offset:8
	s_waitcnt vmcnt(0)
	v_perm_b32 v16, v46, v47, s33
	v_and_b32_e32 v47, 0x3f3f3f3f, v16
	s_or_b64 exec, exec, s[28:29]
	global_load_dword v46, v[14:15], off
	s_and_b64 vcc, exec, s[8:9]
	s_cbranch_vccnz .LBB133_18
.LBB133_34:                             ;   in Loop: Header=BB133_19 Depth=1
	v_mov_b64_e32 v[14:15], s[36:37]
	v_mad_i64_i32 v[14:15], s[8:9], v48, s31, v[14:15]
	v_lshl_add_u64 v[16:17], v[14:15], 0, v[4:5]
	v_lshl_add_u64 v[52:53], v[16:17], 0, v[0:1]
	global_load_dword v40, v[52:53], off offset:64
	global_load_dword v49, v[16:17], off offset:16
	;; [unrolled: 1-line block ×4, first 2 shown]
	v_lshl_add_u64 v[16:17], v[14:15], 0, v[2:3]
                                        ; implicit-def: $vgpr51
	s_and_saveexec_b64 s[8:9], s[0:1]
	s_xor_b64 s[8:9], exec, s[8:9]
	s_cbranch_execz .LBB133_36
; %bb.35:                               ;   in Loop: Header=BB133_19 Depth=1
	global_load_ushort v51, v[16:17], off
	global_load_ushort v52, v[16:17], off offset:8
	global_load_ushort v53, v[16:17], off offset:4
	s_waitcnt vmcnt(1)
	v_lshrrev_b16_e32 v16, 4, v52
	s_waitcnt vmcnt(0)
	v_perm_b32 v17, v53, v51, s33
	v_perm_b32 v16, v16, v52, s33
	v_and_b32_e32 v16, 0xf0f0f0f, v16
	v_pk_lshrrev_b16 v17, 2, v17 op_sel_hi:[0,1]
	v_and_or_b32 v51, v17, s38, v16
                                        ; implicit-def: $vgpr16_vgpr17
.LBB133_36:                             ;   in Loop: Header=BB133_19 Depth=1
	s_andn2_saveexec_b64 s[8:9], s[8:9]
	s_cbranch_execz .LBB133_17
; %bb.37:                               ;   in Loop: Header=BB133_19 Depth=1
	global_load_ushort v51, v[16:17], off offset:4
	global_load_ushort v52, v[16:17], off offset:8
	s_waitcnt vmcnt(0)
	v_perm_b32 v16, v52, v51, s33
	v_and_b32_e32 v51, 0x3f3f3f3f, v16
	s_branch .LBB133_17
.LBB133_38:
	s_or_b64 exec, exec, s[18:19]
	ds_write2_b32 v22, v29, v26 offset1:1
	ds_write2_b32 v21, v39, v40 offset1:1
.LBB133_39:
	s_or_b64 exec, exec, s[12:13]
	s_load_dword s12, s[2:3], 0x30
	s_mov_b32 s13, 0
	v_cmp_eq_u32_e64 s[0:1], 0, v23
	v_cmp_ne_u32_e32 vcc, 0, v23
	v_lshlrev_b32_e32 v0, 2, v18
	s_and_saveexec_b64 s[8:9], vcc
	s_cbranch_execz .LBB133_44
; %bb.40:
	v_add_u32_e32 v1, -1, v23
	v_lshl_or_b32 v2, v1, 9, v0
	s_and_b64 vcc, exec, s[22:23]
	ds_write_b32 v2, v29
	s_cbranch_vccz .LBB133_42
; %bb.41:
	s_movk_i32 s13, 0x200
	ds_write2st64_b32 v2, v26, v28 offset0:1 offset1:2
	s_branch .LBB133_43
.LBB133_42:
	v_mov_b32_e32 v25, v26
.LBB133_43:
	v_lshlrev_b32_e32 v1, 9, v1
	v_add3_u32 v1, s13, v1, v0
	ds_write_b32 v1, v25 offset:256
.LBB133_44:
	s_or_b64 exec, exec, s[8:9]
	s_waitcnt lgkmcnt(0)
	s_barrier
	s_and_saveexec_b64 s[8:9], s[0:1]
	s_cbranch_execz .LBB133_77
; %bb.45:
	ds_read_b32 v2, v0
	ds_read_b32 v3, v22
	v_cndmask_b32_e64 v1, 0, 1, s[22:23]
	v_cmp_ne_u32_e64 s[0:1], 1, v1
	s_andn2_b64 vcc, exec, s[22:23]
	s_cbranch_vccnz .LBB133_47
; %bb.46:
	ds_read_b32 v1, v0 offset:512
	ds_read_b32 v4, v21
	s_waitcnt lgkmcnt(0)
	v_add_f32_e32 v1, v1, v4
	ds_write_b32 v21, v1
.LBB133_47:
	v_mbcnt_lo_u32_b32 v1, -1, 0
	v_mbcnt_hi_u32_b32 v6, -1, v1
	v_and_b32_e32 v1, 64, v6
	v_add_u32_e32 v7, 64, v1
	v_xor_b32_e32 v1, 32, v6
	v_cmp_lt_i32_e32 vcc, v1, v7
	s_waitcnt lgkmcnt(0)
	v_add_f32_e32 v3, v2, v3
	v_xor_b32_e32 v2, 16, v6
	v_cndmask_b32_e32 v1, v6, v1, vcc
	v_lshlrev_b32_e32 v1, 2, v1
	ds_bpermute_b32 v4, v1, v3
	v_cmp_lt_i32_e32 vcc, v2, v7
	v_xor_b32_e32 v10, 1, v6
	s_waitcnt lgkmcnt(0)
	v_add_f32_e32 v4, v3, v4
	v_cndmask_b32_e32 v2, v6, v2, vcc
	v_lshlrev_b32_e32 v2, 2, v2
	ds_bpermute_b32 v5, v2, v4
	v_xor_b32_e32 v3, 8, v6
	v_cmp_lt_i32_e32 vcc, v3, v7
	s_waitcnt lgkmcnt(0)
	v_add_f32_e32 v5, v4, v5
	v_cndmask_b32_e32 v3, v6, v3, vcc
	v_lshlrev_b32_e32 v3, 2, v3
	ds_bpermute_b32 v8, v3, v5
	v_xor_b32_e32 v4, 4, v6
	v_cmp_lt_i32_e32 vcc, v4, v7
	;; [unrolled: 7-line block ×3, first 2 shown]
	s_waitcnt lgkmcnt(0)
	v_add_f32_e32 v8, v8, v9
	v_cndmask_b32_e32 v5, v6, v5, vcc
	v_lshlrev_b32_e32 v5, 2, v5
	ds_bpermute_b32 v9, v5, v8
	v_cmp_lt_i32_e32 vcc, v10, v7
	s_waitcnt lgkmcnt(0)
	v_add_f32_e32 v7, v8, v9
	v_cndmask_b32_e32 v6, v6, v10, vcc
	v_lshlrev_b32_e32 v6, 2, v6
	ds_bpermute_b32 v8, v6, v7
	s_and_b64 vcc, exec, s[0:1]
	s_waitcnt lgkmcnt(0)
	v_add_f32_e32 v7, v7, v8
	ds_write_b32 v22, v7
	s_cbranch_vccnz .LBB133_49
; %bb.48:
	ds_read_b32 v7, v21
	s_waitcnt lgkmcnt(0)
	ds_bpermute_b32 v8, v1, v7
	s_waitcnt lgkmcnt(0)
	v_add_f32_e32 v7, v7, v8
	ds_bpermute_b32 v8, v2, v7
	s_waitcnt lgkmcnt(0)
	v_add_f32_e32 v7, v7, v8
	;; [unrolled: 3-line block ×6, first 2 shown]
	ds_write_b32 v21, v7
.LBB133_49:
	ds_read_b32 v7, v0 offset:256
	ds_read_b32 v8, v22 offset:4
	s_and_b64 vcc, exec, s[0:1]
	s_cbranch_vccnz .LBB133_51
; %bb.50:
	ds_read_b32 v9, v0 offset:768
	ds_read_b32 v10, v21 offset:4
	s_waitcnt lgkmcnt(0)
	v_add_f32_e32 v9, v9, v10
	ds_write_b32 v21, v9 offset:4
.LBB133_51:
	s_waitcnt lgkmcnt(0)
	v_add_f32_e32 v7, v7, v8
	ds_bpermute_b32 v8, v1, v7
	s_and_b64 vcc, exec, s[0:1]
	s_waitcnt lgkmcnt(0)
	v_add_f32_e32 v7, v7, v8
	ds_bpermute_b32 v8, v2, v7
	s_waitcnt lgkmcnt(0)
	v_add_f32_e32 v7, v7, v8
	ds_bpermute_b32 v8, v3, v7
	;; [unrolled: 3-line block ×5, first 2 shown]
	s_waitcnt lgkmcnt(0)
	v_add_f32_e32 v7, v7, v8
	ds_write_b32 v22, v7 offset:4
	s_cbranch_vccnz .LBB133_53
; %bb.52:
	ds_read_b32 v7, v21 offset:4
	s_waitcnt lgkmcnt(0)
	ds_bpermute_b32 v1, v1, v7
	s_waitcnt lgkmcnt(0)
	v_add_f32_e32 v1, v7, v1
	ds_bpermute_b32 v2, v2, v1
	s_waitcnt lgkmcnt(0)
	v_add_f32_e32 v1, v1, v2
	;; [unrolled: 3-line block ×6, first 2 shown]
	ds_write_b32 v21, v1 offset:4
.LBB133_53:
	v_add_u32_e32 v1, s20, v18
	v_cmp_gt_u32_e32 vcc, 2, v18
	v_cmp_gt_u32_e64 s[8:9], s7, v1
	s_and_b64 s[8:9], vcc, s[8:9]
	s_and_b64 exec, exec, s[8:9]
	s_cbranch_execz .LBB133_77
; %bb.54:
	v_lshl_add_u32 v1, v18, 2, v22
	ds_read_b32 v1, v1
	s_and_b64 vcc, exec, s[0:1]
	s_waitcnt vmcnt(0) lgkmcnt(0)
	v_add_f32_e32 v2, v20, v1
	v_cndmask_b32_e64 v1, v2, v1, s[10:11]
	s_cbranch_vccnz .LBB133_76
; %bb.55:
	v_lshl_add_u32 v2, v18, 2, v21
	ds_read_b32 v2, v2
	s_cmp_lt_i32 s12, 2
	s_mov_b64 s[0:1], 0
	s_waitcnt lgkmcnt(0)
	v_add_f32_e32 v3, v19, v2
	v_cndmask_b32_e64 v2, v2, v3, s[4:5]
	s_cbranch_scc1 .LBB133_59
; %bb.56:
	s_cmp_gt_i32 s12, 2
	s_cbranch_scc0 .LBB133_60
; %bb.57:
	s_cmp_eq_u32 s12, 3
	s_cbranch_scc0 .LBB133_61
; %bb.58:
	v_max_f32_e32 v3, v2, v2
	v_min_f32_e32 v3, 0x40e00000, v3
	v_mul_f32_e32 v5, 0xbfd9db23, v3
	s_mov_b32 s4, 0x3fb8aa3b
	v_mul_f32_e32 v4, 0x3fb8aa3b, v5
	v_fma_f32 v6, v5, s4, -v4
	v_rndne_f32_e32 v7, v4
	v_fmamk_f32 v6, v5, 0x32a5705f, v6
	v_sub_f32_e32 v4, v4, v7
	v_add_f32_e32 v4, v4, v6
	v_exp_f32_e32 v6, v4
	v_cvt_i32_f32_e32 v7, v7
	s_mov_b32 s4, 0xc2ce8ed0
	v_max_f32_e32 v4, v1, v1
	v_cmp_ngt_f32_e32 vcc, s4, v5
	v_ldexp_f32 v6, v6, v7
	s_mov_b32 s4, 0x42b17218
	v_min_f32_e32 v4, 0x40e00000, v4
	v_cndmask_b32_e32 v6, 0, v6, vcc
	v_mov_b32_e32 v7, 0x7f800000
	v_cmp_nlt_f32_e32 vcc, s4, v5
	v_max_f32_e32 v4, 0xc0e00000, v4
	s_nop 0
	v_cndmask_b32_e32 v5, v7, v6, vcc
	v_pk_add_f32 v[4:5], v[4:5], 1.0 op_sel_hi:[1,0]
	s_nop 0
	v_div_scale_f32 v6, s[4:5], v5, v5, v3
	v_rcp_f32_e32 v7, v6
	s_mov_b64 s[4:5], 0
	v_fma_f32 v8, -v6, v7, 1.0
	v_fmac_f32_e32 v7, v8, v7
	v_div_scale_f32 v8, vcc, v3, v5, v3
	v_mul_f32_e32 v9, v8, v7
	v_fma_f32 v10, -v6, v9, v8
	v_fmac_f32_e32 v9, v10, v7
	v_fma_f32 v6, -v6, v9, v8
	v_div_fmas_f32 v6, v6, v7, v9
	v_div_fixup_f32 v3, v6, v5, v3
	v_mul_f32_e32 v3, v4, v3
	s_branch .LBB133_62
.LBB133_59:
                                        ; implicit-def: $vgpr3
	s_mov_b64 s[4:5], 0
	s_cbranch_execnz .LBB133_66
	s_branch .LBB133_67
.LBB133_60:
	s_mov_b64 s[8:9], -1
	s_mov_b64 s[4:5], 0
                                        ; implicit-def: $vgpr3
	s_branch .LBB133_63
.LBB133_61:
	s_mov_b64 s[4:5], -1
                                        ; implicit-def: $vgpr3
.LBB133_62:
	s_mov_b64 s[8:9], 0
.LBB133_63:
	s_and_b64 vcc, exec, s[8:9]
	s_cbranch_vccz .LBB133_65
; %bb.64:
	v_mul_f32_e32 v3, 0xbfb8aa3b, v2
	s_mov_b32 s7, 0xbfb8aa3b
	v_rndne_f32_e32 v4, v3
	v_sub_f32_e32 v5, v3, v4
	v_fma_f32 v3, v2, s7, -v3
	v_fmamk_f32 v3, v2, 0xb2a5705f, v3
	v_add_f32_e32 v3, v5, v3
	v_exp_f32_e32 v3, v3
	v_cvt_i32_f32_e32 v4, v4
	s_mov_b32 s7, 0x42ce8ed0
	v_cmp_nlt_f32_e32 vcc, s7, v2
	s_mov_b32 s7, 0xc2b17218
	v_ldexp_f32 v3, v3, v4
	v_cndmask_b32_e32 v3, 0, v3, vcc
	v_mov_b32_e32 v4, 0x7f800000
	v_cmp_ngt_f32_e32 vcc, s7, v2
	s_nop 1
	v_cndmask_b32_e32 v3, v4, v3, vcc
	v_add_f32_e32 v3, 1.0, v3
	v_div_scale_f32 v4, s[8:9], v3, v3, v2
	v_rcp_f32_e32 v5, v4
	s_nop 0
	v_fma_f32 v6, -v4, v5, 1.0
	v_fmac_f32_e32 v5, v6, v5
	v_div_scale_f32 v6, vcc, v2, v3, v2
	v_mul_f32_e32 v7, v6, v5
	v_fma_f32 v8, -v4, v7, v6
	v_fmac_f32_e32 v7, v8, v5
	v_fma_f32 v4, -v4, v7, v6
	v_div_fmas_f32 v4, v4, v5, v7
	v_div_fixup_f32 v3, v4, v3, v2
	v_mul_f32_e32 v3, v1, v3
.LBB133_65:
	s_branch .LBB133_67
.LBB133_66:
	s_cmp_lg_u32 s12, 1
	s_mov_b64 s[0:1], -1
	s_cselect_b64 s[4:5], -1, 0
                                        ; implicit-def: $vgpr3
.LBB133_67:
	s_andn2_b64 vcc, exec, s[4:5]
	s_cbranch_vccz .LBB133_69
; %bb.68:
	s_andn2_b64 vcc, exec, s[0:1]
	s_cbranch_vccz .LBB133_70
	s_branch .LBB133_75
.LBB133_69:
	v_mul_f32_e32 v3, v1, v2
	s_cbranch_execnz .LBB133_75
.LBB133_70:
	v_mul_f32_e32 v4, 0x3d372713, v2
	v_mul_f32_e32 v3, 0x3f4c422a, v2
	v_fma_f32 v4, v2, v4, 1.0
	v_mul_f32_e32 v3, v3, v4
	s_mov_b32 s0, 0x3f200000
	v_cmp_nlt_f32_e64 s[0:1], |v3|, s0
                                        ; implicit-def: $vgpr4
	s_and_saveexec_b64 s[4:5], s[0:1]
	s_xor_b64 s[0:1], exec, s[4:5]
	s_cbranch_execz .LBB133_72
; %bb.71:
	v_add_f32_e64 v4, |v3|, |v3|
	v_mul_f32_e32 v5, 0x3fb8aa3b, v4
	s_mov_b32 s4, 0x3fb8aa3b
	v_rndne_f32_e32 v6, v5
	v_sub_f32_e32 v7, v5, v6
	v_fma_f32 v5, v4, s4, -v5
	v_fmamk_f32 v5, v4, 0x32a5705f, v5
	v_add_f32_e32 v5, v7, v5
	v_exp_f32_e32 v5, v5
	v_cvt_i32_f32_e32 v6, v6
	s_mov_b32 s4, 0xc2ce8ed0
	v_cmp_ngt_f32_e32 vcc, s4, v4
	s_mov_b32 s4, 0x42b17218
	v_ldexp_f32 v5, v5, v6
	v_cndmask_b32_e32 v5, 0, v5, vcc
	v_mov_b32_e32 v6, 0x7f800000
	v_cmp_nlt_f32_e32 vcc, s4, v4
	s_nop 1
	v_cndmask_b32_e32 v4, v6, v5, vcc
	v_add_f32_e32 v4, 1.0, v4
	v_rcp_f32_e32 v4, v4
	s_nop 0
	v_fma_f32 v4, v4, -2.0, 1.0
.LBB133_72:
	s_andn2_saveexec_b64 s[0:1], s[0:1]
; %bb.73:
	v_mul_f32_e32 v4, v3, v3
	v_mov_b32_e32 v5, 0x3ca908c9
	v_fmac_f32_e32 v5, 0xbbbac73d, v4
	v_fmaak_f32 v5, v4, v5, 0xbd5c1c4e
	v_fmaak_f32 v5, v4, v5, 0x3e088382
	v_fmaak_f32 v5, v4, v5, 0xbeaaaa99
	v_mul_f32_e64 v5, |v3|, v5
	v_fma_f32 v4, v4, v5, |v3|
; %bb.74:
	s_or_b64 exec, exec, s[0:1]
	s_brev_b32 s0, -2
	v_bfi_b32 v3, s0, v4, v3
	v_mul_f32_e32 v2, 0.5, v2
	v_add_f32_e32 v3, 1.0, v3
	v_mul_f32_e32 v2, v2, v3
	v_mul_f32_e32 v3, v1, v2
.LBB133_75:
	v_mov_b32_e32 v1, v3
.LBB133_76:
	s_load_dwordx2 s[0:1], s[2:3], 0x38
	s_mul_i32 s4, s14, s26
	s_mul_i32 s6, s6, s30
	s_add_i32 s2, s4, s20
	s_add_i32 s2, s2, s6
	s_mov_b32 s3, 0
	s_lshl_b64 s[2:3], s[2:3], 2
	s_waitcnt lgkmcnt(0)
	s_add_u32 s0, s0, s2
	s_addc_u32 s1, s1, s3
	global_store_dword v0, v1, s[0:1]
.LBB133_77:
	s_endpgm
	.section	.rodata,"a",@progbits
	.p2align	6, 0x0
	.amdhsa_kernel _ZL13mul_mat_vec_qIL9ggml_type13ELi1ELb1ELb1EEvPKvS2_PKi31ggml_cuda_mm_fusion_args_devicePfj15HIP_vector_typeIjLj3EEjjjS8_jjjS8_jjjj
		.amdhsa_group_segment_fixed_size 3072
		.amdhsa_private_segment_fixed_size 0
		.amdhsa_kernarg_size 144
		.amdhsa_user_sgpr_count 4
		.amdhsa_user_sgpr_dispatch_ptr 1
		.amdhsa_user_sgpr_queue_ptr 0
		.amdhsa_user_sgpr_kernarg_segment_ptr 1
		.amdhsa_user_sgpr_dispatch_id 0
		.amdhsa_user_sgpr_kernarg_preload_length 0
		.amdhsa_user_sgpr_kernarg_preload_offset 0
		.amdhsa_user_sgpr_private_segment_size 0
		.amdhsa_uses_dynamic_stack 0
		.amdhsa_enable_private_segment 0
		.amdhsa_system_sgpr_workgroup_id_x 1
		.amdhsa_system_sgpr_workgroup_id_y 1
		.amdhsa_system_sgpr_workgroup_id_z 1
		.amdhsa_system_sgpr_workgroup_info 0
		.amdhsa_system_vgpr_workitem_id 2
		.amdhsa_next_free_vgpr 58
		.amdhsa_next_free_sgpr 46
		.amdhsa_accum_offset 60
		.amdhsa_reserve_vcc 1
		.amdhsa_float_round_mode_32 0
		.amdhsa_float_round_mode_16_64 0
		.amdhsa_float_denorm_mode_32 3
		.amdhsa_float_denorm_mode_16_64 3
		.amdhsa_dx10_clamp 1
		.amdhsa_ieee_mode 1
		.amdhsa_fp16_overflow 0
		.amdhsa_tg_split 0
		.amdhsa_exception_fp_ieee_invalid_op 0
		.amdhsa_exception_fp_denorm_src 0
		.amdhsa_exception_fp_ieee_div_zero 0
		.amdhsa_exception_fp_ieee_overflow 0
		.amdhsa_exception_fp_ieee_underflow 0
		.amdhsa_exception_fp_ieee_inexact 0
		.amdhsa_exception_int_div_zero 0
	.end_amdhsa_kernel
	.section	.text._ZL13mul_mat_vec_qIL9ggml_type13ELi1ELb1ELb1EEvPKvS2_PKi31ggml_cuda_mm_fusion_args_devicePfj15HIP_vector_typeIjLj3EEjjjS8_jjjS8_jjjj,"axG",@progbits,_ZL13mul_mat_vec_qIL9ggml_type13ELi1ELb1ELb1EEvPKvS2_PKi31ggml_cuda_mm_fusion_args_devicePfj15HIP_vector_typeIjLj3EEjjjS8_jjjS8_jjjj,comdat
.Lfunc_end133:
	.size	_ZL13mul_mat_vec_qIL9ggml_type13ELi1ELb1ELb1EEvPKvS2_PKi31ggml_cuda_mm_fusion_args_devicePfj15HIP_vector_typeIjLj3EEjjjS8_jjjS8_jjjj, .Lfunc_end133-_ZL13mul_mat_vec_qIL9ggml_type13ELi1ELb1ELb1EEvPKvS2_PKi31ggml_cuda_mm_fusion_args_devicePfj15HIP_vector_typeIjLj3EEjjjS8_jjjS8_jjjj
                                        ; -- End function
	.section	.AMDGPU.csdata,"",@progbits
; Kernel info:
; codeLenInByte = 4868
; NumSgprs: 52
; NumVgprs: 58
; NumAgprs: 0
; TotalNumVgprs: 58
; ScratchSize: 0
; MemoryBound: 0
; FloatMode: 240
; IeeeMode: 1
; LDSByteSize: 3072 bytes/workgroup (compile time only)
; SGPRBlocks: 6
; VGPRBlocks: 7
; NumSGPRsForWavesPerEU: 52
; NumVGPRsForWavesPerEU: 58
; AccumOffset: 60
; Occupancy: 8
; WaveLimiterHint : 0
; COMPUTE_PGM_RSRC2:SCRATCH_EN: 0
; COMPUTE_PGM_RSRC2:USER_SGPR: 4
; COMPUTE_PGM_RSRC2:TRAP_HANDLER: 0
; COMPUTE_PGM_RSRC2:TGID_X_EN: 1
; COMPUTE_PGM_RSRC2:TGID_Y_EN: 1
; COMPUTE_PGM_RSRC2:TGID_Z_EN: 1
; COMPUTE_PGM_RSRC2:TIDIG_COMP_CNT: 2
; COMPUTE_PGM_RSRC3_GFX90A:ACCUM_OFFSET: 14
; COMPUTE_PGM_RSRC3_GFX90A:TG_SPLIT: 0
	.section	.text._ZL13mul_mat_vec_qIL9ggml_type13ELi1ELb0ELb1EEvPKvS2_PKi31ggml_cuda_mm_fusion_args_devicePfj15HIP_vector_typeIjLj3EEjjjS8_jjjS8_jjjj,"axG",@progbits,_ZL13mul_mat_vec_qIL9ggml_type13ELi1ELb0ELb1EEvPKvS2_PKi31ggml_cuda_mm_fusion_args_devicePfj15HIP_vector_typeIjLj3EEjjjS8_jjjS8_jjjj,comdat
	.globl	_ZL13mul_mat_vec_qIL9ggml_type13ELi1ELb0ELb1EEvPKvS2_PKi31ggml_cuda_mm_fusion_args_devicePfj15HIP_vector_typeIjLj3EEjjjS8_jjjS8_jjjj ; -- Begin function _ZL13mul_mat_vec_qIL9ggml_type13ELi1ELb0ELb1EEvPKvS2_PKi31ggml_cuda_mm_fusion_args_devicePfj15HIP_vector_typeIjLj3EEjjjS8_jjjS8_jjjj
	.p2align	8
	.type	_ZL13mul_mat_vec_qIL9ggml_type13ELi1ELb0ELb1EEvPKvS2_PKi31ggml_cuda_mm_fusion_args_devicePfj15HIP_vector_typeIjLj3EEjjjS8_jjjS8_jjjj,@function
_ZL13mul_mat_vec_qIL9ggml_type13ELi1ELb0ELb1EEvPKvS2_PKi31ggml_cuda_mm_fusion_args_devicePfj15HIP_vector_typeIjLj3EEjjjS8_jjjS8_jjjj: ; @_ZL13mul_mat_vec_qIL9ggml_type13ELi1ELb0ELb1EEvPKvS2_PKi31ggml_cuda_mm_fusion_args_devicePfj15HIP_vector_typeIjLj3EEjjjS8_jjjS8_jjjj
; %bb.0:
	s_load_dwordx2 s[8:9], s[2:3], 0x10
	s_load_dwordx4 s[16:19], s[2:3], 0x40
	s_mov_b32 s20, s5
	s_mov_b64 s[14:15], 0
	s_waitcnt lgkmcnt(0)
	s_cmp_lg_u64 s[8:9], 0
	s_cselect_b64 s[12:13], -1, 0
	s_cmp_eq_u64 s[8:9], 0
	s_cbranch_scc1 .LBB134_5
; %bb.1:
	s_mov_b32 s21, 0
	s_lshl_b64 s[10:11], s[20:21], 2
	s_add_u32 s8, s8, s10
	s_addc_u32 s9, s9, s11
	s_load_dword s22, s[8:9], 0x0
	s_nop 0
	s_load_dwordx4 s[8:11], s[2:3], 0x68
	s_load_dword s21, s[2:3], 0x50
	s_andn2_b64 vcc, exec, s[14:15]
	s_cbranch_vccnz .LBB134_3
.LBB134_2:
	s_load_dwordx2 s[14:15], s[2:3], 0x5c
	s_waitcnt lgkmcnt(0)
	s_mul_hi_u32 s5, s14, s20
	s_add_i32 s5, s20, s5
	s_lshr_b32 s22, s5, s15
.LBB134_3:
	s_load_dword s23, s[2:3], 0x78
	s_andn2_b64 vcc, exec, s[12:13]
	s_cbranch_vccnz .LBB134_6
; %bb.4:
	s_mul_hi_u32 s5, s17, s20
	s_add_i32 s5, s20, s5
	s_lshr_b32 s5, s5, s18
	s_mul_i32 s5, s5, s19
	s_sub_i32 s24, s20, s5
	s_branch .LBB134_7
.LBB134_5:
                                        ; implicit-def: $sgpr22
	s_load_dwordx4 s[8:11], s[2:3], 0x68
	s_load_dword s21, s[2:3], 0x50
	s_branch .LBB134_2
.LBB134_6:
	s_mov_b32 s24, s20
.LBB134_7:
	s_load_dwordx2 s[18:19], s[0:1], 0x4
	s_load_dwordx4 s[12:15], s[2:3], 0x80
	v_bfe_u32 v16, v0, 10, 10
	v_and_b32_e32 v15, 0x3ff, v0
	v_bfe_u32 v0, v0, 20, 10
	s_waitcnt lgkmcnt(0)
	s_lshr_b32 s0, s18, 16
	v_mul_u32_u24_e32 v1, s19, v16
	s_mul_i32 s0, s0, s19
	v_mad_u32_u24 v1, s0, v15, v1
	v_lshl_add_u32 v4, v16, 6, v15
	v_add_lshl_u32 v0, v1, v0, 3
	s_lshr_b32 s15, s16, 8
	v_lshrrev_b32_e32 v17, 4, v4
	v_add_u32_e32 v14, 0x200, v0
	s_lshl_b32 s7, s4, 1
	v_mov_b32_e32 v19, 0
	v_cmp_gt_u32_e32 vcc, s15, v17
	v_mov_b32_e32 v20, 0
	ds_write2_b32 v0, v19, v19 offset0:128 offset1:129
	s_and_saveexec_b64 s[4:5], vcc
	s_cbranch_execz .LBB134_19
; %bb.8:
	s_mul_hi_u32 s0, s11, s6
	s_load_dwordx4 s[16:19], s[2:3], 0x0
	s_add_i32 s0, s6, s0
	v_lshlrev_b32_e32 v0, 1, v15
	s_lshr_b32 s0, s0, s23
	v_and_b32_e32 v5, 30, v0
	v_lshrrev_b32_e32 v6, 4, v4
	v_bfe_u32 v4, v15, 2, 2
	s_mul_i32 s11, s0, s12
	v_cmp_lt_u32_e32 vcc, 15, v5
	v_mul_hi_u32_u24_e32 v5, 0x48, v4
	v_mul_u32_u24_e32 v4, 0x48, v4
	s_movk_i32 s0, 0x120
	s_mul_i32 s12, s6, s13
	v_mad_u64_u32 v[4:5], s[0:1], v6, s0, v[4:5]
	s_mul_hi_u32 s0, s12, 36
	s_mul_i32 s12, s12, 36
	s_mul_i32 s9, s24, s9
	s_waitcnt lgkmcnt(0)
	s_add_u32 s12, s18, s12
	s_mul_hi_u32 s1, s9, 36
	s_mul_i32 s9, s9, 36
	s_addc_u32 s18, s19, s0
	s_add_u32 s0, s12, s9
	s_addc_u32 s1, s18, s1
	s_mul_i32 s8, s22, s8
	v_lshl_add_u64 v[4:5], s[0:1], 0, v[4:5]
	s_add_i32 s0, s7, 1
	v_bfe_u32 v8, v0, 3, 2
	v_mov_b32_e32 v1, 0
	v_and_b32_e32 v2, 3, v15
	s_mul_i32 s13, s7, s21
	s_add_i32 s18, s11, s8
	s_mul_i32 s21, s21, s0
	v_lshlrev_b32_e32 v0, 5, v8
	v_lshlrev_b32_e32 v2, 2, v2
	v_mov_b32_e32 v3, v1
	v_lshlrev_b32_e32 v18, 1, v8
	v_lshl_add_u64 v[4:5], v[4:5], 0, 36
	s_add_i32 s11, s18, s13
	s_add_i32 s18, s18, s21
	s_mov_b64 s[8:9], 0
	s_movk_i32 s19, 0xb0
	v_mov_b64_e32 v[6:7], s[16:17]
	v_lshlrev_b32_e32 v8, 1, v8
	v_mov_b32_e32 v9, v1
	s_mov_b32 s16, 0x5040100
	s_mov_b32 s17, 0x20004
	;; [unrolled: 1-line block ×4, first 2 shown]
	s_mov_b64 s[12:13], 0x900
	v_mov_b32_e32 v20, v1
	v_mov_b32_e32 v19, v1
	s_branch .LBB134_10
.LBB134_9:                              ;   in Loop: Header=BB134_10 Depth=1
	s_or_b64 exec, exec, s[0:1]
	global_load_dword v40, v[10:11], off
	s_waitcnt vmcnt(6)
	v_ashrrev_i32_e32 v10, v18, v31
	v_ashrrev_i32_e32 v11, v18, v29
	v_and_b32_e32 v29, 0xf0f0f0f, v28
	v_and_b32_e32 v31, 0xf0f0f0f, v27
	v_lshlrev_b32_e32 v41, 4, v11
	v_lshlrev_b32_e32 v42, 4, v10
	v_and_or_b32 v29, v41, s22, v29
	v_and_or_b32 v31, v42, s22, v31
	v_mov_b32_e32 v41, 0
	v_mov_b32_e32 v13, 0
	v_dot4c_i32_i8_e32 v41, v31, v24
	v_lshrrev_b32_e32 v27, 4, v27
	v_dot4c_i32_i8_e32 v13, 0x1010101, v24
	v_mov_b32_e32 v39, 0
	v_dot4c_i32_i8_e32 v41, v29, v23
	v_bfe_u32 v29, v33, 16, 8
	v_lshrrev_b32_e32 v28, 4, v28
	v_and_b32_e32 v27, 0xf0f0f0f, v27
	v_lshlrev_b32_e32 v10, 3, v10
	v_dot4c_i32_i8_e32 v13, 0x1010101, v23
	v_dot4c_i32_i8_e32 v39, 0x1010101, v22
	v_mul_lo_u32 v29, v41, v29
	v_lshrrev_b16_e32 v31, 8, v33
	v_lshrrev_b32_e32 v41, 24, v33
	v_and_b32_e32 v33, 0xff, v33
	v_and_b32_e32 v28, 0xf0f0f0f, v28
	v_lshlrev_b32_e32 v11, 3, v11
	v_and_or_b32 v10, v10, s22, v27
	v_mov_b32_e32 v27, 0
	v_dot4c_i32_i8_e32 v39, 0x1010101, v21
	v_mul_lo_u32 v33, v13, v33
	v_and_or_b32 v11, v11, s22, v28
	v_dot4c_i32_i8_e32 v27, v10, v22
	v_cvt_f32_i32_e32 v29, v29
	v_cvt_f32_i32_e32 v33, v33
	v_dot4c_i32_i8_e32 v27, v11, v21
	v_mul_lo_u32 v11, v39, v31
	v_cvt_f32_i32_e32 v11, v11
	v_cvt_f32_f16_e32 v12, v25
	v_mul_lo_u32 v10, v27, v41
	v_cvt_f32_i32_e32 v10, v10
	s_waitcnt vmcnt(4)
	v_cvt_f32_f16_sdwa v27, v36 dst_sel:DWORD dst_unused:UNUSED_PAD src0_sel:WORD_1
	v_fma_mix_f32 v29, v25, v29, 0 op_sel_hi:[1,0,0]
	v_fma_mix_f32 v25, v25, v33, 0 op_sel_hi:[1,0,0]
	;; [unrolled: 1-line block ×4, first 2 shown]
	v_cvt_f32_f16_e32 v38, v26
	v_mul_f32_e32 v11, v11, v27
	v_fma_mix_f32 v26, v10, v36, -v11 op_sel_hi:[0,1,0]
	s_waitcnt vmcnt(1)
	v_ashrrev_i32_e32 v10, v18, v37
	v_ashrrev_i32_e32 v11, v18, v35
	v_and_b32_e32 v25, 0xf0f0f0f, v32
	v_and_b32_e32 v27, 0xf0f0f0f, v30
	v_lshlrev_b32_e32 v28, 4, v11
	v_lshlrev_b32_e32 v29, 4, v10
	v_and_or_b32 v25, v28, s22, v25
	v_and_or_b32 v27, v29, s22, v27
	v_mov_b32_e32 v28, 0
	v_dot4c_i32_i8_e32 v28, v27, v24
	v_dot4c_i32_i8_e32 v28, v25, v23
	v_lshrrev_b32_e32 v23, 4, v32
	v_lshrrev_b32_e32 v24, 4, v30
	v_and_b32_e32 v23, 0xf0f0f0f, v23
	v_and_b32_e32 v24, 0xf0f0f0f, v24
	v_lshlrev_b32_e32 v11, 3, v11
	v_lshlrev_b32_e32 v10, 3, v10
	v_and_or_b32 v11, v11, s22, v23
	v_and_or_b32 v10, v10, s22, v24
	v_mov_b32_e32 v23, 0
	v_dot4c_i32_i8_e32 v23, v10, v22
	v_pk_lshrrev_b16 v10, 8, v34 op_sel_hi:[0,1]
	v_dot4c_i32_i8_e32 v23, v11, v21
	v_and_b32_e32 v21, 0xff, v10
	v_lshrrev_b32_e32 v22, 16, v10
	v_and_b32_e32 v10, 0xff00ff, v34
	v_and_b32_e32 v11, 0xff, v10
	v_lshrrev_b32_e32 v10, 16, v10
	v_mul_lo_u32 v10, v28, v10
	v_mul_lo_u32 v13, v13, v11
	v_cvt_f32_i32_e32 v11, v10
	v_cvt_f32_i32_e32 v10, v13
	v_mul_lo_u32 v13, v23, v22
	v_mul_lo_u32 v21, v39, v21
	v_cvt_f32_i32_e32 v23, v13
	v_cvt_f32_i32_e32 v22, v21
	s_waitcnt vmcnt(0)
	v_cvt_f32_f16_sdwa v24, v40 dst_sel:DWORD dst_unused:UNUSED_PAD src0_sel:WORD_1
	v_cvt_f32_f16_e32 v25, v40
	v_pk_fma_f32 v[10:11], v[12:13], v[10:11], 0 op_sel_hi:[0,1,0]
	v_pk_fma_f32 v[10:11], v[38:39], v[22:23], v[10:11] op_sel_hi:[0,1,1]
	v_add_u32_e32 v17, 8, v17
	v_pk_mul_f32 v[10:11], v[10:11], v[24:25]
	v_cmp_le_u32_e64 s[0:1], s15, v17
	v_sub_f32_e32 v10, v11, v10
	v_add_f32_e32 v19, v19, v26
	v_add_f32_e32 v20, v20, v10
	s_or_b64 s[8:9], s[0:1], s[8:9]
	v_lshl_add_u64 v[4:5], v[4:5], 0, s[12:13]
	s_andn2_b64 exec, exec, s[8:9]
	s_cbranch_execz .LBB134_18
.LBB134_10:                             ; =>This Inner Loop Header: Depth=1
	v_lshl_add_u64 v[10:11], v[4:5], 0, v[2:3]
	global_load_dword v25, v[4:5], off offset:-36
	global_load_dword v26, v[4:5], off
	global_load_dword v23, v[10:11], off offset:-32
	global_load_dword v24, v[10:11], off offset:-16
	global_load_dword v21, v[10:11], off offset:4
	global_load_dword v22, v[10:11], off offset:20
	v_add_u32_e32 v10, s11, v17
	v_mad_i64_i32 v[12:13], s[0:1], v10, s19, v[6:7]
	v_lshl_add_u64 v[10:11], v[12:13], 0, v[2:3]
	v_lshl_add_u64 v[32:33], v[10:11], 0, v[0:1]
	global_load_dword v27, v[32:33], off offset:64
	global_load_dword v29, v[10:11], off offset:16
	;; [unrolled: 1-line block ×4, first 2 shown]
	v_lshl_add_u64 v[10:11], v[12:13], 0, v[8:9]
                                        ; implicit-def: $vgpr33
	s_and_saveexec_b64 s[0:1], vcc
	s_xor_b64 s[0:1], exec, s[0:1]
	s_cbranch_execz .LBB134_12
; %bb.11:                               ;   in Loop: Header=BB134_10 Depth=1
	global_load_ushort v30, v[10:11], off offset:8
	global_load_ushort v32, v[10:11], off offset:4
	global_load_ushort v33, v[10:11], off
	s_waitcnt vmcnt(1)
	v_lshrrev_b16_e32 v10, 2, v32
	s_waitcnt vmcnt(0)
	v_perm_b32 v11, v33, v30, s16
	v_perm_b32 v10, v30, v10, s16
	v_pk_lshrrev_b16 v11, s17, v11
	v_and_b32_e32 v10, 0xf0f3030, v10
	v_and_or_b32 v33, v11, s21, v10
                                        ; implicit-def: $vgpr10_vgpr11
.LBB134_12:                             ;   in Loop: Header=BB134_10 Depth=1
	s_andn2_saveexec_b64 s[0:1], s[0:1]
	s_cbranch_execz .LBB134_14
; %bb.13:                               ;   in Loop: Header=BB134_10 Depth=1
	global_load_ushort v30, v[10:11], off offset:4
	global_load_ushort v32, v[10:11], off offset:8
	s_waitcnt vmcnt(0)
	v_perm_b32 v10, v30, v32, s16
	v_and_b32_e32 v33, 0x3f3f3f3f, v10
.LBB134_14:                             ;   in Loop: Header=BB134_10 Depth=1
	s_or_b64 exec, exec, s[0:1]
	v_add_u32_e32 v10, s18, v17
	v_mad_i64_i32 v[10:11], s[0:1], v10, s19, v[6:7]
	v_lshl_add_u64 v[38:39], v[10:11], 0, v[2:3]
	v_lshl_add_u64 v[40:41], v[38:39], 0, v[0:1]
	global_load_dword v30, v[40:41], off offset:64
	global_load_dword v36, v[12:13], off
	global_load_dword v35, v[38:39], off offset:16
	global_load_dword v32, v[40:41], off offset:48
	;; [unrolled: 1-line block ×3, first 2 shown]
	v_lshl_add_u64 v[12:13], v[10:11], 0, v[8:9]
                                        ; implicit-def: $vgpr34
	s_and_saveexec_b64 s[0:1], vcc
	s_xor_b64 s[0:1], exec, s[0:1]
	s_cbranch_execz .LBB134_16
; %bb.15:                               ;   in Loop: Header=BB134_10 Depth=1
	global_load_ushort v34, v[12:13], off offset:8
	global_load_ushort v38, v[12:13], off offset:4
	global_load_ushort v39, v[12:13], off
	s_waitcnt vmcnt(1)
	v_lshrrev_b16_e32 v12, 2, v38
	s_waitcnt vmcnt(0)
	v_perm_b32 v13, v39, v34, s16
	v_perm_b32 v12, v34, v12, s16
	v_pk_lshrrev_b16 v13, s17, v13
	v_and_b32_e32 v12, 0xf0f3030, v12
	v_and_or_b32 v34, v13, s21, v12
                                        ; implicit-def: $vgpr12_vgpr13
.LBB134_16:                             ;   in Loop: Header=BB134_10 Depth=1
	s_andn2_saveexec_b64 s[0:1], s[0:1]
	s_cbranch_execz .LBB134_9
; %bb.17:                               ;   in Loop: Header=BB134_10 Depth=1
	global_load_ushort v34, v[12:13], off offset:4
	global_load_ushort v38, v[12:13], off offset:8
	s_waitcnt vmcnt(0)
	v_perm_b32 v12, v34, v38, s16
	v_and_b32_e32 v34, 0x3f3f3f3f, v12
	s_branch .LBB134_9
.LBB134_18:
	s_or_b64 exec, exec, s[8:9]
	ds_write2_b32 v14, v19, v20 offset1:1
.LBB134_19:
	s_or_b64 exec, exec, s[4:5]
	v_cmp_eq_u32_e32 vcc, 0, v16
	v_cmp_ne_u32_e64 s[0:1], 0, v16
	v_lshlrev_b32_e32 v0, 2, v15
	s_and_saveexec_b64 s[4:5], s[0:1]
	s_cbranch_execz .LBB134_21
; %bb.20:
	v_lshl_or_b32 v1, v16, 9, v0
	v_add_u32_e32 v1, 0xfffffe00, v1
	ds_write2st64_b32 v1, v19, v20 offset1:1
.LBB134_21:
	s_or_b64 exec, exec, s[4:5]
	s_waitcnt lgkmcnt(0)
	s_barrier
	s_and_saveexec_b64 s[0:1], vcc
	s_cbranch_execz .LBB134_24
; %bb.22:
	v_mbcnt_lo_u32_b32 v1, -1, 0
	v_mbcnt_hi_u32_b32 v1, -1, v1
	v_and_b32_e32 v2, 64, v1
	v_add_u32_e32 v6, 64, v2
	ds_read2st64_b32 v[2:3], v0 offset1:1
	ds_read2_b32 v[4:5], v14 offset1:1
	v_xor_b32_e32 v7, 32, v1
	v_cmp_lt_i32_e32 vcc, v7, v6
	s_load_dword s0, s[2:3], 0x58
	s_mov_b32 s5, 0
	v_cndmask_b32_e32 v7, v1, v7, vcc
	v_lshlrev_b32_e32 v7, 2, v7
	s_waitcnt lgkmcnt(0)
	v_pk_add_f32 v[2:3], v[2:3], v[4:5]
	ds_bpermute_b32 v4, v7, v2
	ds_bpermute_b32 v5, v7, v3
	v_xor_b32_e32 v7, 16, v1
	v_cmp_lt_i32_e32 vcc, v7, v6
	s_waitcnt lgkmcnt(0)
	v_pk_add_f32 v[2:3], v[2:3], v[4:5]
	v_cndmask_b32_e32 v7, v1, v7, vcc
	v_lshlrev_b32_e32 v7, 2, v7
	ds_bpermute_b32 v4, v7, v2
	ds_bpermute_b32 v5, v7, v3
	v_xor_b32_e32 v7, 8, v1
	v_cmp_lt_i32_e32 vcc, v7, v6
	s_waitcnt lgkmcnt(0)
	v_pk_add_f32 v[2:3], v[2:3], v[4:5]
	v_cndmask_b32_e32 v7, v1, v7, vcc
	v_lshlrev_b32_e32 v7, 2, v7
	;; [unrolled: 8-line block ×5, first 2 shown]
	ds_bpermute_b32 v4, v1, v2
	ds_bpermute_b32 v5, v1, v3
	v_or_b32_e32 v1, s7, v15
	v_cmp_gt_u32_e32 vcc, 2, v15
	v_cmp_gt_u32_e64 s[0:1], s0, v1
	s_and_b64 s[0:1], vcc, s[0:1]
	s_waitcnt lgkmcnt(0)
	v_pk_add_f32 v[2:3], v[2:3], v[4:5]
	ds_write2_b32 v14, v2, v3 offset1:1
	s_and_b64 exec, exec, s[0:1]
	s_cbranch_execz .LBB134_24
; %bb.23:
	s_load_dwordx2 s[0:1], s[2:3], 0x38
	s_mul_i32 s2, s20, s10
	v_add_u32_e32 v1, v14, v0
	s_add_i32 s2, s2, s7
	s_mul_i32 s6, s6, s14
	ds_read_b32 v1, v1
	s_add_i32 s4, s2, s6
	s_lshl_b64 s[2:3], s[4:5], 2
	s_waitcnt lgkmcnt(0)
	s_add_u32 s0, s0, s2
	s_addc_u32 s1, s1, s3
	global_store_dword v0, v1, s[0:1]
.LBB134_24:
	s_endpgm
	.section	.rodata,"a",@progbits
	.p2align	6, 0x0
	.amdhsa_kernel _ZL13mul_mat_vec_qIL9ggml_type13ELi1ELb0ELb1EEvPKvS2_PKi31ggml_cuda_mm_fusion_args_devicePfj15HIP_vector_typeIjLj3EEjjjS8_jjjS8_jjjj
		.amdhsa_group_segment_fixed_size 1536
		.amdhsa_private_segment_fixed_size 0
		.amdhsa_kernarg_size 144
		.amdhsa_user_sgpr_count 4
		.amdhsa_user_sgpr_dispatch_ptr 1
		.amdhsa_user_sgpr_queue_ptr 0
		.amdhsa_user_sgpr_kernarg_segment_ptr 1
		.amdhsa_user_sgpr_dispatch_id 0
		.amdhsa_user_sgpr_kernarg_preload_length 0
		.amdhsa_user_sgpr_kernarg_preload_offset 0
		.amdhsa_user_sgpr_private_segment_size 0
		.amdhsa_uses_dynamic_stack 0
		.amdhsa_enable_private_segment 0
		.amdhsa_system_sgpr_workgroup_id_x 1
		.amdhsa_system_sgpr_workgroup_id_y 1
		.amdhsa_system_sgpr_workgroup_id_z 1
		.amdhsa_system_sgpr_workgroup_info 0
		.amdhsa_system_vgpr_workitem_id 2
		.amdhsa_next_free_vgpr 43
		.amdhsa_next_free_sgpr 25
		.amdhsa_accum_offset 44
		.amdhsa_reserve_vcc 1
		.amdhsa_float_round_mode_32 0
		.amdhsa_float_round_mode_16_64 0
		.amdhsa_float_denorm_mode_32 3
		.amdhsa_float_denorm_mode_16_64 3
		.amdhsa_dx10_clamp 1
		.amdhsa_ieee_mode 1
		.amdhsa_fp16_overflow 0
		.amdhsa_tg_split 0
		.amdhsa_exception_fp_ieee_invalid_op 0
		.amdhsa_exception_fp_denorm_src 0
		.amdhsa_exception_fp_ieee_div_zero 0
		.amdhsa_exception_fp_ieee_overflow 0
		.amdhsa_exception_fp_ieee_underflow 0
		.amdhsa_exception_fp_ieee_inexact 0
		.amdhsa_exception_int_div_zero 0
	.end_amdhsa_kernel
	.section	.text._ZL13mul_mat_vec_qIL9ggml_type13ELi1ELb0ELb1EEvPKvS2_PKi31ggml_cuda_mm_fusion_args_devicePfj15HIP_vector_typeIjLj3EEjjjS8_jjjS8_jjjj,"axG",@progbits,_ZL13mul_mat_vec_qIL9ggml_type13ELi1ELb0ELb1EEvPKvS2_PKi31ggml_cuda_mm_fusion_args_devicePfj15HIP_vector_typeIjLj3EEjjjS8_jjjS8_jjjj,comdat
.Lfunc_end134:
	.size	_ZL13mul_mat_vec_qIL9ggml_type13ELi1ELb0ELb1EEvPKvS2_PKi31ggml_cuda_mm_fusion_args_devicePfj15HIP_vector_typeIjLj3EEjjjS8_jjjS8_jjjj, .Lfunc_end134-_ZL13mul_mat_vec_qIL9ggml_type13ELi1ELb0ELb1EEvPKvS2_PKi31ggml_cuda_mm_fusion_args_devicePfj15HIP_vector_typeIjLj3EEjjjS8_jjjS8_jjjj
                                        ; -- End function
	.section	.AMDGPU.csdata,"",@progbits
; Kernel info:
; codeLenInByte = 2172
; NumSgprs: 31
; NumVgprs: 43
; NumAgprs: 0
; TotalNumVgprs: 43
; ScratchSize: 0
; MemoryBound: 0
; FloatMode: 240
; IeeeMode: 1
; LDSByteSize: 1536 bytes/workgroup (compile time only)
; SGPRBlocks: 3
; VGPRBlocks: 5
; NumSGPRsForWavesPerEU: 31
; NumVGPRsForWavesPerEU: 43
; AccumOffset: 44
; Occupancy: 8
; WaveLimiterHint : 0
; COMPUTE_PGM_RSRC2:SCRATCH_EN: 0
; COMPUTE_PGM_RSRC2:USER_SGPR: 4
; COMPUTE_PGM_RSRC2:TRAP_HANDLER: 0
; COMPUTE_PGM_RSRC2:TGID_X_EN: 1
; COMPUTE_PGM_RSRC2:TGID_Y_EN: 1
; COMPUTE_PGM_RSRC2:TGID_Z_EN: 1
; COMPUTE_PGM_RSRC2:TIDIG_COMP_CNT: 2
; COMPUTE_PGM_RSRC3_GFX90A:ACCUM_OFFSET: 10
; COMPUTE_PGM_RSRC3_GFX90A:TG_SPLIT: 0
	.section	.text._ZL13mul_mat_vec_qIL9ggml_type13ELi1ELb1ELb0EEvPKvS2_PKi31ggml_cuda_mm_fusion_args_devicePfj15HIP_vector_typeIjLj3EEjjjS8_jjjS8_jjjj,"axG",@progbits,_ZL13mul_mat_vec_qIL9ggml_type13ELi1ELb1ELb0EEvPKvS2_PKi31ggml_cuda_mm_fusion_args_devicePfj15HIP_vector_typeIjLj3EEjjjS8_jjjS8_jjjj,comdat
	.globl	_ZL13mul_mat_vec_qIL9ggml_type13ELi1ELb1ELb0EEvPKvS2_PKi31ggml_cuda_mm_fusion_args_devicePfj15HIP_vector_typeIjLj3EEjjjS8_jjjS8_jjjj ; -- Begin function _ZL13mul_mat_vec_qIL9ggml_type13ELi1ELb1ELb0EEvPKvS2_PKi31ggml_cuda_mm_fusion_args_devicePfj15HIP_vector_typeIjLj3EEjjjS8_jjjS8_jjjj
	.p2align	8
	.type	_ZL13mul_mat_vec_qIL9ggml_type13ELi1ELb1ELb0EEvPKvS2_PKi31ggml_cuda_mm_fusion_args_devicePfj15HIP_vector_typeIjLj3EEjjjS8_jjjS8_jjjj,@function
_ZL13mul_mat_vec_qIL9ggml_type13ELi1ELb1ELb0EEvPKvS2_PKi31ggml_cuda_mm_fusion_args_devicePfj15HIP_vector_typeIjLj3EEjjjS8_jjjS8_jjjj: ; @_ZL13mul_mat_vec_qIL9ggml_type13ELi1ELb1ELb0EEvPKvS2_PKi31ggml_cuda_mm_fusion_args_devicePfj15HIP_vector_typeIjLj3EEjjjS8_jjjS8_jjjj
; %bb.0:
	s_load_dwordx8 s[16:23], s[0:1], 0x0
	s_load_dwordx4 s[36:39], s[0:1], 0x20
	s_load_dwordx4 s[8:11], s[0:1], 0x40
	;; [unrolled: 1-line block ×3, first 2 shown]
	s_mov_b32 s14, s3
	s_waitcnt lgkmcnt(0)
	s_cmp_lg_u64 s[20:21], 0
	s_cselect_b64 s[6:7], -1, 0
	s_cmp_eq_u64 s[20:21], 0
	s_mov_b64 s[12:13], 0
	s_cbranch_scc1 .LBB135_5
; %bb.1:
	s_mov_b32 s15, 0
	s_lshl_b64 s[28:29], s[14:15], 2
	s_add_u32 s20, s20, s28
	s_addc_u32 s21, s21, s29
	s_load_dword s5, s[20:21], 0x0
	s_load_dword s15, s[0:1], 0x50
	;; [unrolled: 1-line block ×3, first 2 shown]
	s_andn2_b64 vcc, exec, s[12:13]
	s_cbranch_vccnz .LBB135_3
.LBB135_2:
	s_load_dwordx2 s[12:13], s[0:1], 0x5c
	s_waitcnt lgkmcnt(0)
	s_mul_hi_u32 s3, s12, s14
	s_add_i32 s3, s14, s3
	s_lshr_b32 s5, s3, s13
.LBB135_3:
	s_andn2_b64 vcc, exec, s[6:7]
	s_cbranch_vccnz .LBB135_6
; %bb.4:
	s_mul_hi_u32 s3, s9, s14
	s_add_i32 s3, s14, s3
	s_lshr_b32 s3, s3, s10
	s_mul_i32 s3, s3, s11
	s_sub_i32 s34, s14, s3
	s_waitcnt lgkmcnt(0)
	s_mov_b32 s3, s5
	s_branch .LBB135_7
.LBB135_5:
                                        ; implicit-def: $sgpr5
	s_load_dword s15, s[0:1], 0x50
	s_load_dword s33, s[0:1], 0x78
	s_branch .LBB135_2
.LBB135_6:
	s_mov_b32 s3, s14
	s_mov_b32 s34, s14
.LBB135_7:
	s_load_dwordx4 s[28:31], s[0:1], 0x80
	v_bfe_u32 v22, v0, 10, 10
	v_and_b32_e32 v19, 0x3ff, v0
	s_cmp_lg_u64 s[22:23], 0
	v_or_b32_e32 v0, v22, v19
	s_cselect_b64 s[12:13], -1, 0
	v_cmp_eq_u32_e32 vcc, 0, v0
	s_mov_b32 s21, 0
	s_and_b64 s[40:41], vcc, s[12:13]
	v_mov_b32_e32 v20, 0
	s_mul_i32 s10, s3, s26
	v_lshlrev_b32_e32 v18, 2, v19
	v_mov_b32_e32 v21, 0
	s_and_saveexec_b64 s[6:7], s[40:41]
	s_cbranch_execz .LBB135_9
; %bb.8:
	s_waitcnt lgkmcnt(0)
	s_mul_i32 s20, s4, s30
	s_lshl_b64 s[40:41], s[20:21], 2
	s_add_u32 s3, s22, s40
	s_mov_b32 s11, s21
	s_addc_u32 s9, s23, s41
	s_lshl_b64 s[20:21], s[10:11], 2
	s_add_u32 s11, s3, s20
	s_addc_u32 s9, s9, s21
	s_ashr_i32 s3, s2, 31
	s_lshl_b64 s[20:21], s[2:3], 2
	s_add_u32 s20, s11, s20
	s_addc_u32 s21, s9, s21
	global_load_dword v21, v18, s[20:21]
.LBB135_9:
	s_or_b64 exec, exec, s[6:7]
	s_cmp_lg_u64 s[36:37], 0
	s_cselect_b64 s[20:21], -1, 0
	s_cmp_lg_u64 s[38:39], 0
	s_cselect_b64 s[6:7], -1, 0
	s_and_b64 s[22:23], s[6:7], s[20:21]
	s_and_b64 s[40:41], vcc, s[22:23]
	s_and_saveexec_b64 s[22:23], s[40:41]
	s_cbranch_execz .LBB135_11
; %bb.10:
	s_waitcnt lgkmcnt(0)
	s_mul_i32 s40, s4, s30
	s_mov_b32 s41, 0
	s_lshl_b64 s[42:43], s[40:41], 2
	s_add_u32 s3, s38, s42
	s_mov_b32 s11, s41
	s_addc_u32 s9, s39, s43
	s_lshl_b64 s[10:11], s[10:11], 2
	s_add_u32 s31, s3, s10
	s_addc_u32 s9, s9, s11
	s_ashr_i32 s3, s2, 31
	s_lshl_b64 s[10:11], s[2:3], 2
	s_add_u32 s10, s31, s10
	s_addc_u32 s11, s9, s11
	global_load_dword v20, v18, s[10:11]
.LBB135_11:
	s_or_b64 exec, exec, s[22:23]
	v_lshl_add_u32 v4, v22, 6, v19
	s_lshr_b32 s3, s8, 8
	v_lshrrev_b32_e32 v24, 4, v4
	v_cndmask_b32_e64 v0, 0, 1, s[20:21]
	v_cmp_gt_u32_e32 vcc, s3, v24
	v_mov_b32_e32 v25, 0
	v_cmp_ne_u32_e64 s[8:9], 1, v0
	v_mov_b32_e32 v23, 0
	s_and_saveexec_b64 s[20:21], vcc
	s_cbranch_execz .LBB135_25
; %bb.12:
	s_mul_hi_u32 s10, s27, s4
	s_add_i32 s10, s4, s10
	s_waitcnt lgkmcnt(0)
	s_lshr_b32 s10, s10, s33
	s_mul_i32 s5, s5, s24
	s_mul_i32 s22, s10, s28
	v_lshlrev_b32_e32 v0, 1, v19
	s_mul_i32 s15, s2, s15
	v_and_b32_e32 v5, 30, v0
	s_add_i32 s5, s22, s5
	v_lshrrev_b32_e32 v6, 4, v4
	v_bfe_u32 v4, v19, 2, 2
	v_cmp_lt_u32_e64 s[10:11], 15, v5
	s_add_i32 s5, s5, s15
	v_mul_hi_u32_u24_e32 v5, 0x48, v4
	v_mul_u32_u24_e32 v4, 0x48, v4
	s_movk_i32 s15, 0x120
	s_mul_i32 s24, s4, s29
	v_mad_u64_u32 v[4:5], s[22:23], v6, s15, v[4:5]
	s_mul_hi_u32 s22, s24, 36
	s_mul_i32 s24, s24, 36
	s_mul_i32 s25, s34, s25
	s_add_u32 s18, s18, s24
	s_mul_hi_u32 s15, s25, 36
	s_mul_i32 s25, s25, 36
	s_addc_u32 s19, s19, s22
	s_add_u32 s18, s18, s25
	s_addc_u32 s19, s19, s15
	v_bfe_u32 v8, v0, 3, 2
	v_mov_b32_e32 v1, 0
	v_and_b32_e32 v2, 3, v19
	v_lshl_add_u64 v[4:5], s[18:19], 0, v[4:5]
	v_lshlrev_b32_e32 v0, 5, v8
	v_lshlrev_b32_e32 v2, 2, v2
	v_mov_b32_e32 v3, v1
	v_lshlrev_b32_e32 v26, 1, v8
	v_lshl_add_u64 v[4:5], v[4:5], 0, 36
	s_mov_b64 s[18:19], 0
	s_movk_i32 s15, 0xb0
	v_mov_b64_e32 v[6:7], s[16:17]
	v_lshlrev_b32_e32 v8, 1, v8
	v_mov_b32_e32 v9, v1
	s_mov_b32 s24, 0x5040100
	s_mov_b32 s25, 0x20004
	;; [unrolled: 1-line block ×5, first 2 shown]
	s_mov_b64 s[16:17], 0x900
	v_mov_b32_e32 v25, v1
	v_mov_b32_e32 v23, v1
	s_branch .LBB135_15
.LBB135_13:                             ;   in Loop: Header=BB135_15 Depth=1
	s_or_b64 exec, exec, s[22:23]
	global_load_dword v42, v[14:15], off
	s_waitcnt vmcnt(1)
	v_ashrrev_i32_e32 v15, v26, v40
	v_ashrrev_i32_e32 v16, v26, v39
	v_and_b32_e32 v17, 0xf0f0f0f, v38
	v_and_b32_e32 v39, 0xf0f0f0f, v37
	v_lshrrev_b32_e32 v37, 4, v37
	v_lshlrev_b32_e32 v44, 4, v16
	v_lshlrev_b32_e32 v45, 4, v15
	v_mov_b32_e32 v40, 0
	v_lshrrev_b32_e32 v38, 4, v38
	v_and_b32_e32 v37, 0xf0f0f0f, v37
	v_lshlrev_b32_e32 v15, 3, v15
	v_and_or_b32 v44, v44, s29, v17
	v_and_or_b32 v17, v45, s29, v39
	v_pk_lshrrev_b16 v14, 8, v41 op_sel_hi:[0,1]
	v_and_b32_e32 v41, 0xff00ff, v41
	v_mov_b32_e32 v43, 0
	v_and_b32_e32 v38, 0xf0f0f0f, v38
	v_lshlrev_b32_e32 v16, 3, v16
	v_and_or_b32 v15, v15, s29, v37
	v_dot4c_i32_i8_e32 v40, v17, v35
	v_lshrrev_b32_e32 v47, 16, v41
	v_and_b32_e32 v41, 0xff, v41
	v_and_or_b32 v16, v16, s29, v38
	v_dot4c_i32_i8_e32 v43, v15, v33
	v_dot4c_i32_i8_e32 v40, v44, v36
	v_lshrrev_b32_e32 v46, 16, v14
	v_and_b32_e32 v14, 0xff, v14
	v_mul_lo_u32 v37, v34, v47
	v_dot4c_i32_i8_e32 v43, v16, v32
	v_mul_lo_u32 v16, v40, v41
	v_mul_lo_u32 v38, v11, v46
	v_cvt_f32_i32_e32 v15, v37
	v_mul_lo_u32 v37, v43, v14
	v_cvt_f32_i32_e32 v14, v16
	v_cvt_f32_i32_e32 v17, v38
	;; [unrolled: 1-line block ×3, first 2 shown]
	v_pk_fma_f32 v[14:15], v[12:13], v[14:15], 0 op_sel_hi:[0,1,0]
	v_pk_fma_f32 v[14:15], v[10:11], v[16:17], v[14:15] op_sel_hi:[0,1,1]
	s_waitcnt vmcnt(0)
	v_cvt_f32_f16_sdwa v39, v42 dst_sel:DWORD dst_unused:UNUSED_PAD src0_sel:WORD_1
	v_cvt_f32_f16_e32 v38, v42
	v_pk_mul_f32 v[14:15], v[14:15], v[38:39]
	s_nop 0
	v_sub_f32_e32 v14, v14, v15
	v_add_f32_e32 v23, v23, v14
.LBB135_14:                             ;   in Loop: Header=BB135_15 Depth=1
	v_ashrrev_i32_e32 v14, v26, v30
	v_ashrrev_i32_e32 v15, v26, v29
	v_and_b32_e32 v16, 0xf0f0f0f, v28
	v_and_b32_e32 v17, 0xf0f0f0f, v27
	v_lshlrev_b32_e32 v29, 4, v15
	v_lshlrev_b32_e32 v30, 4, v14
	v_and_or_b32 v16, v29, s29, v16
	v_and_or_b32 v17, v30, s29, v17
	v_mov_b32_e32 v29, 0
	v_lshrrev_b32_e32 v27, 4, v27
	v_dot4c_i32_i8_e32 v29, v17, v35
	v_lshrrev_b32_e32 v28, 4, v28
	v_and_b32_e32 v27, 0xf0f0f0f, v27
	v_lshlrev_b32_e32 v14, 3, v14
	v_dot4c_i32_i8_e32 v29, v16, v36
	v_bfe_u32 v16, v31, 16, 8
	v_and_b32_e32 v30, 0xff, v31
	v_and_b32_e32 v28, 0xf0f0f0f, v28
	v_lshlrev_b32_e32 v15, 3, v15
	v_and_or_b32 v14, v14, s29, v27
	v_mov_b32_e32 v27, 0
	v_mul_lo_u32 v16, v29, v16
	v_lshrrev_b16_e32 v17, 8, v31
	v_mul_lo_u32 v30, v34, v30
	v_and_or_b32 v15, v15, s29, v28
	v_dot4c_i32_i8_e32 v27, v14, v33
	v_cvt_f32_i32_e32 v16, v16
	v_lshrrev_b32_e32 v29, 24, v31
	v_cvt_f32_i32_e32 v30, v30
	v_dot4c_i32_i8_e32 v27, v15, v32
	v_mul_lo_u32 v11, v11, v17
	v_cvt_f32_i32_e32 v11, v11
	s_waitcnt vmcnt(0)
	v_cvt_f32_f16_sdwa v15, v13 dst_sel:DWORD dst_unused:UNUSED_PAD src0_sel:WORD_1
	v_mul_lo_u32 v14, v27, v29
	v_cvt_f32_i32_e32 v14, v14
	v_fma_f32 v16, v12, v16, 0
	v_fma_f32 v12, v12, v30, 0
	v_fmac_f32_e32 v12, v10, v11
	v_fmac_f32_e32 v16, v10, v14
	v_mul_f32_e32 v10, v12, v15
	v_add_u32_e32 v24, 8, v24
	v_fma_mix_f32 v10, v16, v13, -v10 op_sel_hi:[0,1,0]
	v_cmp_le_u32_e32 vcc, s3, v24
	v_add_f32_e32 v25, v25, v10
	s_or_b64 s[18:19], vcc, s[18:19]
	v_lshl_add_u64 v[4:5], v[4:5], 0, s[16:17]
	s_andn2_b64 exec, exec, s[18:19]
	s_cbranch_execz .LBB135_24
.LBB135_15:                             ; =>This Inner Loop Header: Depth=1
	v_add_u32_e32 v14, s5, v24
	v_mad_i64_i32 v[10:11], s[22:23], v14, s15, v[6:7]
	v_lshl_add_u64 v[12:13], v[10:11], 0, v[2:3]
	v_lshl_add_u64 v[16:17], v[12:13], 0, v[0:1]
	global_load_dword v27, v[16:17], off offset:64
	global_load_dword v29, v[12:13], off offset:16
	;; [unrolled: 1-line block ×4, first 2 shown]
	v_lshl_add_u64 v[12:13], v[10:11], 0, v[8:9]
                                        ; implicit-def: $vgpr31
	s_and_saveexec_b64 s[22:23], s[10:11]
	s_xor_b64 s[22:23], exec, s[22:23]
	s_cbranch_execz .LBB135_17
; %bb.16:                               ;   in Loop: Header=BB135_15 Depth=1
	global_load_ushort v15, v[12:13], off offset:8
	global_load_ushort v16, v[12:13], off offset:4
	global_load_ushort v17, v[12:13], off
	s_waitcnt vmcnt(1)
	v_lshrrev_b16_e32 v12, 2, v16
	s_waitcnt vmcnt(0)
	v_perm_b32 v13, v17, v15, s24
	v_perm_b32 v12, v15, v12, s24
	v_pk_lshrrev_b16 v13, s25, v13
	v_and_b32_e32 v12, 0xf0f3030, v12
	v_and_or_b32 v31, v13, s27, v12
                                        ; implicit-def: $vgpr12_vgpr13
.LBB135_17:                             ;   in Loop: Header=BB135_15 Depth=1
	s_andn2_saveexec_b64 s[22:23], s[22:23]
	s_cbranch_execz .LBB135_19
; %bb.18:                               ;   in Loop: Header=BB135_15 Depth=1
	global_load_ushort v15, v[12:13], off offset:4
	global_load_ushort v16, v[12:13], off offset:8
	s_waitcnt vmcnt(0)
	v_perm_b32 v12, v15, v16, s24
	v_and_b32_e32 v31, 0x3f3f3f3f, v12
.LBB135_19:                             ;   in Loop: Header=BB135_15 Depth=1
	s_or_b64 exec, exec, s[22:23]
	v_lshl_add_u64 v[16:17], v[4:5], 0, v[2:3]
	global_load_dword v12, v[4:5], off offset:-36
	global_load_dword v15, v[4:5], off
	global_load_dword v35, v[16:17], off offset:-16
	global_load_dword v33, v[16:17], off offset:20
	global_load_dword v36, v[16:17], off offset:-32
	global_load_dword v32, v[16:17], off offset:4
	global_load_dword v13, v[10:11], off
	v_mov_b32_e32 v34, 0
	v_mov_b32_e32 v11, 0
	s_and_b64 vcc, exec, s[8:9]
	s_waitcnt vmcnt(6)
	v_cvt_f32_f16_e32 v12, v12
	s_waitcnt vmcnt(5)
	v_cvt_f32_f16_e32 v10, v15
	s_waitcnt vmcnt(4)
	v_dot4c_i32_i8_e32 v34, 0x1010101, v35
	s_waitcnt vmcnt(3)
	v_dot4c_i32_i8_e32 v11, 0x1010101, v33
	;; [unrolled: 2-line block ×4, first 2 shown]
	s_cbranch_vccnz .LBB135_14
; %bb.20:                               ;   in Loop: Header=BB135_15 Depth=1
	v_mov_b64_e32 v[16:17], s[36:37]
	v_mad_i64_i32 v[14:15], s[22:23], v14, s15, v[16:17]
	v_lshl_add_u64 v[16:17], v[14:15], 0, v[2:3]
	v_lshl_add_u64 v[42:43], v[16:17], 0, v[0:1]
	global_load_dword v37, v[42:43], off offset:64
	global_load_dword v39, v[16:17], off offset:16
	;; [unrolled: 1-line block ×4, first 2 shown]
	v_lshl_add_u64 v[16:17], v[14:15], 0, v[8:9]
                                        ; implicit-def: $vgpr41
	s_and_saveexec_b64 s[22:23], s[10:11]
	s_xor_b64 s[22:23], exec, s[22:23]
	s_cbranch_execz .LBB135_22
; %bb.21:                               ;   in Loop: Header=BB135_15 Depth=1
	global_load_ushort v41, v[16:17], off
	global_load_ushort v42, v[16:17], off offset:8
	global_load_ushort v43, v[16:17], off offset:4
	s_waitcnt vmcnt(1)
	v_lshrrev_b16_e32 v16, 4, v42
	s_waitcnt vmcnt(0)
	v_perm_b32 v17, v43, v41, s24
	v_perm_b32 v16, v16, v42, s24
	v_and_b32_e32 v16, 0xf0f0f0f, v16
	v_pk_lshrrev_b16 v17, 2, v17 op_sel_hi:[0,1]
	v_and_or_b32 v41, v17, s28, v16
                                        ; implicit-def: $vgpr16_vgpr17
.LBB135_22:                             ;   in Loop: Header=BB135_15 Depth=1
	s_andn2_saveexec_b64 s[22:23], s[22:23]
	s_cbranch_execz .LBB135_13
; %bb.23:                               ;   in Loop: Header=BB135_15 Depth=1
	global_load_ushort v41, v[16:17], off offset:4
	global_load_ushort v42, v[16:17], off offset:8
	s_waitcnt vmcnt(0)
	v_perm_b32 v16, v42, v41, s24
	v_and_b32_e32 v41, 0x3f3f3f3f, v16
	s_branch .LBB135_13
.LBB135_24:
	s_or_b64 exec, exec, s[18:19]
.LBB135_25:
	s_or_b64 exec, exec, s[20:21]
	s_load_dword s3, s[0:1], 0x30
	v_cmp_eq_u32_e64 s[10:11], 0, v22
	v_cmp_ne_u32_e32 vcc, 0, v22
	s_and_saveexec_b64 s[16:17], vcc
	s_cbranch_execz .LBB135_28
; %bb.26:
	v_add_u32_e32 v0, -1, v22
	v_lshl_add_u32 v0, v0, 8, v18
	s_and_b64 vcc, exec, s[8:9]
	ds_write_b32 v0, v25
	s_cbranch_vccnz .LBB135_28
; %bb.27:
	ds_write_b32 v0, v23 offset:256
.LBB135_28:
	s_or_b64 exec, exec, s[16:17]
	s_waitcnt lgkmcnt(0)
	s_barrier
	s_and_saveexec_b64 s[16:17], s[10:11]
	s_cbranch_execz .LBB135_57
; %bb.29:
	ds_read_b32 v0, v18
	s_and_b64 vcc, exec, s[8:9]
	s_cbranch_vccnz .LBB135_31
; %bb.30:
	ds_read_b32 v1, v18 offset:256
	s_waitcnt lgkmcnt(0)
	v_add_f32_e32 v23, v23, v1
.LBB135_31:
	s_waitcnt lgkmcnt(0)
	v_add_f32_e32 v1, v25, v0
	v_mbcnt_lo_u32_b32 v0, -1, 0
	v_mbcnt_hi_u32_b32 v4, -1, v0
	v_and_b32_e32 v0, 64, v4
	v_add_u32_e32 v7, 64, v0
	v_xor_b32_e32 v0, 32, v4
	v_cmp_lt_i32_e32 vcc, v0, v7
	v_xor_b32_e32 v3, 16, v4
	v_xor_b32_e32 v5, 8, v4
	v_cndmask_b32_e32 v0, v4, v0, vcc
	v_lshlrev_b32_e32 v0, 2, v0
	ds_bpermute_b32 v2, v0, v1
	v_cmp_lt_i32_e32 vcc, v3, v7
	v_xor_b32_e32 v6, 4, v4
	v_xor_b32_e32 v8, 2, v4
	;; [unrolled: 1-line block ×3, first 2 shown]
	s_waitcnt lgkmcnt(0)
	v_add_f32_e32 v2, v1, v2
	v_cndmask_b32_e32 v1, v4, v3, vcc
	v_lshlrev_b32_e32 v1, 2, v1
	ds_bpermute_b32 v3, v1, v2
	v_cmp_lt_i32_e32 vcc, v5, v7
	s_waitcnt lgkmcnt(0)
	v_add_f32_e32 v2, v2, v3
	v_cndmask_b32_e32 v3, v4, v5, vcc
	v_lshlrev_b32_e32 v3, 2, v3
	ds_bpermute_b32 v5, v3, v2
	v_cmp_lt_i32_e32 vcc, v6, v7
	;; [unrolled: 6-line block ×4, first 2 shown]
	s_waitcnt lgkmcnt(0)
	v_add_f32_e32 v2, v2, v8
	v_cndmask_b32_e32 v4, v4, v9, vcc
	v_lshlrev_b32_e32 v7, 2, v4
	ds_bpermute_b32 v4, v7, v2
	s_and_b64 vcc, exec, s[8:9]
	s_cbranch_vccnz .LBB135_33
; %bb.32:
	ds_bpermute_b32 v0, v0, v23
	s_waitcnt lgkmcnt(0)
	v_add_f32_e32 v0, v23, v0
	ds_bpermute_b32 v1, v1, v0
	s_waitcnt lgkmcnt(0)
	v_add_f32_e32 v0, v0, v1
	ds_bpermute_b32 v1, v3, v0
	s_waitcnt lgkmcnt(0)
	v_add_f32_e32 v0, v0, v1
	ds_bpermute_b32 v1, v5, v0
	s_waitcnt lgkmcnt(0)
	v_add_f32_e32 v0, v0, v1
	ds_bpermute_b32 v1, v6, v0
	s_waitcnt lgkmcnt(0)
	v_add_f32_e32 v0, v0, v1
	ds_bpermute_b32 v1, v7, v0
	s_waitcnt lgkmcnt(0)
	v_add_f32_e32 v23, v0, v1
.LBB135_33:
	v_cmp_eq_u32_e32 vcc, 0, v19
	s_and_b64 exec, exec, vcc
	s_cbranch_execz .LBB135_57
; %bb.34:
	s_waitcnt lgkmcnt(0)
	v_add_f32_e32 v0, v2, v4
	s_waitcnt vmcnt(0)
	v_add_f32_e32 v1, v21, v0
	s_and_b64 vcc, exec, s[8:9]
	v_cndmask_b32_e64 v0, v0, v1, s[12:13]
	s_cbranch_vccnz .LBB135_56
; %bb.35:
	v_add_f32_e32 v1, v20, v23
	v_cndmask_b32_e64 v1, v23, v1, s[6:7]
	s_cmp_lt_i32 s3, 2
	s_mov_b64 s[6:7], 0
	s_cbranch_scc1 .LBB135_39
; %bb.36:
	s_cmp_gt_i32 s3, 2
	s_cbranch_scc0 .LBB135_40
; %bb.37:
	s_cmp_eq_u32 s3, 3
	s_cbranch_scc0 .LBB135_41
; %bb.38:
	v_max_f32_e32 v2, v1, v1
	v_min_f32_e32 v4, 0x40e00000, v2
	v_mul_f32_e32 v3, 0xbfd9db23, v4
	s_mov_b32 s5, 0x3fb8aa3b
	v_mul_f32_e32 v2, 0x3fb8aa3b, v3
	v_fma_f32 v5, v3, s5, -v2
	v_rndne_f32_e32 v6, v2
	v_fmamk_f32 v5, v3, 0x32a5705f, v5
	v_sub_f32_e32 v2, v2, v6
	v_add_f32_e32 v2, v2, v5
	v_exp_f32_e32 v5, v2
	v_cvt_i32_f32_e32 v6, v6
	s_mov_b32 s5, 0xc2ce8ed0
	v_max_f32_e32 v2, v0, v0
	v_cmp_ngt_f32_e32 vcc, s5, v3
	v_ldexp_f32 v5, v5, v6
	s_mov_b32 s5, 0x42b17218
	v_min_f32_e32 v2, 0x40e00000, v2
	v_cndmask_b32_e32 v5, 0, v5, vcc
	v_mov_b32_e32 v6, 0x7f800000
	v_cmp_nlt_f32_e32 vcc, s5, v3
	v_max_f32_e32 v2, 0xc0e00000, v2
	s_nop 0
	v_cndmask_b32_e32 v3, v6, v5, vcc
	v_pk_add_f32 v[2:3], v[2:3], 1.0 op_sel_hi:[1,0]
	s_nop 0
	v_div_scale_f32 v5, s[8:9], v3, v3, v4
	v_rcp_f32_e32 v6, v5
	s_mov_b64 s[8:9], 0
	v_fma_f32 v7, -v5, v6, 1.0
	v_fmac_f32_e32 v6, v7, v6
	v_div_scale_f32 v7, vcc, v4, v3, v4
	v_mul_f32_e32 v8, v7, v6
	v_fma_f32 v9, -v5, v8, v7
	v_fmac_f32_e32 v8, v9, v6
	v_fma_f32 v5, -v5, v8, v7
	v_div_fmas_f32 v5, v5, v6, v8
	v_div_fixup_f32 v3, v5, v3, v4
	v_mul_f32_e32 v2, v2, v3
	s_branch .LBB135_42
.LBB135_39:
                                        ; implicit-def: $vgpr2
	s_mov_b64 s[8:9], 0
	s_cbranch_execnz .LBB135_46
	s_branch .LBB135_47
.LBB135_40:
	s_mov_b64 s[10:11], -1
	s_mov_b64 s[8:9], 0
                                        ; implicit-def: $vgpr2
	s_branch .LBB135_43
.LBB135_41:
	s_mov_b64 s[8:9], -1
                                        ; implicit-def: $vgpr2
.LBB135_42:
	s_mov_b64 s[10:11], 0
.LBB135_43:
	s_and_b64 vcc, exec, s[10:11]
	s_cbranch_vccz .LBB135_45
; %bb.44:
	v_mul_f32_e32 v2, 0xbfb8aa3b, v1
	s_mov_b32 s5, 0xbfb8aa3b
	v_rndne_f32_e32 v3, v2
	v_sub_f32_e32 v4, v2, v3
	v_fma_f32 v2, v1, s5, -v2
	v_fmamk_f32 v2, v1, 0xb2a5705f, v2
	v_add_f32_e32 v2, v4, v2
	v_exp_f32_e32 v2, v2
	v_cvt_i32_f32_e32 v3, v3
	s_mov_b32 s5, 0x42ce8ed0
	v_cmp_nlt_f32_e32 vcc, s5, v1
	s_mov_b32 s5, 0xc2b17218
	v_ldexp_f32 v2, v2, v3
	v_cndmask_b32_e32 v2, 0, v2, vcc
	v_mov_b32_e32 v3, 0x7f800000
	v_cmp_ngt_f32_e32 vcc, s5, v1
	s_nop 1
	v_cndmask_b32_e32 v2, v3, v2, vcc
	v_add_f32_e32 v2, 1.0, v2
	v_div_scale_f32 v3, s[10:11], v2, v2, v1
	v_rcp_f32_e32 v4, v3
	s_nop 0
	v_fma_f32 v5, -v3, v4, 1.0
	v_fmac_f32_e32 v4, v5, v4
	v_div_scale_f32 v5, vcc, v1, v2, v1
	v_mul_f32_e32 v6, v5, v4
	v_fma_f32 v7, -v3, v6, v5
	v_fmac_f32_e32 v6, v7, v4
	v_fma_f32 v3, -v3, v6, v5
	v_div_fmas_f32 v3, v3, v4, v6
	v_div_fixup_f32 v2, v3, v2, v1
	v_mul_f32_e32 v2, v0, v2
.LBB135_45:
	s_branch .LBB135_47
.LBB135_46:
	s_cmp_lg_u32 s3, 1
	s_mov_b64 s[6:7], -1
	s_cselect_b64 s[8:9], -1, 0
                                        ; implicit-def: $vgpr2
.LBB135_47:
	s_andn2_b64 vcc, exec, s[8:9]
	s_cbranch_vccz .LBB135_49
; %bb.48:
	s_andn2_b64 vcc, exec, s[6:7]
	s_cbranch_vccz .LBB135_50
	s_branch .LBB135_55
.LBB135_49:
	v_mul_f32_e32 v2, v0, v1
	s_cbranch_execnz .LBB135_55
.LBB135_50:
	v_mul_f32_e32 v3, 0x3d372713, v1
	v_mul_f32_e32 v2, 0x3f4c422a, v1
	v_fma_f32 v3, v1, v3, 1.0
	v_mul_f32_e32 v2, v2, v3
	s_mov_b32 s3, 0x3f200000
	v_cmp_nlt_f32_e64 s[6:7], |v2|, s3
                                        ; implicit-def: $vgpr3
	s_and_saveexec_b64 s[8:9], s[6:7]
	s_xor_b64 s[6:7], exec, s[8:9]
	s_cbranch_execz .LBB135_52
; %bb.51:
	v_add_f32_e64 v3, |v2|, |v2|
	v_mul_f32_e32 v4, 0x3fb8aa3b, v3
	s_mov_b32 s3, 0x3fb8aa3b
	v_rndne_f32_e32 v5, v4
	v_sub_f32_e32 v6, v4, v5
	v_fma_f32 v4, v3, s3, -v4
	v_fmamk_f32 v4, v3, 0x32a5705f, v4
	v_add_f32_e32 v4, v6, v4
	v_exp_f32_e32 v4, v4
	v_cvt_i32_f32_e32 v5, v5
	s_mov_b32 s3, 0xc2ce8ed0
	v_cmp_ngt_f32_e32 vcc, s3, v3
	s_mov_b32 s3, 0x42b17218
	v_ldexp_f32 v4, v4, v5
	v_cndmask_b32_e32 v4, 0, v4, vcc
	v_mov_b32_e32 v5, 0x7f800000
	v_cmp_nlt_f32_e32 vcc, s3, v3
	s_nop 1
	v_cndmask_b32_e32 v3, v5, v4, vcc
	v_add_f32_e32 v3, 1.0, v3
	v_rcp_f32_e32 v3, v3
	s_nop 0
	v_fma_f32 v3, v3, -2.0, 1.0
.LBB135_52:
	s_andn2_saveexec_b64 s[6:7], s[6:7]
; %bb.53:
	v_mul_f32_e32 v3, v2, v2
	v_mov_b32_e32 v4, 0x3ca908c9
	v_fmac_f32_e32 v4, 0xbbbac73d, v3
	v_fmaak_f32 v4, v3, v4, 0xbd5c1c4e
	v_fmaak_f32 v4, v3, v4, 0x3e088382
	;; [unrolled: 1-line block ×3, first 2 shown]
	v_mul_f32_e64 v4, |v2|, v4
	v_fma_f32 v3, v3, v4, |v2|
; %bb.54:
	s_or_b64 exec, exec, s[6:7]
	s_brev_b32 s3, -2
	v_bfi_b32 v2, s3, v3, v2
	v_mul_f32_e32 v1, 0.5, v1
	v_add_f32_e32 v2, 1.0, v2
	v_mul_f32_e32 v1, v1, v2
	v_mul_f32_e32 v2, v0, v1
.LBB135_55:
	v_mov_b32_e32 v0, v2
.LBB135_56:
	s_load_dwordx2 s[0:1], s[0:1], 0x38
	s_mul_i32 s3, s14, s26
	s_mul_i32 s4, s4, s30
	s_add_i32 s2, s3, s2
	s_add_i32 s2, s2, s4
	s_mov_b32 s3, 0
	s_lshl_b64 s[2:3], s[2:3], 2
	s_waitcnt lgkmcnt(0)
	s_add_u32 s0, s0, s2
	s_addc_u32 s1, s1, s3
	global_store_dword v18, v0, s[0:1]
.LBB135_57:
	s_endpgm
	.section	.rodata,"a",@progbits
	.p2align	6, 0x0
	.amdhsa_kernel _ZL13mul_mat_vec_qIL9ggml_type13ELi1ELb1ELb0EEvPKvS2_PKi31ggml_cuda_mm_fusion_args_devicePfj15HIP_vector_typeIjLj3EEjjjS8_jjjS8_jjjj
		.amdhsa_group_segment_fixed_size 512
		.amdhsa_private_segment_fixed_size 0
		.amdhsa_kernarg_size 144
		.amdhsa_user_sgpr_count 2
		.amdhsa_user_sgpr_dispatch_ptr 0
		.amdhsa_user_sgpr_queue_ptr 0
		.amdhsa_user_sgpr_kernarg_segment_ptr 1
		.amdhsa_user_sgpr_dispatch_id 0
		.amdhsa_user_sgpr_kernarg_preload_length 0
		.amdhsa_user_sgpr_kernarg_preload_offset 0
		.amdhsa_user_sgpr_private_segment_size 0
		.amdhsa_uses_dynamic_stack 0
		.amdhsa_enable_private_segment 0
		.amdhsa_system_sgpr_workgroup_id_x 1
		.amdhsa_system_sgpr_workgroup_id_y 1
		.amdhsa_system_sgpr_workgroup_id_z 1
		.amdhsa_system_sgpr_workgroup_info 0
		.amdhsa_system_vgpr_workitem_id 1
		.amdhsa_next_free_vgpr 48
		.amdhsa_next_free_sgpr 44
		.amdhsa_accum_offset 48
		.amdhsa_reserve_vcc 1
		.amdhsa_float_round_mode_32 0
		.amdhsa_float_round_mode_16_64 0
		.amdhsa_float_denorm_mode_32 3
		.amdhsa_float_denorm_mode_16_64 3
		.amdhsa_dx10_clamp 1
		.amdhsa_ieee_mode 1
		.amdhsa_fp16_overflow 0
		.amdhsa_tg_split 0
		.amdhsa_exception_fp_ieee_invalid_op 0
		.amdhsa_exception_fp_denorm_src 0
		.amdhsa_exception_fp_ieee_div_zero 0
		.amdhsa_exception_fp_ieee_overflow 0
		.amdhsa_exception_fp_ieee_underflow 0
		.amdhsa_exception_fp_ieee_inexact 0
		.amdhsa_exception_int_div_zero 0
	.end_amdhsa_kernel
	.section	.text._ZL13mul_mat_vec_qIL9ggml_type13ELi1ELb1ELb0EEvPKvS2_PKi31ggml_cuda_mm_fusion_args_devicePfj15HIP_vector_typeIjLj3EEjjjS8_jjjS8_jjjj,"axG",@progbits,_ZL13mul_mat_vec_qIL9ggml_type13ELi1ELb1ELb0EEvPKvS2_PKi31ggml_cuda_mm_fusion_args_devicePfj15HIP_vector_typeIjLj3EEjjjS8_jjjS8_jjjj,comdat
.Lfunc_end135:
	.size	_ZL13mul_mat_vec_qIL9ggml_type13ELi1ELb1ELb0EEvPKvS2_PKi31ggml_cuda_mm_fusion_args_devicePfj15HIP_vector_typeIjLj3EEjjjS8_jjjS8_jjjj, .Lfunc_end135-_ZL13mul_mat_vec_qIL9ggml_type13ELi1ELb1ELb0EEvPKvS2_PKi31ggml_cuda_mm_fusion_args_devicePfj15HIP_vector_typeIjLj3EEjjjS8_jjjS8_jjjj
                                        ; -- End function
	.section	.AMDGPU.csdata,"",@progbits
; Kernel info:
; codeLenInByte = 3232
; NumSgprs: 50
; NumVgprs: 48
; NumAgprs: 0
; TotalNumVgprs: 48
; ScratchSize: 0
; MemoryBound: 0
; FloatMode: 240
; IeeeMode: 1
; LDSByteSize: 512 bytes/workgroup (compile time only)
; SGPRBlocks: 6
; VGPRBlocks: 5
; NumSGPRsForWavesPerEU: 50
; NumVGPRsForWavesPerEU: 48
; AccumOffset: 48
; Occupancy: 8
; WaveLimiterHint : 0
; COMPUTE_PGM_RSRC2:SCRATCH_EN: 0
; COMPUTE_PGM_RSRC2:USER_SGPR: 2
; COMPUTE_PGM_RSRC2:TRAP_HANDLER: 0
; COMPUTE_PGM_RSRC2:TGID_X_EN: 1
; COMPUTE_PGM_RSRC2:TGID_Y_EN: 1
; COMPUTE_PGM_RSRC2:TGID_Z_EN: 1
; COMPUTE_PGM_RSRC2:TIDIG_COMP_CNT: 1
; COMPUTE_PGM_RSRC3_GFX90A:ACCUM_OFFSET: 11
; COMPUTE_PGM_RSRC3_GFX90A:TG_SPLIT: 0
	.section	.text._ZL13mul_mat_vec_qIL9ggml_type13ELi1ELb0ELb0EEvPKvS2_PKi31ggml_cuda_mm_fusion_args_devicePfj15HIP_vector_typeIjLj3EEjjjS8_jjjS8_jjjj,"axG",@progbits,_ZL13mul_mat_vec_qIL9ggml_type13ELi1ELb0ELb0EEvPKvS2_PKi31ggml_cuda_mm_fusion_args_devicePfj15HIP_vector_typeIjLj3EEjjjS8_jjjS8_jjjj,comdat
	.globl	_ZL13mul_mat_vec_qIL9ggml_type13ELi1ELb0ELb0EEvPKvS2_PKi31ggml_cuda_mm_fusion_args_devicePfj15HIP_vector_typeIjLj3EEjjjS8_jjjS8_jjjj ; -- Begin function _ZL13mul_mat_vec_qIL9ggml_type13ELi1ELb0ELb0EEvPKvS2_PKi31ggml_cuda_mm_fusion_args_devicePfj15HIP_vector_typeIjLj3EEjjjS8_jjjS8_jjjj
	.p2align	8
	.type	_ZL13mul_mat_vec_qIL9ggml_type13ELi1ELb0ELb0EEvPKvS2_PKi31ggml_cuda_mm_fusion_args_devicePfj15HIP_vector_typeIjLj3EEjjjS8_jjjS8_jjjj,@function
_ZL13mul_mat_vec_qIL9ggml_type13ELi1ELb0ELb0EEvPKvS2_PKi31ggml_cuda_mm_fusion_args_devicePfj15HIP_vector_typeIjLj3EEjjjS8_jjjS8_jjjj: ; @_ZL13mul_mat_vec_qIL9ggml_type13ELi1ELb0ELb0EEvPKvS2_PKi31ggml_cuda_mm_fusion_args_devicePfj15HIP_vector_typeIjLj3EEjjjS8_jjjS8_jjjj
; %bb.0:
	s_load_dwordx2 s[8:9], s[0:1], 0x10
	s_load_dwordx4 s[16:19], s[0:1], 0x40
	s_mov_b32 s20, s3
	s_mov_b64 s[12:13], 0
	s_waitcnt lgkmcnt(0)
	s_cmp_lg_u64 s[8:9], 0
	s_cselect_b64 s[6:7], -1, 0
	s_cmp_eq_u64 s[8:9], 0
	s_cbranch_scc1 .LBB136_5
; %bb.1:
	s_mov_b32 s21, 0
	s_lshl_b64 s[10:11], s[20:21], 2
	s_add_u32 s8, s8, s10
	s_addc_u32 s9, s9, s11
	s_load_dword s5, s[8:9], 0x0
	s_nop 0
	s_load_dwordx4 s[8:11], s[0:1], 0x68
	s_load_dword s21, s[0:1], 0x50
	s_andn2_b64 vcc, exec, s[12:13]
	s_cbranch_vccnz .LBB136_3
.LBB136_2:
	s_load_dwordx2 s[12:13], s[0:1], 0x5c
	s_waitcnt lgkmcnt(0)
	s_mul_hi_u32 s3, s12, s20
	s_add_i32 s3, s20, s3
	s_lshr_b32 s5, s3, s13
.LBB136_3:
	s_load_dword s24, s[0:1], 0x78
	s_andn2_b64 vcc, exec, s[6:7]
	s_cbranch_vccnz .LBB136_6
; %bb.4:
	s_mul_hi_u32 s3, s17, s20
	s_add_i32 s3, s20, s3
	s_lshr_b32 s3, s3, s18
	s_mul_i32 s3, s3, s19
	s_sub_i32 s6, s20, s3
	s_branch .LBB136_7
.LBB136_5:
                                        ; implicit-def: $sgpr5
	s_load_dwordx4 s[8:11], s[0:1], 0x68
	s_load_dword s21, s[0:1], 0x50
	s_branch .LBB136_2
.LBB136_6:
	s_mov_b32 s6, s20
.LBB136_7:
	s_load_dwordx4 s[12:15], s[0:1], 0x80
	v_bfe_u32 v15, v0, 10, 10
	v_and_b32_e32 v14, 0x3ff, v0
	v_lshl_add_u32 v4, v15, 6, v14
	s_lshr_b32 s3, s16, 8
	v_lshrrev_b32_e32 v16, 4, v4
	v_cmp_gt_u32_e32 vcc, s3, v16
	v_mov_b32_e32 v17, 0
	s_and_saveexec_b64 s[22:23], vcc
	s_cbranch_execz .LBB136_15
; %bb.8:
	s_waitcnt lgkmcnt(0)
	s_mul_i32 s5, s5, s8
	s_mul_hi_u32 s8, s11, s4
	s_add_i32 s8, s4, s8
	s_load_dwordx4 s[16:19], s[0:1], 0x0
	s_lshr_b32 s8, s8, s24
	v_lshlrev_b32_e32 v0, 1, v14
	s_mul_i32 s8, s8, s12
	v_and_b32_e32 v5, 30, v0
	v_lshrrev_b32_e32 v6, 4, v4
	v_bfe_u32 v4, v14, 2, 2
	s_mul_i32 s7, s2, s21
	s_mul_i32 s9, s6, s9
	v_cmp_lt_u32_e32 vcc, 15, v5
	s_add_i32 s5, s8, s5
	v_mul_hi_u32_u24_e32 v5, 0x48, v4
	v_mul_u32_u24_e32 v4, 0x48, v4
	s_movk_i32 s6, 0x120
	s_mul_i32 s11, s4, s13
	s_add_i32 s5, s5, s7
	v_mad_u64_u32 v[4:5], s[6:7], v6, s6, v[4:5]
	s_mul_hi_u32 s6, s11, 36
	s_mul_i32 s11, s11, 36
	s_waitcnt lgkmcnt(0)
	s_add_u32 s8, s18, s11
	s_mul_hi_u32 s7, s9, 36
	s_mul_i32 s9, s9, 36
	s_addc_u32 s11, s19, s6
	s_add_u32 s6, s8, s9
	s_addc_u32 s7, s11, s7
	v_bfe_u32 v8, v0, 3, 2
	v_mov_b32_e32 v1, 0
	v_and_b32_e32 v2, 3, v14
	v_lshl_add_u64 v[4:5], s[6:7], 0, v[4:5]
	v_lshlrev_b32_e32 v0, 5, v8
	v_lshlrev_b32_e32 v2, 2, v2
	v_mov_b32_e32 v3, v1
	v_lshlrev_b32_e32 v18, 1, v8
	v_lshl_add_u64 v[4:5], v[4:5], 0, 36
	s_mov_b64 s[8:9], 0
	s_movk_i32 s11, 0xb0
	v_mov_b64_e32 v[6:7], s[16:17]
	v_lshlrev_b32_e32 v8, 1, v8
	v_mov_b32_e32 v9, v1
	s_mov_b32 s15, 0x5040100
	s_mov_b32 s16, 0x30303030
	;; [unrolled: 1-line block ×3, first 2 shown]
	s_mov_b64 s[12:13], 0x900
	v_mov_b32_e32 v17, v1
	s_branch .LBB136_10
.LBB136_9:                              ;   in Loop: Header=BB136_10 Depth=1
	s_or_b64 exec, exec, s[6:7]
	v_lshl_add_u64 v[12:13], v[4:5], 0, v[2:3]
	global_load_dword v24, v[4:5], off offset:-36
	global_load_dword v25, v[4:5], off
	global_load_dword v26, v[10:11], off
	global_load_dword v27, v[12:13], off offset:-16
	global_load_dword v28, v[12:13], off offset:20
	global_load_dword v29, v[12:13], off offset:-32
	global_load_dword v30, v[12:13], off offset:4
	s_waitcnt vmcnt(7)
	v_ashrrev_i32_e32 v11, v18, v22
	v_ashrrev_i32_e32 v12, v18, v21
	v_and_b32_e32 v13, 0xf0f0f0f, v20
	v_and_b32_e32 v21, 0xf0f0f0f, v19
	v_lshrrev_b32_e32 v19, 4, v19
	v_lshlrev_b32_e32 v34, 4, v12
	v_lshlrev_b32_e32 v35, 4, v11
	v_mov_b32_e32 v22, 0
	v_mov_b32_e32 v31, 0
	v_lshrrev_b32_e32 v20, 4, v20
	v_and_b32_e32 v19, 0xf0f0f0f, v19
	v_lshlrev_b32_e32 v11, 3, v11
	v_and_or_b32 v13, v34, s17, v13
	v_and_or_b32 v34, v35, s17, v21
	v_pk_lshrrev_b16 v10, 8, v23 op_sel_hi:[0,1]
	v_and_b32_e32 v23, 0xff00ff, v23
	v_mov_b32_e32 v32, 0
	v_mov_b32_e32 v33, 0
	v_and_b32_e32 v20, 0xf0f0f0f, v20
	v_lshlrev_b32_e32 v12, 3, v12
	v_and_or_b32 v11, v11, s17, v19
	v_lshrrev_b32_e32 v38, 16, v23
	v_and_b32_e32 v23, 0xff, v23
	v_and_or_b32 v20, v12, s17, v20
	v_lshrrev_b32_e32 v36, 16, v10
	v_and_b32_e32 v37, 0xff, v10
	v_add_u32_e32 v16, 8, v16
	v_cmp_le_u32_e64 s[6:7], s3, v16
	s_or_b64 s[8:9], s[6:7], s[8:9]
	v_lshl_add_u64 v[4:5], v[4:5], 0, s[12:13]
	s_waitcnt vmcnt(6)
	v_cvt_f32_f16_e32 v10, v24
	s_waitcnt vmcnt(5)
	v_cvt_f32_f16_e32 v12, v25
	s_waitcnt vmcnt(4)
	v_cvt_f32_f16_sdwa v21, v26 dst_sel:DWORD dst_unused:UNUSED_PAD src0_sel:WORD_1
	s_waitcnt vmcnt(3)
	v_dot4c_i32_i8_e32 v22, v34, v27
	v_dot4c_i32_i8_e32 v31, 0x1010101, v27
	s_waitcnt vmcnt(2)
	v_dot4c_i32_i8_e32 v32, v11, v28
	v_dot4c_i32_i8_e32 v33, 0x1010101, v28
	;; [unrolled: 3-line block ×4, first 2 shown]
	v_mul_lo_u32 v11, v22, v23
	v_mul_lo_u32 v13, v31, v38
	;; [unrolled: 1-line block ×4, first 2 shown]
	v_cvt_f32_i32_e32 v22, v11
	v_cvt_f32_i32_e32 v23, v13
	;; [unrolled: 1-line block ×4, first 2 shown]
	v_cvt_f32_f16_e32 v20, v26
	v_pk_fma_f32 v[10:11], v[10:11], v[22:23], 0 op_sel_hi:[0,1,0]
	v_pk_fma_f32 v[10:11], v[12:13], v[24:25], v[10:11] op_sel_hi:[0,1,1]
	v_pk_mul_f32 v[10:11], v[10:11], v[20:21]
	s_nop 0
	v_sub_f32_e32 v10, v10, v11
	v_add_f32_e32 v17, v17, v10
	s_andn2_b64 exec, exec, s[8:9]
	s_cbranch_execz .LBB136_14
.LBB136_10:                             ; =>This Inner Loop Header: Depth=1
	v_add_u32_e32 v10, s5, v16
	v_mad_i64_i32 v[10:11], s[6:7], v10, s11, v[6:7]
	v_lshl_add_u64 v[12:13], v[10:11], 0, v[2:3]
	v_lshl_add_u64 v[24:25], v[12:13], 0, v[0:1]
	global_load_dword v19, v[24:25], off offset:64
	global_load_dword v21, v[12:13], off offset:16
	;; [unrolled: 1-line block ×4, first 2 shown]
	v_lshl_add_u64 v[12:13], v[10:11], 0, v[8:9]
                                        ; implicit-def: $vgpr23
	s_and_saveexec_b64 s[6:7], vcc
	s_xor_b64 s[6:7], exec, s[6:7]
	s_cbranch_execz .LBB136_12
; %bb.11:                               ;   in Loop: Header=BB136_10 Depth=1
	global_load_ushort v23, v[12:13], off
	global_load_ushort v24, v[12:13], off offset:8
	global_load_ushort v25, v[12:13], off offset:4
	s_waitcnt vmcnt(1)
	v_lshrrev_b16_e32 v12, 4, v24
	s_waitcnt vmcnt(0)
	v_perm_b32 v13, v25, v23, s15
	v_perm_b32 v12, v12, v24, s15
	v_and_b32_e32 v12, 0xf0f0f0f, v12
	v_pk_lshrrev_b16 v13, 2, v13 op_sel_hi:[0,1]
	v_and_or_b32 v23, v13, s16, v12
                                        ; implicit-def: $vgpr12_vgpr13
.LBB136_12:                             ;   in Loop: Header=BB136_10 Depth=1
	s_andn2_saveexec_b64 s[6:7], s[6:7]
	s_cbranch_execz .LBB136_9
; %bb.13:                               ;   in Loop: Header=BB136_10 Depth=1
	global_load_ushort v23, v[12:13], off offset:4
	global_load_ushort v24, v[12:13], off offset:8
	s_waitcnt vmcnt(0)
	v_perm_b32 v12, v24, v23, s15
	v_and_b32_e32 v23, 0x3f3f3f3f, v12
	s_branch .LBB136_9
.LBB136_14:
	s_or_b64 exec, exec, s[8:9]
.LBB136_15:
	s_or_b64 exec, exec, s[22:23]
	v_cmp_eq_u32_e32 vcc, 0, v15
	v_cmp_ne_u32_e64 s[6:7], 0, v15
	v_lshlrev_b32_e32 v0, 2, v14
	s_waitcnt lgkmcnt(0)
	s_and_saveexec_b64 s[8:9], s[6:7]
	s_cbranch_execz .LBB136_17
; %bb.16:
	v_lshlrev_b32_e32 v1, 8, v15
	s_movk_i32 s3, 0xff00
	v_add3_u32 v1, v1, v0, s3
	ds_write_b32 v1, v17
.LBB136_17:
	s_or_b64 exec, exec, s[8:9]
	s_waitcnt lgkmcnt(0)
	s_barrier
	s_and_saveexec_b64 s[6:7], vcc
	s_cbranch_execz .LBB136_20
; %bb.18:
	v_mbcnt_lo_u32_b32 v1, -1, 0
	ds_read_b32 v0, v0
	v_mbcnt_hi_u32_b32 v1, -1, v1
	v_and_b32_e32 v2, 64, v1
	v_add_u32_e32 v2, 64, v2
	v_xor_b32_e32 v3, 32, v1
	v_cmp_lt_i32_e32 vcc, v3, v2
	s_waitcnt lgkmcnt(0)
	v_add_f32_e32 v0, v17, v0
	s_mov_b32 s3, 0
	v_cndmask_b32_e32 v3, v1, v3, vcc
	v_lshlrev_b32_e32 v3, 2, v3
	ds_bpermute_b32 v3, v3, v0
	s_waitcnt lgkmcnt(0)
	v_add_f32_e32 v0, v0, v3
	v_xor_b32_e32 v3, 16, v1
	v_cmp_lt_i32_e32 vcc, v3, v2
	s_nop 1
	v_cndmask_b32_e32 v3, v1, v3, vcc
	v_lshlrev_b32_e32 v3, 2, v3
	ds_bpermute_b32 v3, v3, v0
	s_waitcnt lgkmcnt(0)
	v_add_f32_e32 v0, v0, v3
	v_xor_b32_e32 v3, 8, v1
	v_cmp_lt_i32_e32 vcc, v3, v2
	s_nop 1
	;; [unrolled: 8-line block ×5, first 2 shown]
	v_cndmask_b32_e32 v1, v1, v3, vcc
	v_lshlrev_b32_e32 v1, 2, v1
	ds_bpermute_b32 v1, v1, v0
	v_cmp_eq_u32_e32 vcc, 0, v14
	s_and_b64 exec, exec, vcc
	s_cbranch_execz .LBB136_20
; %bb.19:
	s_load_dwordx2 s[0:1], s[0:1], 0x38
	s_mul_i32 s5, s20, s10
	s_mul_i32 s4, s4, s14
	s_add_i32 s2, s5, s2
	s_add_i32 s2, s2, s4
	s_lshl_b64 s[2:3], s[2:3], 2
	s_waitcnt lgkmcnt(0)
	s_add_u32 s0, s0, s2
	s_addc_u32 s1, s1, s3
	v_mov_b32_e32 v2, 0
	v_add_f32_e32 v0, v0, v1
	global_store_dword v2, v0, s[0:1]
.LBB136_20:
	s_endpgm
	.section	.rodata,"a",@progbits
	.p2align	6, 0x0
	.amdhsa_kernel _ZL13mul_mat_vec_qIL9ggml_type13ELi1ELb0ELb0EEvPKvS2_PKi31ggml_cuda_mm_fusion_args_devicePfj15HIP_vector_typeIjLj3EEjjjS8_jjjS8_jjjj
		.amdhsa_group_segment_fixed_size 256
		.amdhsa_private_segment_fixed_size 0
		.amdhsa_kernarg_size 144
		.amdhsa_user_sgpr_count 2
		.amdhsa_user_sgpr_dispatch_ptr 0
		.amdhsa_user_sgpr_queue_ptr 0
		.amdhsa_user_sgpr_kernarg_segment_ptr 1
		.amdhsa_user_sgpr_dispatch_id 0
		.amdhsa_user_sgpr_kernarg_preload_length 0
		.amdhsa_user_sgpr_kernarg_preload_offset 0
		.amdhsa_user_sgpr_private_segment_size 0
		.amdhsa_uses_dynamic_stack 0
		.amdhsa_enable_private_segment 0
		.amdhsa_system_sgpr_workgroup_id_x 1
		.amdhsa_system_sgpr_workgroup_id_y 1
		.amdhsa_system_sgpr_workgroup_id_z 1
		.amdhsa_system_sgpr_workgroup_info 0
		.amdhsa_system_vgpr_workitem_id 1
		.amdhsa_next_free_vgpr 39
		.amdhsa_next_free_sgpr 25
		.amdhsa_accum_offset 40
		.amdhsa_reserve_vcc 1
		.amdhsa_float_round_mode_32 0
		.amdhsa_float_round_mode_16_64 0
		.amdhsa_float_denorm_mode_32 3
		.amdhsa_float_denorm_mode_16_64 3
		.amdhsa_dx10_clamp 1
		.amdhsa_ieee_mode 1
		.amdhsa_fp16_overflow 0
		.amdhsa_tg_split 0
		.amdhsa_exception_fp_ieee_invalid_op 0
		.amdhsa_exception_fp_denorm_src 0
		.amdhsa_exception_fp_ieee_div_zero 0
		.amdhsa_exception_fp_ieee_overflow 0
		.amdhsa_exception_fp_ieee_underflow 0
		.amdhsa_exception_fp_ieee_inexact 0
		.amdhsa_exception_int_div_zero 0
	.end_amdhsa_kernel
	.section	.text._ZL13mul_mat_vec_qIL9ggml_type13ELi1ELb0ELb0EEvPKvS2_PKi31ggml_cuda_mm_fusion_args_devicePfj15HIP_vector_typeIjLj3EEjjjS8_jjjS8_jjjj,"axG",@progbits,_ZL13mul_mat_vec_qIL9ggml_type13ELi1ELb0ELb0EEvPKvS2_PKi31ggml_cuda_mm_fusion_args_devicePfj15HIP_vector_typeIjLj3EEjjjS8_jjjS8_jjjj,comdat
.Lfunc_end136:
	.size	_ZL13mul_mat_vec_qIL9ggml_type13ELi1ELb0ELb0EEvPKvS2_PKi31ggml_cuda_mm_fusion_args_devicePfj15HIP_vector_typeIjLj3EEjjjS8_jjjS8_jjjj, .Lfunc_end136-_ZL13mul_mat_vec_qIL9ggml_type13ELi1ELb0ELb0EEvPKvS2_PKi31ggml_cuda_mm_fusion_args_devicePfj15HIP_vector_typeIjLj3EEjjjS8_jjjS8_jjjj
                                        ; -- End function
	.section	.AMDGPU.csdata,"",@progbits
; Kernel info:
; codeLenInByte = 1528
; NumSgprs: 31
; NumVgprs: 39
; NumAgprs: 0
; TotalNumVgprs: 39
; ScratchSize: 0
; MemoryBound: 0
; FloatMode: 240
; IeeeMode: 1
; LDSByteSize: 256 bytes/workgroup (compile time only)
; SGPRBlocks: 3
; VGPRBlocks: 4
; NumSGPRsForWavesPerEU: 31
; NumVGPRsForWavesPerEU: 39
; AccumOffset: 40
; Occupancy: 8
; WaveLimiterHint : 0
; COMPUTE_PGM_RSRC2:SCRATCH_EN: 0
; COMPUTE_PGM_RSRC2:USER_SGPR: 2
; COMPUTE_PGM_RSRC2:TRAP_HANDLER: 0
; COMPUTE_PGM_RSRC2:TGID_X_EN: 1
; COMPUTE_PGM_RSRC2:TGID_Y_EN: 1
; COMPUTE_PGM_RSRC2:TGID_Z_EN: 1
; COMPUTE_PGM_RSRC2:TIDIG_COMP_CNT: 1
; COMPUTE_PGM_RSRC3_GFX90A:ACCUM_OFFSET: 9
; COMPUTE_PGM_RSRC3_GFX90A:TG_SPLIT: 0
	.section	.text._ZL13mul_mat_vec_qIL9ggml_type13ELi2ELb0ELb0EEvPKvS2_PKi31ggml_cuda_mm_fusion_args_devicePfj15HIP_vector_typeIjLj3EEjjjS8_jjjS8_jjjj,"axG",@progbits,_ZL13mul_mat_vec_qIL9ggml_type13ELi2ELb0ELb0EEvPKvS2_PKi31ggml_cuda_mm_fusion_args_devicePfj15HIP_vector_typeIjLj3EEjjjS8_jjjS8_jjjj,comdat
	.globl	_ZL13mul_mat_vec_qIL9ggml_type13ELi2ELb0ELb0EEvPKvS2_PKi31ggml_cuda_mm_fusion_args_devicePfj15HIP_vector_typeIjLj3EEjjjS8_jjjS8_jjjj ; -- Begin function _ZL13mul_mat_vec_qIL9ggml_type13ELi2ELb0ELb0EEvPKvS2_PKi31ggml_cuda_mm_fusion_args_devicePfj15HIP_vector_typeIjLj3EEjjjS8_jjjS8_jjjj
	.p2align	8
	.type	_ZL13mul_mat_vec_qIL9ggml_type13ELi2ELb0ELb0EEvPKvS2_PKi31ggml_cuda_mm_fusion_args_devicePfj15HIP_vector_typeIjLj3EEjjjS8_jjjS8_jjjj,@function
_ZL13mul_mat_vec_qIL9ggml_type13ELi2ELb0ELb0EEvPKvS2_PKi31ggml_cuda_mm_fusion_args_devicePfj15HIP_vector_typeIjLj3EEjjjS8_jjjS8_jjjj: ; @_ZL13mul_mat_vec_qIL9ggml_type13ELi2ELb0ELb0EEvPKvS2_PKi31ggml_cuda_mm_fusion_args_devicePfj15HIP_vector_typeIjLj3EEjjjS8_jjjS8_jjjj
; %bb.0:
	s_load_dwordx2 s[20:21], s[0:1], 0x4
	s_load_dword s7, s[2:3], 0x40
	s_load_dwordx4 s[8:11], s[2:3], 0x50
	s_load_dword s27, s[2:3], 0x60
	s_load_dwordx4 s[12:15], s[2:3], 0x68
	s_load_dword s26, s[2:3], 0x78
	s_load_dwordx4 s[16:19], s[2:3], 0x80
	s_waitcnt lgkmcnt(0)
	s_lshr_b32 s0, s20, 16
	v_bfe_u32 v28, v0, 10, 10
	v_and_b32_e32 v26, 0x3ff, v0
	s_mul_i32 s0, s0, s21
	v_mul_u32_u24_e32 v1, s21, v28
	v_mad_u32_u24 v1, s0, v26, v1
	v_bfe_u32 v0, v0, 20, 10
	v_add_lshl_u32 v4, v1, v0, 4
	v_mov_b32_e32 v0, 0
	v_lshl_add_u32 v5, v28, 6, v26
	v_mov_b32_e32 v1, v0
	v_mov_b32_e32 v2, v0
	;; [unrolled: 1-line block ×3, first 2 shown]
	s_lshr_b32 s7, s7, 8
	ds_write_b128 v4, v[0:3] offset:1024
	v_lshrrev_b32_e32 v1, 4, v5
	v_add_u32_e32 v27, 0x400, v4
	s_lshl_b32 s4, s4, 1
	v_cmp_gt_u32_e32 vcc, s7, v1
	v_mov_b32_e32 v4, v0
	v_mov_b32_e32 v5, v0
	s_and_saveexec_b64 s[24:25], vcc
	s_cbranch_execz .LBB137_20
; %bb.1:
	s_mul_hi_u32 s0, s11, s5
	s_add_i32 s0, s5, s0
	s_lshr_b32 s0, s0, s27
	s_load_dwordx4 s[20:23], s[2:3], 0x0
	s_mul_i32 s11, s0, s12
	s_mul_hi_u32 s0, s15, s6
	s_add_i32 s0, s6, s0
	s_lshr_b32 s0, s0, s26
	s_mul_i32 s15, s0, s16
	s_mul_i32 s0, s6, s17
	s_mul_hi_u32 s1, s0, 36
	s_mul_i32 s0, s0, 36
	s_waitcnt lgkmcnt(0)
	s_add_u32 s0, s22, s0
	s_mul_i32 s12, s5, s13
	s_addc_u32 s1, s23, s1
	s_mul_hi_u32 s13, s12, 36
	s_mul_i32 s12, s12, 36
	v_lshlrev_b32_e32 v0, 1, v26
	s_add_u32 s0, s0, s12
	v_and_b32_e32 v3, 30, v0
	v_bfe_u32 v0, v0, 3, 2
	s_addc_u32 s1, s1, s13
	v_cmp_lt_u32_e32 vcc, 15, v3
	v_lshlrev_b32_e32 v3, 1, v0
	v_mad_u64_u32 v[12:13], s[12:13], v3, 36, s[0:1]
	v_bfe_u32 v4, v26, 2, 2
	v_mul_hi_u32_u24_e32 v5, 0x48, v4
	v_mul_u32_u24_e32 v4, 0x48, v4
	s_movk_i32 s12, 0x120
	v_mad_u64_u32 v[4:5], s[12:13], v1, s12, v[4:5]
	v_lshl_add_u64 v[4:5], s[0:1], 0, v[4:5]
	s_add_i32 s0, s4, 1
	v_mov_b32_e32 v9, 0
	v_and_b32_e32 v2, 3, v26
	s_mul_i32 s16, s4, s8
	s_add_i32 s15, s15, s11
	s_mul_i32 s0, s8, s0
	v_lshlrev_b32_e32 v6, 5, v0
	v_mov_b32_e32 v7, v9
	v_lshlrev_b32_e32 v10, 2, v2
	v_mov_b32_e32 v11, v9
	v_lshl_add_u64 v[14:15], v[4:5], 0, 36
	s_add_i32 s11, s15, s16
	v_lshl_add_u32 v29, v1, 3, s9
	s_add_i32 s15, s15, s0
	s_mov_b64 s[8:9], 0
	s_movk_i32 s16, 0xb0
	v_mov_b64_e32 v[16:17], s[20:21]
	v_lshlrev_b32_e32 v8, 1, v0
	s_mov_b32 s17, 0x5040100
	s_mov_b32 s19, 0x20004
	;; [unrolled: 1-line block ×4, first 2 shown]
	v_lshlrev_b32_e32 v18, 2, v2
	s_mov_b32 s26, 0xffff
	s_mov_b32 s27, 0x40002
	;; [unrolled: 1-line block ×3, first 2 shown]
	s_mov_b64 s[12:13], 0x900
	v_mov_b32_e32 v2, v9
	v_mov_b32_e32 v5, v9
	;; [unrolled: 1-line block ×4, first 2 shown]
	s_branch .LBB137_3
.LBB137_2:                              ;   in Loop: Header=BB137_3 Depth=1
	s_or_b64 exec, exec, s[0:1]
	s_waitcnt vmcnt(12)
	v_ashrrev_i32_e32 v44, v3, v44
	v_ashrrev_i32_e32 v43, v3, v43
	v_and_b32_e32 v54, 0xf0f0f0f, v41
	v_lshlrev_b32_e32 v56, 4, v44
	v_and_b32_e32 v52, 0xf0f0f0f, v42
	v_lshlrev_b32_e32 v55, 4, v43
	v_and_or_b32 v54, v56, s28, v54
	v_mov_b32_e32 v56, v9
	v_mov_b32_e32 v21, v9
	v_and_or_b32 v52, v55, s28, v52
	v_lshrrev_b32_e32 v41, 4, v41
	s_waitcnt vmcnt(4)
	v_dot4c_i32_i8_e32 v56, v54, v25
	v_dot4c_i32_i8_e32 v21, 0x1010101, v25
	v_mov_b32_e32 v23, v9
	v_lshrrev_b32_e32 v42, 4, v42
	v_and_b32_e32 v41, 0xf0f0f0f, v41
	v_lshlrev_b32_e32 v44, 3, v44
	s_waitcnt vmcnt(1)
	v_dot4c_i32_i8_e32 v56, v52, v40
	v_and_b32_e32 v57, 0xff, v53
	v_dot4c_i32_i8_e32 v21, 0x1010101, v40
	v_dot4c_i32_i8_e32 v23, 0x1010101, v24
	v_and_b32_e32 v42, 0xf0f0f0f, v42
	v_lshlrev_b32_e32 v43, 3, v43
	v_and_or_b32 v41, v44, s28, v41
	v_lshrrev_b32_e32 v44, 24, v53
	v_lshrrev_b16_e32 v55, 8, v53
	v_mul_lo_u32 v56, v56, v57
	v_bfe_u32 v53, v53, 16, 8
	v_mov_b32_e32 v57, v9
	v_dot4c_i32_i8_e32 v23, 0x1010101, v19
	v_and_or_b32 v42, v43, s28, v42
	v_mul_lo_u32 v53, v21, v53
	v_dot4c_i32_i8_e32 v57, v41, v24
	v_cvt_f32_i32_e32 v56, v56
	v_cvt_f32_i32_e32 v53, v53
	v_dot4c_i32_i8_e32 v57, v42, v19
	v_mul_lo_u32 v44, v23, v44
	v_cvt_f32_i32_e32 v44, v44
	v_cvt_f32_f16_sdwa v43, v36 dst_sel:DWORD dst_unused:UNUSED_PAD src0_sel:WORD_1
	v_mul_lo_u32 v55, v57, v55
	v_cvt_f32_i32_e32 v55, v55
	v_cvt_f32_f16_e32 v22, v49
	v_fma_mix_f32 v56, v49, v56, 0 op_sel_hi:[1,0,0]
	v_fma_mix_f32 v49, v49, v53, 0 op_sel_hi:[1,0,0]
	s_waitcnt vmcnt(0)
	v_fma_mix_f32 v53, v51, v55, v56 op_sel_hi:[1,0,0]
	v_fma_mix_f32 v44, v51, v44, v49 op_sel_hi:[1,0,0]
	v_ashrrev_i32_e32 v46, v3, v46
	v_mul_f32_e32 v44, v44, v43
	v_ashrrev_i32_e32 v45, v3, v45
	v_cvt_f32_f16_e32 v50, v51
	v_fma_mix_f32 v44, v53, v36, -v44 op_sel_hi:[0,1,0]
	v_and_b32_e32 v51, 0xf0f0f0f, v39
	v_and_b32_e32 v53, 0xf0f0f0f, v38
	v_lshlrev_b32_e32 v55, 4, v45
	v_lshlrev_b32_e32 v56, 4, v46
	v_and_or_b32 v51, v55, s28, v51
	v_and_or_b32 v53, v56, s28, v53
	v_mov_b32_e32 v55, v9
	v_add_f32_e32 v4, v4, v44
	v_mov_b32_e32 v44, v9
	v_dot4c_i32_i8_e32 v55, v53, v35
	v_lshrrev_b32_e32 v38, 4, v38
	v_dot4c_i32_i8_e32 v44, 0x1010101, v35
	v_mov_b32_e32 v49, v9
	v_dot4c_i32_i8_e32 v55, v51, v34
	v_bfe_u32 v56, v48, 16, 8
	v_lshrrev_b32_e32 v39, 4, v39
	v_and_b32_e32 v38, 0xf0f0f0f, v38
	v_lshlrev_b32_e32 v46, 3, v46
	v_dot4c_i32_i8_e32 v44, 0x1010101, v34
	v_dot4c_i32_i8_e32 v49, 0x1010101, v33
	v_mul_lo_u32 v55, v55, v56
	v_lshrrev_b16_e32 v56, 8, v48
	v_lshrrev_b32_e32 v57, 24, v48
	v_and_b32_e32 v48, 0xff, v48
	v_and_b32_e32 v39, 0xf0f0f0f, v39
	v_lshlrev_b32_e32 v45, 3, v45
	v_and_or_b32 v46, v46, s28, v38
	v_mov_b32_e32 v38, v9
	v_dot4c_i32_i8_e32 v49, 0x1010101, v32
	v_mul_lo_u32 v48, v44, v48
	v_and_or_b32 v45, v45, s28, v39
	v_dot4c_i32_i8_e32 v38, v46, v33
	v_cvt_f32_i32_e32 v48, v48
	v_dot4c_i32_i8_e32 v38, v45, v32
	v_mul_lo_u32 v39, v49, v56
	v_cvt_f32_i32_e32 v55, v55
	v_cvt_f32_i32_e32 v56, v39
	v_mul_lo_u32 v38, v38, v57
	v_cvt_f32_i32_e32 v38, v38
	v_cvt_f32_f16_sdwa v39, v47 dst_sel:DWORD dst_unused:UNUSED_PAD src0_sel:WORD_1
	v_fma_mix_f32 v48, v30, v48, 0 op_sel_hi:[1,0,0]
	v_fma_mix_f32 v55, v30, v55, 0 op_sel_hi:[1,0,0]
	v_fma_mix_f32 v48, v31, v56, v48 op_sel_hi:[1,0,0]
	v_fma_mix_f32 v55, v31, v38, v55 op_sel_hi:[1,0,0]
	v_mul_f32_e32 v48, v48, v39
	v_cvt_f32_f16_e32 v38, v47
	v_fma_mix_f32 v47, v55, v47, -v48 op_sel_hi:[0,1,0]
	v_mov_b32_e32 v55, v9
	v_dot4c_i32_i8_e32 v55, v54, v35
	v_add_f32_e32 v0, v0, v47
	v_lshrrev_b16_e32 v47, 8, v37
	v_lshrrev_b32_e32 v48, 24, v37
	v_dot4c_i32_i8_e32 v55, v52, v34
	v_bfe_u32 v34, v37, 16, 8
	v_and_b32_e32 v35, 0xff, v37
	v_mov_b32_e32 v37, v9
	v_dot4c_i32_i8_e32 v37, v41, v33
	v_mul_lo_u32 v34, v55, v34
	v_mul_lo_u32 v35, v44, v35
	v_dot4c_i32_i8_e32 v37, v42, v32
	v_cvt_f32_i32_e32 v34, v34
	v_cvt_f32_i32_e32 v35, v35
	v_mul_lo_u32 v33, v49, v47
	v_mul_lo_u32 v32, v37, v48
	v_cvt_f32_i32_e32 v32, v32
	v_cvt_f32_i32_e32 v33, v33
	v_fma_mix_f32 v34, v30, v34, 0 op_sel_hi:[1,0,0]
	v_fma_mix_f32 v30, v30, v35, 0 op_sel_hi:[1,0,0]
	;; [unrolled: 1-line block ×4, first 2 shown]
	v_mov_b32_e32 v31, v9
	v_dot4c_i32_i8_e32 v31, v53, v25
	v_mov_b32_e32 v25, v9
	v_dot4c_i32_i8_e32 v25, v46, v24
	v_dot4c_i32_i8_e32 v25, v45, v19
	v_pk_lshrrev_b16 v19, 8, v20 op_sel_hi:[0,1]
	v_and_b32_e32 v20, 0xff00ff, v20
	v_dot4c_i32_i8_e32 v31, v51, v40
	v_lshrrev_b32_e32 v33, 16, v20
	v_and_b32_e32 v20, 0xff, v20
	v_lshrrev_b32_e32 v24, 16, v19
	v_and_b32_e32 v19, 0xff, v19
	v_mul_lo_u32 v20, v31, v20
	v_mul_lo_u32 v21, v21, v33
	v_cvt_f32_i32_e32 v20, v20
	v_cvt_f32_i32_e32 v21, v21
	v_mul_lo_u32 v19, v25, v19
	v_mul_lo_u32 v23, v23, v24
	v_cvt_f32_i32_e32 v24, v19
	v_cvt_f32_i32_e32 v25, v23
	v_pk_fma_f32 v[20:21], v[22:23], v[20:21], 0 op_sel_hi:[0,1,0]
	v_mul_f32_e32 v30, v30, v43
	v_fma_mix_f32 v19, v32, v36, -v30 op_sel_hi:[0,1,0]
	v_pk_fma_f32 v[20:21], v[50:51], v[24:25], v[20:21] op_sel_hi:[0,1,1]
	v_pk_mul_f32 v[20:21], v[20:21], v[38:39]
	v_add_u32_e32 v1, 8, v1
	v_add_f32_e32 v2, v2, v19
	v_sub_f32_e32 v19, v20, v21
	v_cmp_le_u32_e64 s[0:1], s7, v1
	v_add_f32_e32 v5, v5, v19
	v_lshl_add_u64 v[14:15], v[14:15], 0, s[12:13]
	s_or_b64 s[8:9], s[0:1], s[8:9]
	v_add_u32_e32 v29, 64, v29
	s_andn2_b64 exec, exec, s[8:9]
	s_cbranch_execz .LBB137_19
.LBB137_3:                              ; =>This Inner Loop Header: Depth=1
	v_add_u32_e32 v19, s11, v1
	v_lshl_add_u64 v[20:21], v[14:15], 0, v[10:11]
	v_mad_i64_i32 v[22:23], s[0:1], v19, s16, v[16:17]
	global_load_dword v30, v[14:15], off offset:-36
	global_load_dword v31, v[14:15], off
	global_load_dword v34, v[20:21], off offset:-32
	global_load_dword v35, v[20:21], off offset:-16
	global_load_dword v32, v[20:21], off offset:4
	global_load_dword v33, v[20:21], off offset:20
	v_lshl_add_u64 v[20:21], v[22:23], 0, v[10:11]
	v_lshl_add_u64 v[24:25], v[20:21], 0, v[6:7]
	global_load_dword v41, v[24:25], off offset:64
	global_load_dword v43, v[20:21], off offset:16
	;; [unrolled: 1-line block ×4, first 2 shown]
	v_lshl_add_u64 v[20:21], v[22:23], 0, v[8:9]
                                        ; implicit-def: $vgpr37
                                        ; implicit-def: $vgpr50
	s_and_saveexec_b64 s[0:1], vcc
	s_xor_b64 s[0:1], exec, s[0:1]
	s_cbranch_execz .LBB137_5
; %bb.4:                                ;   in Loop: Header=BB137_3 Depth=1
	global_load_ushort v19, v[20:21], off offset:8
	global_load_ushort v24, v[20:21], off offset:4
	global_load_ushort v25, v[20:21], off
	s_waitcnt vmcnt(1)
	v_lshrrev_b16_e32 v36, 2, v24
	s_waitcnt vmcnt(0)
	v_perm_b32 v25, v25, v19, s17
	v_perm_b32 v36, v19, v36, s17
	v_pk_lshrrev_b16 v25, s19, v25
	v_and_b32_e32 v36, 0xf0f3030, v36
	v_and_or_b32 v37, v25, s22, v36
	v_perm_b32 v50, v19, v24, s17
.LBB137_5:                              ;   in Loop: Header=BB137_3 Depth=1
	s_andn2_saveexec_b64 s[0:1], s[0:1]
	s_cbranch_execz .LBB137_7
; %bb.6:                                ;   in Loop: Header=BB137_3 Depth=1
	global_load_ushort v19, v[20:21], off offset:4
	global_load_ushort v24, v[20:21], off offset:8
	s_waitcnt vmcnt(0)
	v_perm_b32 v25, v19, v24, s17
	v_and_b32_e32 v37, 0x3f3f3f3f, v25
	v_perm_b32 v50, v24, v19, s17
.LBB137_7:                              ;   in Loop: Header=BB137_3 Depth=1
	s_or_b64 exec, exec, s[0:1]
	v_add_u32_e32 v19, s15, v1
	v_mov_b64_e32 v[24:25], s[20:21]
	v_mad_i64_i32 v[24:25], s[0:1], v19, s16, v[24:25]
	v_lshl_add_u64 v[48:49], v[24:25], 0, v[10:11]
	v_lshl_add_u64 v[52:53], v[48:49], 0, v[6:7]
	global_load_dword v38, v[52:53], off offset:64
	global_load_dword v36, v[22:23], off
	global_load_dword v45, v[48:49], off offset:16
	global_load_dword v39, v[52:53], off offset:48
	;; [unrolled: 1-line block ×3, first 2 shown]
	v_lshl_add_u64 v[22:23], v[24:25], 0, v[8:9]
                                        ; implicit-def: $vgpr48
                                        ; implicit-def: $vgpr52
	s_and_saveexec_b64 s[0:1], vcc
	s_xor_b64 s[0:1], exec, s[0:1]
	s_cbranch_execz .LBB137_9
; %bb.8:                                ;   in Loop: Header=BB137_3 Depth=1
	global_load_ushort v19, v[22:23], off offset:8
	global_load_ushort v40, v[22:23], off offset:4
	global_load_ushort v47, v[22:23], off
	s_waitcnt vmcnt(1)
	v_lshrrev_b16_e32 v48, 2, v40
	s_waitcnt vmcnt(0)
	v_perm_b32 v47, v47, v19, s17
	v_perm_b32 v48, v19, v48, s17
	v_pk_lshrrev_b16 v47, s19, v47
	v_and_b32_e32 v48, 0xf0f3030, v48
	v_and_or_b32 v48, v47, s22, v48
	v_perm_b32 v52, v19, v40, s17
.LBB137_9:                              ;   in Loop: Header=BB137_3 Depth=1
	s_andn2_saveexec_b64 s[0:1], s[0:1]
	s_cbranch_execz .LBB137_11
; %bb.10:                               ;   in Loop: Header=BB137_3 Depth=1
	global_load_ushort v19, v[22:23], off offset:4
	global_load_ushort v40, v[22:23], off offset:8
	s_waitcnt vmcnt(0)
	v_perm_b32 v47, v19, v40, s17
	v_and_b32_e32 v48, 0x3f3f3f3f, v47
	v_perm_b32 v52, v40, v19, s17
.LBB137_11:                             ;   in Loop: Header=BB137_3 Depth=1
	s_or_b64 exec, exec, s[0:1]
	v_mad_u64_u32 v[54:55], s[0:1], v29, 36, v[12:13]
	v_mov_b32_e32 v19, v9
	v_lshl_add_u64 v[56:57], v[54:55], 0, v[18:19]
	global_load_dword v47, v[24:25], off
	global_load_dword v49, v[54:55], off
	s_nop 0
	global_load_dword v25, v[56:57], off offset:20
	global_load_dword v19, v[56:57], off offset:40
	;; [unrolled: 1-line block ×5, first 2 shown]
                                        ; implicit-def: $vgpr53
	s_and_saveexec_b64 s[0:1], vcc
	s_xor_b64 s[0:1], exec, s[0:1]
	s_cbranch_execz .LBB137_13
; %bb.12:                               ;   in Loop: Header=BB137_3 Depth=1
	global_load_ushort v20, v[20:21], off
	v_lshrrev_b16_e32 v21, 2, v50
	v_alignbit_b32 v21, v21, v50, 16
	v_and_b32_e32 v21, 0x30300f0f, v21
	s_waitcnt vmcnt(0)
	v_bfi_b32 v20, s26, v20, v50
	v_pk_lshrrev_b16 v20, s27, v20
                                        ; implicit-def: $vgpr50
	s_nop 0
	v_and_or_b32 v53, v20, s23, v21
	s_andn2_saveexec_b64 s[0:1], s[0:1]
	s_branch .LBB137_14
.LBB137_13:                             ;   in Loop: Header=BB137_3 Depth=1
	s_andn2_saveexec_b64 s[0:1], s[0:1]
.LBB137_14:                             ;   in Loop: Header=BB137_3 Depth=1
	v_and_b32_e32 v53, 0x3f3f3f3f, v50
; %bb.15:                               ;   in Loop: Header=BB137_3 Depth=1
	s_or_b64 exec, exec, s[0:1]
                                        ; implicit-def: $vgpr20
	s_and_saveexec_b64 s[0:1], vcc
	s_xor_b64 s[0:1], exec, s[0:1]
	s_cbranch_execz .LBB137_17
; %bb.16:                               ;   in Loop: Header=BB137_3 Depth=1
	global_load_ushort v20, v[22:23], off
	v_lshrrev_b16_e32 v21, 2, v52
	v_alignbit_b32 v21, v21, v52, 16
	v_and_b32_e32 v21, 0x30300f0f, v21
	s_waitcnt vmcnt(0)
	v_bfi_b32 v20, s26, v20, v52
	v_pk_lshrrev_b16 v20, s27, v20
                                        ; implicit-def: $vgpr52
	s_nop 0
	v_and_or_b32 v20, v20, s23, v21
	s_andn2_saveexec_b64 s[0:1], s[0:1]
	s_cbranch_execz .LBB137_2
	s_branch .LBB137_18
.LBB137_17:                             ;   in Loop: Header=BB137_3 Depth=1
	s_andn2_saveexec_b64 s[0:1], s[0:1]
	s_cbranch_execz .LBB137_2
.LBB137_18:                             ;   in Loop: Header=BB137_3 Depth=1
	v_and_b32_e32 v20, 0x3f3f3f3f, v52
	s_branch .LBB137_2
.LBB137_19:
	s_or_b64 exec, exec, s[8:9]
	v_mov_b32_e32 v3, v0
	ds_write_b128 v27, v[2:5]
.LBB137_20:
	s_or_b64 exec, exec, s[24:25]
	v_cmp_eq_u32_e32 vcc, 0, v28
	v_cmp_ne_u32_e64 s[0:1], 0, v28
	v_lshlrev_b32_e32 v1, 2, v26
	s_and_saveexec_b64 s[8:9], s[0:1]
	s_cbranch_execz .LBB137_22
; %bb.21:
	v_lshl_or_b32 v3, v28, 10, v1
	v_add_u32_e32 v3, 0xfffffc00, v3
	ds_write2st64_b32 v3, v2, v0 offset1:1
	ds_write2st64_b32 v3, v4, v5 offset0:2 offset1:3
.LBB137_22:
	s_or_b64 exec, exec, s[8:9]
	s_waitcnt lgkmcnt(0)
	s_barrier
	s_and_saveexec_b64 s[0:1], vcc
	s_cbranch_execz .LBB137_27
; %bb.23:
	v_mbcnt_lo_u32_b32 v0, -1, 0
	v_mbcnt_hi_u32_b32 v12, -1, v0
	ds_read2st64_b32 v[2:3], v1 offset1:1
	ds_read_b64 v[4:5], v27
	v_and_b32_e32 v0, 64, v12
	v_add_u32_e32 v13, 64, v0
	v_xor_b32_e32 v0, 32, v12
	v_cmp_lt_i32_e32 vcc, v0, v13
	s_waitcnt lgkmcnt(0)
	v_pk_add_f32 v[4:5], v[2:3], v[4:5]
	v_xor_b32_e32 v2, 16, v12
	v_cndmask_b32_e32 v0, v12, v0, vcc
	v_lshlrev_b32_e32 v0, 2, v0
	ds_bpermute_b32 v6, v0, v4
	ds_bpermute_b32 v7, v0, v5
	v_cmp_lt_i32_e32 vcc, v2, v13
	v_xor_b32_e32 v3, 8, v12
	s_load_dwordx2 s[0:1], s[2:3], 0x38
	v_cndmask_b32_e32 v2, v12, v2, vcc
	v_lshlrev_b32_e32 v2, 2, v2
	s_waitcnt lgkmcnt(0)
	v_pk_add_f32 v[4:5], v[4:5], v[6:7]
	ds_bpermute_b32 v6, v2, v4
	ds_bpermute_b32 v7, v2, v5
	v_cmp_lt_i32_e32 vcc, v3, v13
	s_mul_i32 s2, s5, s14
	s_mul_i32 s6, s6, s18
	v_cndmask_b32_e32 v3, v12, v3, vcc
	v_lshlrev_b32_e32 v3, 2, v3
	s_waitcnt lgkmcnt(0)
	v_pk_add_f32 v[6:7], v[4:5], v[6:7]
	ds_bpermute_b32 v8, v3, v6
	ds_bpermute_b32 v9, v3, v7
	v_xor_b32_e32 v4, 4, v12
	v_cmp_lt_i32_e32 vcc, v4, v13
	v_xor_b32_e32 v5, 2, v12
	s_add_i32 s2, s2, s4
	v_cndmask_b32_e32 v4, v12, v4, vcc
	v_lshlrev_b32_e32 v4, 2, v4
	s_waitcnt lgkmcnt(0)
	v_pk_add_f32 v[6:7], v[6:7], v[8:9]
	ds_bpermute_b32 v8, v4, v6
	ds_bpermute_b32 v9, v4, v7
	v_cmp_lt_i32_e32 vcc, v5, v13
	s_add_i32 s2, s2, s6
	s_mov_b32 s3, 0
	v_cndmask_b32_e32 v5, v12, v5, vcc
	v_lshlrev_b32_e32 v5, 2, v5
	s_waitcnt lgkmcnt(0)
	v_pk_add_f32 v[8:9], v[6:7], v[8:9]
	ds_bpermute_b32 v10, v5, v8
	ds_bpermute_b32 v11, v5, v9
	v_xor_b32_e32 v6, 1, v12
	v_cmp_lt_i32_e32 vcc, v6, v13
	s_lshl_b64 s[2:3], s[2:3], 2
	s_add_u32 s2, s0, s2
	v_cndmask_b32_e32 v6, v12, v6, vcc
	v_lshlrev_b32_e32 v6, 2, v6
	s_waitcnt lgkmcnt(0)
	v_pk_add_f32 v[8:9], v[8:9], v[10:11]
	ds_bpermute_b32 v10, v6, v8
	ds_bpermute_b32 v11, v6, v9
	v_or_b32_e32 v7, s4, v26
	s_addc_u32 s3, s1, s3
	v_cmp_gt_u32_e32 vcc, 2, v26
	v_cmp_gt_u32_e64 s[0:1], s10, v7
	s_and_b64 s[0:1], vcc, s[0:1]
	s_waitcnt lgkmcnt(0)
	v_pk_add_f32 v[8:9], v[8:9], v[10:11]
	ds_write_b64 v27, v[8:9]
	s_and_saveexec_b64 s[4:5], s[0:1]
	s_cbranch_execz .LBB137_25
; %bb.24:
	v_add_u32_e32 v7, v27, v1
	ds_read_b32 v7, v7
	s_waitcnt lgkmcnt(0)
	global_store_dword v1, v7, s[2:3]
.LBB137_25:
	s_or_b64 exec, exec, s[4:5]
	ds_read2st64_b32 v[8:9], v1 offset0:2 offset1:3
	ds_read_b64 v[10:11], v27 offset:8
	s_waitcnt lgkmcnt(0)
	v_pk_add_f32 v[8:9], v[8:9], v[10:11]
	ds_bpermute_b32 v10, v0, v8
	ds_bpermute_b32 v11, v0, v9
	s_waitcnt lgkmcnt(0)
	v_pk_add_f32 v[0:1], v[8:9], v[10:11]
	ds_bpermute_b32 v8, v2, v0
	ds_bpermute_b32 v9, v2, v1
	;; [unrolled: 4-line block ×6, first 2 shown]
	s_waitcnt lgkmcnt(0)
	v_pk_add_f32 v[0:1], v[0:1], v[2:3]
	ds_write_b64 v27, v[0:1] offset:8
	s_and_b64 exec, exec, s[0:1]
	s_cbranch_execz .LBB137_27
; %bb.26:
	v_lshl_add_u32 v0, v26, 2, v27
	ds_read_b32 v2, v0 offset:8
	v_add_u32_e32 v0, s10, v26
	v_mov_b32_e32 v1, 0
	v_lshl_add_u64 v[0:1], v[0:1], 2, s[2:3]
	s_waitcnt lgkmcnt(0)
	global_store_dword v[0:1], v2, off
.LBB137_27:
	s_endpgm
	.section	.rodata,"a",@progbits
	.p2align	6, 0x0
	.amdhsa_kernel _ZL13mul_mat_vec_qIL9ggml_type13ELi2ELb0ELb0EEvPKvS2_PKi31ggml_cuda_mm_fusion_args_devicePfj15HIP_vector_typeIjLj3EEjjjS8_jjjS8_jjjj
		.amdhsa_group_segment_fixed_size 3072
		.amdhsa_private_segment_fixed_size 0
		.amdhsa_kernarg_size 144
		.amdhsa_user_sgpr_count 4
		.amdhsa_user_sgpr_dispatch_ptr 1
		.amdhsa_user_sgpr_queue_ptr 0
		.amdhsa_user_sgpr_kernarg_segment_ptr 1
		.amdhsa_user_sgpr_dispatch_id 0
		.amdhsa_user_sgpr_kernarg_preload_length 0
		.amdhsa_user_sgpr_kernarg_preload_offset 0
		.amdhsa_user_sgpr_private_segment_size 0
		.amdhsa_uses_dynamic_stack 0
		.amdhsa_enable_private_segment 0
		.amdhsa_system_sgpr_workgroup_id_x 1
		.amdhsa_system_sgpr_workgroup_id_y 1
		.amdhsa_system_sgpr_workgroup_id_z 1
		.amdhsa_system_sgpr_workgroup_info 0
		.amdhsa_system_vgpr_workitem_id 2
		.amdhsa_next_free_vgpr 58
		.amdhsa_next_free_sgpr 29
		.amdhsa_accum_offset 60
		.amdhsa_reserve_vcc 1
		.amdhsa_float_round_mode_32 0
		.amdhsa_float_round_mode_16_64 0
		.amdhsa_float_denorm_mode_32 3
		.amdhsa_float_denorm_mode_16_64 3
		.amdhsa_dx10_clamp 1
		.amdhsa_ieee_mode 1
		.amdhsa_fp16_overflow 0
		.amdhsa_tg_split 0
		.amdhsa_exception_fp_ieee_invalid_op 0
		.amdhsa_exception_fp_denorm_src 0
		.amdhsa_exception_fp_ieee_div_zero 0
		.amdhsa_exception_fp_ieee_overflow 0
		.amdhsa_exception_fp_ieee_underflow 0
		.amdhsa_exception_fp_ieee_inexact 0
		.amdhsa_exception_int_div_zero 0
	.end_amdhsa_kernel
	.section	.text._ZL13mul_mat_vec_qIL9ggml_type13ELi2ELb0ELb0EEvPKvS2_PKi31ggml_cuda_mm_fusion_args_devicePfj15HIP_vector_typeIjLj3EEjjjS8_jjjS8_jjjj,"axG",@progbits,_ZL13mul_mat_vec_qIL9ggml_type13ELi2ELb0ELb0EEvPKvS2_PKi31ggml_cuda_mm_fusion_args_devicePfj15HIP_vector_typeIjLj3EEjjjS8_jjjS8_jjjj,comdat
.Lfunc_end137:
	.size	_ZL13mul_mat_vec_qIL9ggml_type13ELi2ELb0ELb0EEvPKvS2_PKi31ggml_cuda_mm_fusion_args_devicePfj15HIP_vector_typeIjLj3EEjjjS8_jjjS8_jjjj, .Lfunc_end137-_ZL13mul_mat_vec_qIL9ggml_type13ELi2ELb0ELb0EEvPKvS2_PKi31ggml_cuda_mm_fusion_args_devicePfj15HIP_vector_typeIjLj3EEjjjS8_jjjS8_jjjj
                                        ; -- End function
	.section	.AMDGPU.csdata,"",@progbits
; Kernel info:
; codeLenInByte = 3008
; NumSgprs: 35
; NumVgprs: 58
; NumAgprs: 0
; TotalNumVgprs: 58
; ScratchSize: 0
; MemoryBound: 0
; FloatMode: 240
; IeeeMode: 1
; LDSByteSize: 3072 bytes/workgroup (compile time only)
; SGPRBlocks: 4
; VGPRBlocks: 7
; NumSGPRsForWavesPerEU: 35
; NumVGPRsForWavesPerEU: 58
; AccumOffset: 60
; Occupancy: 8
; WaveLimiterHint : 0
; COMPUTE_PGM_RSRC2:SCRATCH_EN: 0
; COMPUTE_PGM_RSRC2:USER_SGPR: 4
; COMPUTE_PGM_RSRC2:TRAP_HANDLER: 0
; COMPUTE_PGM_RSRC2:TGID_X_EN: 1
; COMPUTE_PGM_RSRC2:TGID_Y_EN: 1
; COMPUTE_PGM_RSRC2:TGID_Z_EN: 1
; COMPUTE_PGM_RSRC2:TIDIG_COMP_CNT: 2
; COMPUTE_PGM_RSRC3_GFX90A:ACCUM_OFFSET: 14
; COMPUTE_PGM_RSRC3_GFX90A:TG_SPLIT: 0
	.section	.text._ZL13mul_mat_vec_qIL9ggml_type13ELi3ELb0ELb0EEvPKvS2_PKi31ggml_cuda_mm_fusion_args_devicePfj15HIP_vector_typeIjLj3EEjjjS8_jjjS8_jjjj,"axG",@progbits,_ZL13mul_mat_vec_qIL9ggml_type13ELi3ELb0ELb0EEvPKvS2_PKi31ggml_cuda_mm_fusion_args_devicePfj15HIP_vector_typeIjLj3EEjjjS8_jjjS8_jjjj,comdat
	.globl	_ZL13mul_mat_vec_qIL9ggml_type13ELi3ELb0ELb0EEvPKvS2_PKi31ggml_cuda_mm_fusion_args_devicePfj15HIP_vector_typeIjLj3EEjjjS8_jjjS8_jjjj ; -- Begin function _ZL13mul_mat_vec_qIL9ggml_type13ELi3ELb0ELb0EEvPKvS2_PKi31ggml_cuda_mm_fusion_args_devicePfj15HIP_vector_typeIjLj3EEjjjS8_jjjS8_jjjj
	.p2align	8
	.type	_ZL13mul_mat_vec_qIL9ggml_type13ELi3ELb0ELb0EEvPKvS2_PKi31ggml_cuda_mm_fusion_args_devicePfj15HIP_vector_typeIjLj3EEjjjS8_jjjS8_jjjj,@function
_ZL13mul_mat_vec_qIL9ggml_type13ELi3ELb0ELb0EEvPKvS2_PKi31ggml_cuda_mm_fusion_args_devicePfj15HIP_vector_typeIjLj3EEjjjS8_jjjS8_jjjj: ; @_ZL13mul_mat_vec_qIL9ggml_type13ELi3ELb0ELb0EEvPKvS2_PKi31ggml_cuda_mm_fusion_args_devicePfj15HIP_vector_typeIjLj3EEjjjS8_jjjS8_jjjj
; %bb.0:
	v_bfe_u32 v28, v0, 10, 10
	v_and_b32_e32 v13, 0x3ff, v0
	v_mov_b32_e32 v0, 0
	v_lshl_add_u32 v4, v28, 6, v13
	v_mov_b32_e32 v1, v0
	v_mov_b32_e32 v2, v0
	;; [unrolled: 1-line block ×3, first 2 shown]
	s_load_dword s20, s[0:1], 0x40
	s_load_dwordx4 s[8:11], s[0:1], 0x50
	s_load_dword s7, s[0:1], 0x60
	s_load_dwordx4 s[12:15], s[0:1], 0x68
	;; [unrolled: 2-line block ×3, first 2 shown]
	s_lshl_b32 s5, s2, 1
	s_waitcnt lgkmcnt(0)
	s_lshr_b32 s2, s20, 8
	scratch_store_dwordx2 off, v[0:1], off offset:16
	scratch_store_dwordx4 off, v[0:3], off
	v_mov_b32_e32 v5, v0
	v_mov_b32_e32 v10, v0
	v_lshrrev_b32_e32 v1, 4, v4
	v_cmp_gt_u32_e32 vcc, s2, v1
	v_mov_b32_e32 v4, v0
	v_mov_b32_e32 v11, v0
	s_and_saveexec_b64 s[24:25], vcc
	s_cbranch_execz .LBB138_26
; %bb.1:
	s_mul_hi_u32 s11, s11, s3
	s_add_i32 s11, s3, s11
	s_lshr_b32 s7, s11, s7
	s_load_dwordx4 s[20:23], s[0:1], 0x0
	s_mul_i32 s11, s7, s12
	s_mul_hi_u32 s7, s15, s4
	s_add_i32 s7, s4, s7
	s_lshr_b32 s6, s7, s6
	s_mul_i32 s15, s6, s16
	s_mul_i32 s6, s4, s17
	s_mul_hi_u32 s7, s6, 36
	s_mul_i32 s6, s6, 36
	s_waitcnt lgkmcnt(0)
	s_add_u32 s6, s22, s6
	s_mul_i32 s12, s3, s13
	s_addc_u32 s7, s23, s7
	s_mul_hi_u32 s13, s12, 36
	s_mul_i32 s12, s12, 36
	v_lshlrev_b32_e32 v0, 1, v13
	s_add_u32 s6, s6, s12
	v_and_b32_e32 v2, 30, v0
	v_bfe_u32 v0, v0, 3, 2
	s_addc_u32 s7, s7, s13
	v_lshlrev_b32_e32 v3, 1, v0
	v_cmp_lt_u32_e32 vcc, 15, v2
	v_mad_u64_u32 v[16:17], s[12:13], v3, 36, s[6:7]
	v_bfe_u32 v2, v13, 2, 2
	v_mul_hi_u32_u24_e32 v5, 0x48, v2
	v_mul_u32_u24_e32 v4, 0x48, v2
	s_movk_i32 s12, 0x120
	v_mad_u64_u32 v[4:5], s[12:13], v1, s12, v[4:5]
	v_lshl_add_u64 v[4:5], s[6:7], 0, v[4:5]
	s_add_i32 s6, s5, 1
	v_mov_b32_e32 v9, 0
	v_and_b32_e32 v12, 3, v13
	s_mul_i32 s16, s5, s8
	s_add_i32 s15, s15, s11
	v_lshlrev_b32_e32 v2, 3, v1
	s_mul_i32 s6, s8, s6
	v_lshlrev_b32_e32 v6, 5, v0
	v_mov_b32_e32 v7, v9
	v_lshlrev_b32_e32 v14, 2, v12
	v_mov_b32_e32 v15, v9
	v_lshl_add_u64 v[18:19], v[4:5], 0, 36
	s_add_i32 s11, s15, s16
	v_lshl_add_u32 v29, s9, 1, v2
	v_add_u32_e32 v30, s9, v2
	s_add_i32 s15, s15, s6
	s_mov_b64 s[8:9], 0
	s_movk_i32 s16, 0xb0
	v_mov_b64_e32 v[20:21], s[20:21]
	v_lshlrev_b32_e32 v8, 1, v0
	s_mov_b32 s17, 0x5040100
	s_mov_b32 s19, 0x20004
	;; [unrolled: 1-line block ×3, first 2 shown]
	s_movk_i32 s23, 0xf0f
	s_movk_i32 s26, 0x3f3f
	s_mov_b32 s27, 0x30303030
	s_mov_b32 s28, 0x10101010
	;; [unrolled: 1-line block ×3, first 2 shown]
	s_mov_b64 s[12:13], 0x900
	v_mov_b32_e32 v4, v9
	v_mov_b32_e32 v11, v9
	;; [unrolled: 1-line block ×6, first 2 shown]
	s_branch .LBB138_3
.LBB138_2:                              ;   in Loop: Header=BB138_3 Depth=1
	s_or_b64 exec, exec, s[6:7]
	s_waitcnt vmcnt(18)
	v_ashrrev_i32_e32 v47, v3, v47
	v_ashrrev_i32_e32 v45, v3, v45
	v_and_b32_e32 v67, 0xf0f0f0f, v41
	v_lshlrev_b32_e32 v69, 4, v47
	v_and_b32_e32 v66, 0xf0f0f0f, v43
	v_lshlrev_b32_e32 v68, 4, v45
	v_and_or_b32 v67, v69, s28, v67
	v_mov_b32_e32 v69, v9
	v_mov_b32_e32 v23, v9
	v_and_or_b32 v66, v68, s28, v66
	v_lshrrev_b32_e32 v43, 4, v43
	v_lshrrev_b32_e32 v41, 4, v41
	s_waitcnt vmcnt(3)
	v_dot4c_i32_i8_e32 v69, v67, v55
	v_dot4c_i32_i8_e32 v23, 0x1010101, v55
	v_mov_b32_e32 v25, v9
	v_and_b32_e32 v43, 0xf0f0f0f, v43
	v_and_b32_e32 v41, 0xf0f0f0f, v41
	v_lshlrev_b32_e32 v45, 3, v45
	v_lshlrev_b32_e32 v47, 3, v47
	v_lshrrev_b16_e32 v68, 8, v62
	v_dot4c_i32_i8_e32 v69, v66, v26
	v_and_b32_sdwa v62, s29, v62 dst_sel:DWORD dst_unused:UNUSED_PAD src0_sel:DWORD src1_sel:BYTE_0
	v_dot4c_i32_i8_e32 v23, 0x1010101, v26
	s_waitcnt vmcnt(0)
	v_dot4c_i32_i8_e32 v25, 0x1010101, v56
	v_and_or_b32 v43, v45, s28, v43
	v_and_or_b32 v41, v47, s28, v41
	v_lshrrev_b16_e32 v45, 8, v63
	v_mul_lo_u32 v62, v69, v62
	v_and_b32_sdwa v63, s29, v63 dst_sel:DWORD dst_unused:UNUSED_PAD src0_sel:DWORD src1_sel:BYTE_0
	v_mov_b32_e32 v69, v9
	v_dot4c_i32_i8_e32 v25, 0x1010101, v27
	v_mul_lo_u32 v63, v23, v63
	v_dot4c_i32_i8_e32 v69, v41, v56
	v_cvt_f32_i32_e32 v63, v63
	v_dot4c_i32_i8_e32 v69, v43, v27
	v_mul_lo_u32 v45, v25, v45
	v_cvt_f32_i32_e32 v62, v62
	v_cvt_f32_i32_e32 v45, v45
	v_mul_lo_u32 v68, v69, v68
	v_cvt_f32_f16_sdwa v47, v37 dst_sel:DWORD dst_unused:UNUSED_PAD src0_sel:WORD_1
	v_cvt_f32_i32_e32 v68, v68
	v_fma_mix_f32 v63, v64, v63, 0 op_sel_hi:[1,0,0]
	v_fma_mix_f32 v62, v64, v62, 0 op_sel_hi:[1,0,0]
	;; [unrolled: 1-line block ×4, first 2 shown]
	v_mul_f32_e32 v45, v45, v47
	v_fma_mix_f32 v45, v62, v37, -v45 op_sel_hi:[0,1,0]
	v_add_f32_e32 v10, v10, v45
	v_ashrrev_i32_e32 v45, v3, v52
	v_cvt_f32_f16_e32 v24, v64
	v_ashrrev_i32_e32 v50, v3, v50
	v_and_b32_e32 v64, 0xf0f0f0f, v44
	v_lshlrev_b32_e32 v68, 4, v45
	v_cvt_f32_f16_e32 v60, v65
	v_and_b32_e32 v52, 0xf0f0f0f, v48
	v_lshlrev_b32_e32 v65, 4, v50
	v_and_or_b32 v64, v68, s28, v64
	v_mov_b32_e32 v69, v9
	v_mov_b32_e32 v62, v9
	v_and_or_b32 v52, v65, s28, v52
	v_lshrrev_b32_e32 v48, 4, v48
	v_lshrrev_b32_e32 v44, 4, v44
	v_dot4c_i32_i8_e32 v69, v64, v53
	v_dot4c_i32_i8_e32 v62, 0x1010101, v53
	v_mov_b32_e32 v63, v9
	v_and_b32_e32 v48, 0xf0f0f0f, v48
	v_and_b32_e32 v44, 0xf0f0f0f, v44
	v_lshlrev_b32_e32 v50, 3, v50
	v_lshlrev_b32_e32 v45, 3, v45
	v_lshrrev_b16_e32 v68, 8, v61
	v_dot4c_i32_i8_e32 v69, v52, v54
	v_and_b32_sdwa v61, s29, v61 dst_sel:DWORD dst_unused:UNUSED_PAD src0_sel:DWORD src1_sel:BYTE_0
	v_dot4c_i32_i8_e32 v62, 0x1010101, v54
	v_dot4c_i32_i8_e32 v63, 0x1010101, v51
	v_and_or_b32 v48, v50, s28, v48
	v_and_or_b32 v50, v45, s28, v44
	v_lshrrev_b16_e32 v65, 8, v59
	v_mul_lo_u32 v61, v69, v61
	v_and_b32_sdwa v59, s29, v59 dst_sel:DWORD dst_unused:UNUSED_PAD src0_sel:DWORD src1_sel:BYTE_0
	v_mov_b32_e32 v69, v9
	v_dot4c_i32_i8_e32 v63, 0x1010101, v49
	v_mul_lo_u32 v59, v62, v59
	v_dot4c_i32_i8_e32 v69, v50, v51
	v_cvt_f32_i32_e32 v59, v59
	v_dot4c_i32_i8_e32 v69, v48, v49
	v_mul_lo_u32 v65, v63, v65
	v_cvt_f32_i32_e32 v61, v61
	v_cvt_f32_i32_e32 v65, v65
	v_mul_lo_u32 v68, v69, v68
	v_cvt_f32_f16_sdwa v45, v40 dst_sel:DWORD dst_unused:UNUSED_PAD src0_sel:WORD_1
	v_cvt_f32_i32_e32 v68, v68
	v_fma_mix_f32 v59, v42, v59, 0 op_sel_hi:[1,0,0]
	v_fma_mix_f32 v61, v42, v61, 0 op_sel_hi:[1,0,0]
	;; [unrolled: 1-line block ×4, first 2 shown]
	v_mul_f32_e32 v59, v59, v45
	v_mov_b32_e32 v65, v9
	v_fma_mix_f32 v59, v61, v40, -v59 op_sel_hi:[0,1,0]
	v_dot4c_i32_i8_e32 v65, v67, v53
	v_add_f32_e32 v5, v5, v59
	v_lshrrev_b16_e32 v59, 8, v57
	v_dot4c_i32_i8_e32 v65, v66, v54
	v_and_b32_sdwa v53, s29, v58 dst_sel:DWORD dst_unused:UNUSED_PAD src0_sel:DWORD src1_sel:BYTE_0
	v_and_b32_sdwa v54, s29, v57 dst_sel:DWORD dst_unused:UNUSED_PAD src0_sel:DWORD src1_sel:BYTE_0
	v_mov_b32_e32 v57, v9
	v_mul_lo_u32 v53, v65, v53
	v_mul_lo_u32 v54, v62, v54
	v_dot4c_i32_i8_e32 v57, v41, v51
	v_lshrrev_b16_e32 v61, 8, v58
	v_cvt_f32_i32_e32 v53, v53
	v_cvt_f32_i32_e32 v54, v54
	v_dot4c_i32_i8_e32 v57, v43, v49
	v_mul_lo_u32 v51, v63, v59
	v_cvt_f32_i32_e32 v51, v51
	v_fma_mix_f32 v53, v42, v53, 0 op_sel_hi:[1,0,0]
	v_mul_lo_u32 v49, v57, v61
	v_cvt_f32_i32_e32 v49, v49
	v_fma_mix_f32 v42, v42, v54, 0 op_sel_hi:[1,0,0]
	v_bfe_u32 v54, v39, 16, 8
	v_fma_mix_f32 v42, v46, v51, v42 op_sel_hi:[1,0,0]
	v_fma_mix_f32 v49, v46, v49, v53 op_sel_hi:[1,0,0]
	v_mul_f32_e32 v42, v42, v47
	v_fma_mix_f32 v42, v49, v37, -v42 op_sel_hi:[0,1,0]
	v_mov_b32_e32 v53, v9
	v_add_f32_e32 v4, v4, v42
	v_mov_b32_e32 v42, v9
	v_dot4c_i32_i8_e32 v53, v64, v36
	v_dot4c_i32_i8_e32 v42, 0x1010101, v36
	v_mov_b32_e32 v46, v9
	v_dot4c_i32_i8_e32 v53, v52, v35
	v_dot4c_i32_i8_e32 v42, 0x1010101, v35
	v_dot4c_i32_i8_e32 v46, 0x1010101, v34
	v_lshrrev_b16_e32 v49, 8, v39
	v_lshrrev_b32_e32 v51, 24, v39
	v_mul_lo_u32 v53, v53, v54
	v_and_b32_e32 v39, 0xff, v39
	v_mov_b32_e32 v54, v9
	v_dot4c_i32_i8_e32 v46, 0x1010101, v33
	v_mul_lo_u32 v39, v42, v39
	v_dot4c_i32_i8_e32 v54, v50, v34
	v_cvt_f32_i32_e32 v39, v39
	v_dot4c_i32_i8_e32 v54, v48, v33
	v_mul_lo_u32 v49, v46, v49
	v_cvt_f32_i32_e32 v53, v53
	v_cvt_f32_i32_e32 v49, v49
	v_mul_lo_u32 v51, v54, v51
	v_cvt_f32_i32_e32 v51, v51
	v_fma_mix_f32 v39, v31, v39, 0 op_sel_hi:[1,0,0]
	v_fma_mix_f32 v53, v31, v53, 0 op_sel_hi:[1,0,0]
	v_fma_mix_f32 v39, v32, v49, v39 op_sel_hi:[1,0,0]
	v_mov_b32_e32 v49, v9
	v_fma_mix_f32 v51, v32, v51, v53 op_sel_hi:[1,0,0]
	v_mul_f32_e32 v39, v39, v45
	v_dot4c_i32_i8_e32 v49, v67, v36
	v_fma_mix_f32 v39, v51, v40, -v39 op_sel_hi:[0,1,0]
	v_dot4c_i32_i8_e32 v49, v66, v35
	v_bfe_u32 v35, v38, 16, 8
	v_and_b32_e32 v36, 0xff, v38
	v_cvt_f32_f16_e32 v44, v40
	v_add_f32_e32 v0, v0, v39
	v_lshrrev_b16_e32 v39, 8, v38
	v_lshrrev_b32_e32 v40, 24, v38
	v_mul_lo_u32 v35, v49, v35
	v_mul_lo_u32 v36, v42, v36
	v_mov_b32_e32 v38, v9
	v_cvt_f32_i32_e32 v35, v35
	v_cvt_f32_i32_e32 v36, v36
	v_dot4c_i32_i8_e32 v38, v41, v34
	v_mul_lo_u32 v34, v46, v39
	v_dot4c_i32_i8_e32 v38, v43, v33
	v_cvt_f32_i32_e32 v34, v34
	v_fma_mix_f32 v35, v31, v35, 0 op_sel_hi:[1,0,0]
	v_fma_mix_f32 v31, v31, v36, 0 op_sel_hi:[1,0,0]
	v_mul_lo_u32 v33, v38, v40
	v_cvt_f32_i32_e32 v33, v33
	v_fma_mix_f32 v31, v32, v34, v31 op_sel_hi:[1,0,0]
	v_mov_b32_e32 v34, v9
	v_dot4c_i32_i8_e32 v34, v64, v55
	v_fma_mix_f32 v33, v32, v33, v35 op_sel_hi:[1,0,0]
	v_pk_lshrrev_b16 v32, 8, v22 op_sel_hi:[0,1]
	v_dot4c_i32_i8_e32 v34, v52, v26
	v_and_b32_e32 v22, 0xff00ff, v22
	v_mov_b32_e32 v26, v9
	v_dot4c_i32_i8_e32 v26, v50, v56
	v_lshrrev_b32_e32 v35, 16, v22
	v_and_b32_e32 v22, 0xff, v22
	v_dot4c_i32_i8_e32 v26, v48, v27
	v_lshrrev_b32_e32 v27, 16, v32
	v_and_b32_e32 v32, 0xff, v32
	v_mul_lo_u32 v22, v34, v22
	v_mul_lo_u32 v23, v23, v35
	v_cvt_f32_i32_e32 v22, v22
	v_cvt_f32_i32_e32 v23, v23
	v_mul_lo_u32 v26, v26, v32
	v_mul_lo_u32 v25, v25, v27
	v_cvt_f32_i32_e32 v26, v26
	v_cvt_f32_i32_e32 v27, v25
	v_mul_f32_e32 v31, v31, v47
	v_fma_mix_f32 v25, v33, v37, -v31 op_sel_hi:[0,1,0]
	v_pk_fma_f32 v[22:23], v[24:25], v[22:23], 0 op_sel_hi:[0,1,0]
	v_pk_fma_f32 v[22:23], v[60:61], v[26:27], v[22:23] op_sel_hi:[0,1,1]
	v_pk_mul_f32 v[22:23], v[22:23], v[44:45]
	v_add_u32_e32 v1, 8, v1
	v_sub_f32_e32 v22, v22, v23
	v_cmp_le_u32_e64 s[6:7], s2, v1
	v_add_f32_e32 v2, v2, v25
	v_add_f32_e32 v11, v11, v22
	v_lshl_add_u64 v[18:19], v[18:19], 0, s[12:13]
	v_add_u32_e32 v29, 64, v29
	s_or_b64 s[8:9], s[6:7], s[8:9]
	v_add_u32_e32 v30, 64, v30
	s_andn2_b64 exec, exec, s[8:9]
	s_cbranch_execz .LBB138_25
.LBB138_3:                              ; =>This Inner Loop Header: Depth=1
	v_lshl_add_u64 v[22:23], v[18:19], 0, v[14:15]
	global_load_dword v31, v[18:19], off offset:-36
	global_load_dword v32, v[18:19], off
	global_load_dword v35, v[22:23], off offset:-32
	global_load_dword v36, v[22:23], off offset:-16
	global_load_dword v33, v[22:23], off offset:4
	global_load_dword v34, v[22:23], off offset:20
	v_add_u32_e32 v22, s11, v1
	v_mad_i64_i32 v[24:25], s[6:7], v22, s16, v[20:21]
	v_lshl_add_u64 v[22:23], v[24:25], 0, v[14:15]
	v_lshl_add_u64 v[26:27], v[22:23], 0, v[6:7]
	global_load_dword v41, v[26:27], off offset:64
	global_load_dword v45, v[22:23], off offset:16
	;; [unrolled: 1-line block ×4, first 2 shown]
	v_lshl_add_u64 v[22:23], v[24:25], 0, v[8:9]
                                        ; implicit-def: $vgpr38
                                        ; implicit-def: $vgpr55
                                        ; implicit-def: $vgpr56
	s_and_saveexec_b64 s[6:7], vcc
	s_xor_b64 s[6:7], exec, s[6:7]
	s_cbranch_execz .LBB138_5
; %bb.4:                                ;   in Loop: Header=BB138_3 Depth=1
	global_load_ushort v55, v[22:23], off offset:8
	global_load_ushort v56, v[22:23], off offset:4
	global_load_ushort v26, v[22:23], off
	s_waitcnt vmcnt(1)
	v_lshrrev_b16_e32 v27, 2, v56
	s_waitcnt vmcnt(0)
	v_perm_b32 v26, v26, v55, s17
	v_perm_b32 v27, v55, v27, s17
	v_pk_lshrrev_b16 v26, s19, v26
	v_and_b32_e32 v27, 0xf0f3030, v27
	v_and_or_b32 v38, v26, s22, v27
.LBB138_5:                              ;   in Loop: Header=BB138_3 Depth=1
	s_andn2_saveexec_b64 s[6:7], s[6:7]
	s_cbranch_execz .LBB138_7
; %bb.6:                                ;   in Loop: Header=BB138_3 Depth=1
	global_load_ushort v56, v[22:23], off offset:4
	global_load_ushort v55, v[22:23], off offset:8
	s_waitcnt vmcnt(0)
	v_perm_b32 v26, v56, v55, s17
	v_and_b32_e32 v38, 0x3f3f3f3f, v26
.LBB138_7:                              ;   in Loop: Header=BB138_3 Depth=1
	s_or_b64 exec, exec, s[6:7]
	v_add_u32_e32 v37, s15, v1
	v_mov_b64_e32 v[26:27], s[20:21]
	v_mad_i64_i32 v[26:27], s[6:7], v37, s16, v[26:27]
	v_lshl_add_u64 v[58:59], v[26:27], 0, v[14:15]
	v_lshl_add_u64 v[60:61], v[58:59], 0, v[6:7]
	global_load_dword v44, v[60:61], off offset:64
	global_load_dword v37, v[24:25], off
	global_load_dword v50, v[58:59], off offset:16
	global_load_dword v48, v[60:61], off offset:48
	;; [unrolled: 1-line block ×3, first 2 shown]
	v_lshl_add_u64 v[24:25], v[26:27], 0, v[8:9]
                                        ; implicit-def: $vgpr60
                                        ; implicit-def: $vgpr39
	s_and_saveexec_b64 s[6:7], vcc
	s_xor_b64 s[6:7], exec, s[6:7]
	s_cbranch_execz .LBB138_9
; %bb.8:                                ;   in Loop: Header=BB138_3 Depth=1
	global_load_ushort v40, v[24:25], off offset:8
	global_load_ushort v42, v[24:25], off offset:4
	global_load_ushort v39, v[24:25], off
	s_waitcnt vmcnt(1)
	v_lshrrev_b16_e32 v46, 2, v42
	s_waitcnt vmcnt(0)
	v_perm_b32 v39, v39, v40, s17
	v_perm_b32 v46, v40, v46, s17
	v_pk_lshrrev_b16 v39, s19, v39
	v_and_b32_e32 v46, 0xf0f3030, v46
	v_and_or_b32 v39, v39, s22, v46
	v_perm_b32 v60, v40, v42, s17
.LBB138_9:                              ;   in Loop: Header=BB138_3 Depth=1
	s_andn2_saveexec_b64 s[6:7], s[6:7]
	s_cbranch_execz .LBB138_11
; %bb.10:                               ;   in Loop: Header=BB138_3 Depth=1
	global_load_ushort v40, v[24:25], off offset:4
	global_load_ushort v42, v[24:25], off offset:8
	s_waitcnt vmcnt(0)
	v_perm_b32 v39, v40, v42, s17
	v_and_b32_e32 v39, 0x3f3f3f3f, v39
	v_perm_b32 v60, v42, v40, s17
.LBB138_11:                             ;   in Loop: Header=BB138_3 Depth=1
	s_or_b64 exec, exec, s[6:7]
	global_load_dword v40, v[26:27], off
	v_mad_u64_u32 v[58:59], s[6:7], v30, 36, v[16:17]
	v_lshlrev_b32_e32 v26, 2, v12
	v_mov_b32_e32 v27, v9
	v_lshl_add_u64 v[62:63], v[58:59], 0, v[26:27]
	global_load_dword v42, v[58:59], off
	global_load_dword v53, v[62:63], off offset:20
	global_load_dword v49, v[62:63], off offset:40
	;; [unrolled: 1-line block ×5, first 2 shown]
	v_lshrrev_b16_e32 v27, 4, v55
	v_lshrrev_b16_e32 v57, 2, v56
	v_and_b32_e32 v66, 0xf0f, v55
	v_and_b32_e32 v67, 0xf0f, v27
	;; [unrolled: 1-line block ×3, first 2 shown]
                                        ; implicit-def: $vgpr58
                                        ; implicit-def: $vgpr57
	s_and_saveexec_b64 s[6:7], vcc
	s_xor_b64 s[6:7], exec, s[6:7]
	s_cbranch_execz .LBB138_13
; %bb.12:                               ;   in Loop: Header=BB138_3 Depth=1
	global_load_ushort v27, v[22:23], off
	v_or_b32_e32 v57, v68, v67
	s_waitcnt vmcnt(0)
	v_lshrrev_b16_e32 v27, 2, v27
	v_and_b32_e32 v27, 0x3030, v27
	v_or_b32_e32 v58, v27, v66
.LBB138_13:                             ;   in Loop: Header=BB138_3 Depth=1
	s_or_saveexec_b64 s[6:7], s[6:7]
	v_and_b32_e32 v62, 0x3f3f, v56
	v_and_b32_e32 v63, 0x3f3f, v55
	s_xor_b64 exec, exec, s[6:7]
; %bb.14:                               ;   in Loop: Header=BB138_3 Depth=1
	v_and_b32_e32 v58, 0x3f3f, v56
	v_and_b32_e32 v57, 0x3f3f, v55
; %bb.15:                               ;   in Loop: Header=BB138_3 Depth=1
	s_or_b64 exec, exec, s[6:7]
	v_lshrrev_b32_e32 v69, 20, v60
                                        ; implicit-def: $vgpr61
                                        ; implicit-def: $vgpr59
	s_and_saveexec_b64 s[6:7], vcc
	s_xor_b64 s[6:7], exec, s[6:7]
	s_cbranch_execz .LBB138_17
; %bb.16:                               ;   in Loop: Header=BB138_3 Depth=1
	global_load_ushort v27, v[24:25], off
	v_lshrrev_b16_e32 v59, 2, v60
	v_and_b32_sdwa v55, v60, s23 dst_sel:DWORD dst_unused:UNUSED_PAD src0_sel:WORD_1 src1_sel:DWORD
	v_and_b32_e32 v56, 0xf0f, v69
	v_and_b32_e32 v59, 0x3030, v59
	v_or_b32_e32 v59, v59, v56
	s_waitcnt vmcnt(0)
	v_lshrrev_b16_e32 v27, 2, v27
	v_and_b32_e32 v27, 0x3030, v27
	v_or_b32_e32 v61, v27, v55
.LBB138_17:                             ;   in Loop: Header=BB138_3 Depth=1
	s_andn2_saveexec_b64 s[6:7], s[6:7]
; %bb.18:                               ;   in Loop: Header=BB138_3 Depth=1
	v_and_b32_e32 v61, 0x3f3f, v60
	v_and_b32_sdwa v59, v60, s26 dst_sel:DWORD dst_unused:UNUSED_PAD src0_sel:WORD_1 src1_sel:DWORD
; %bb.19:                               ;   in Loop: Header=BB138_3 Depth=1
	s_or_b64 exec, exec, s[6:7]
	v_mad_u64_u32 v[70:71], s[6:7], v29, 36, v[16:17]
	v_mov_b32_e32 v27, v9
	v_lshl_add_u64 v[72:73], v[70:71], 0, v[26:27]
	global_load_dword v64, v[70:71], off
	global_load_dword v26, v[72:73], off offset:4
	global_load_dword v55, v[72:73], off offset:20
	;; [unrolled: 1-line block ×3, first 2 shown]
                                        ; kill: killed $vgpr70_vgpr71
	global_load_dword v27, v[72:73], off offset:40
	global_load_dword v56, v[72:73], off offset:56
	s_and_saveexec_b64 s[6:7], vcc
	s_xor_b64 s[6:7], exec, s[6:7]
	s_cbranch_execz .LBB138_21
; %bb.20:                               ;   in Loop: Header=BB138_3 Depth=1
	global_load_ushort v22, v[22:23], off
	v_or_b32_e32 v63, v68, v67
	s_waitcnt vmcnt(0)
	v_lshrrev_b16_e32 v22, 2, v22
	v_and_b32_e32 v22, 0x3030, v22
	v_or_b32_e32 v62, v22, v66
.LBB138_21:                             ;   in Loop: Header=BB138_3 Depth=1
	s_andn2_saveexec_b64 s[6:7], s[6:7]
	s_or_b64 exec, exec, s[6:7]
                                        ; implicit-def: $vgpr22
	s_and_saveexec_b64 s[6:7], vcc
	s_xor_b64 s[6:7], exec, s[6:7]
	s_cbranch_execz .LBB138_23
; %bb.22:                               ;   in Loop: Header=BB138_3 Depth=1
	global_load_ushort v22, v[24:25], off
	v_alignbit_b32 v23, v69, v60, 16
	v_and_b32_e32 v23, 0xf0f0f0f, v23
	s_waitcnt vmcnt(0)
	v_perm_b32 v22, v60, v22, s17
	v_pk_lshrrev_b16 v22, 2, v22 op_sel_hi:[0,1]
	v_and_or_b32 v22, v22, s27, v23
                                        ; implicit-def: $vgpr60
.LBB138_23:                             ;   in Loop: Header=BB138_3 Depth=1
	s_andn2_saveexec_b64 s[6:7], s[6:7]
	s_cbranch_execz .LBB138_2
; %bb.24:                               ;   in Loop: Header=BB138_3 Depth=1
	v_and_b32_e32 v22, 0x3f3f3f3f, v60
	s_branch .LBB138_2
.LBB138_25:
	s_or_b64 exec, exec, s[8:9]
	v_mov_b32_e32 v3, v0
	scratch_store_dwordx4 off, v[2:5], off
	scratch_store_dwordx2 off, v[10:11], off offset:16
.LBB138_26:
	s_or_b64 exec, exec, s[24:25]
	v_cmp_eq_u32_e32 vcc, 0, v28
	v_cmp_ne_u32_e64 s[6:7], 0, v28
	v_lshlrev_b32_e32 v1, 2, v13
	s_and_saveexec_b64 s[8:9], s[6:7]
	s_cbranch_execz .LBB138_28
; %bb.27:
	v_mul_u32_u24_e32 v3, 0x600, v28
	s_movk_i32 s2, 0xfa00
	v_add3_u32 v3, v3, v1, s2
	ds_write2st64_b32 v3, v2, v0 offset1:1
	ds_write2st64_b32 v3, v4, v5 offset0:2 offset1:3
	ds_write2st64_b32 v3, v10, v11 offset0:4 offset1:5
.LBB138_28:
	s_or_b64 exec, exec, s[8:9]
	s_waitcnt lgkmcnt(0)
	s_barrier
	s_and_saveexec_b64 s[6:7], vcc
	s_cbranch_execz .LBB138_35
; %bb.29:
	scratch_load_dwordx2 v[2:3], off, off
	v_mbcnt_lo_u32_b32 v0, -1, 0
	ds_read2st64_b32 v[4:5], v1 offset1:1
	v_mbcnt_hi_u32_b32 v12, -1, v0
	v_and_b32_e32 v0, 64, v12
	v_xor_b32_e32 v6, 32, v12
	v_add_u32_e32 v14, 64, v0
	v_cmp_lt_i32_e32 vcc, v6, v14
	v_xor_b32_e32 v8, 16, v12
	v_xor_b32_e32 v9, 8, v12
	v_cndmask_b32_e32 v0, v12, v6, vcc
	v_lshlrev_b32_e32 v0, 2, v0
	v_cmp_lt_i32_e32 vcc, v8, v14
	v_xor_b32_e32 v10, 4, v12
	v_xor_b32_e32 v11, 2, v12
	;; [unrolled: 1-line block ×3, first 2 shown]
	s_load_dwordx2 s[0:1], s[0:1], 0x38
	s_mul_i32 s2, s3, s14
	s_mul_i32 s4, s4, s18
	s_add_i32 s2, s2, s5
	s_mov_b32 s3, 0
	s_add_i32 s2, s2, s4
	s_lshl_b64 s[2:3], s[2:3], 2
	s_waitcnt lgkmcnt(0)
	s_add_u32 s2, s0, s2
	s_addc_u32 s3, s1, s3
	s_waitcnt vmcnt(0)
	v_pk_add_f32 v[4:5], v[4:5], v[2:3]
	ds_bpermute_b32 v6, v0, v4
	ds_bpermute_b32 v7, v0, v5
	v_cndmask_b32_e32 v2, v12, v8, vcc
	v_lshlrev_b32_e32 v2, 2, v2
	v_cmp_lt_i32_e32 vcc, v9, v14
	s_waitcnt lgkmcnt(0)
	v_pk_add_f32 v[4:5], v[4:5], v[6:7]
	ds_bpermute_b32 v6, v2, v4
	ds_bpermute_b32 v7, v2, v5
	v_cndmask_b32_e32 v3, v12, v9, vcc
	v_lshlrev_b32_e32 v3, 2, v3
	v_cmp_lt_i32_e32 vcc, v10, v14
	s_waitcnt lgkmcnt(0)
	;; [unrolled: 7-line block ×4, first 2 shown]
	v_pk_add_f32 v[8:9], v[6:7], v[8:9]
	ds_bpermute_b32 v10, v5, v8
	ds_bpermute_b32 v11, v5, v9
	v_cndmask_b32_e32 v6, v12, v15, vcc
	v_lshlrev_b32_e32 v6, 2, v6
	v_or_b32_e32 v7, s5, v13
	v_cmp_gt_u32_e32 vcc, 2, v13
	s_waitcnt lgkmcnt(0)
	v_pk_add_f32 v[8:9], v[8:9], v[10:11]
	ds_bpermute_b32 v10, v6, v8
	ds_bpermute_b32 v11, v6, v9
	v_cmp_gt_u32_e64 s[0:1], s10, v7
	s_and_b64 s[0:1], vcc, s[0:1]
	s_waitcnt lgkmcnt(0)
	v_pk_add_f32 v[8:9], v[8:9], v[10:11]
	scratch_store_dwordx2 off, v[8:9], off
	s_and_saveexec_b64 s[4:5], s[0:1]
	s_cbranch_execz .LBB138_31
; %bb.30:
	scratch_load_dword v7, v1, off
	s_waitcnt vmcnt(0)
	global_store_dword v1, v7, s[2:3]
.LBB138_31:
	s_or_b64 exec, exec, s[4:5]
	scratch_load_dwordx2 v[8:9], off, off offset:8
	ds_read2st64_b32 v[10:11], v1 offset0:2 offset1:3
	s_waitcnt vmcnt(0) lgkmcnt(0)
	v_pk_add_f32 v[8:9], v[10:11], v[8:9]
	ds_bpermute_b32 v10, v0, v8
	ds_bpermute_b32 v11, v0, v9
	s_waitcnt lgkmcnt(0)
	v_pk_add_f32 v[8:9], v[8:9], v[10:11]
	ds_bpermute_b32 v10, v2, v8
	ds_bpermute_b32 v11, v2, v9
	s_waitcnt lgkmcnt(0)
	;; [unrolled: 4-line block ×6, first 2 shown]
	v_pk_add_f32 v[8:9], v[8:9], v[10:11]
	scratch_store_dwordx2 off, v[8:9], off offset:8
	s_and_saveexec_b64 s[4:5], s[0:1]
	s_cbranch_execz .LBB138_33
; %bb.32:
	scratch_load_dword v7, v1, off offset:8
	v_add_u32_e32 v8, s10, v13
	v_mov_b32_e32 v9, 0
	v_lshl_add_u64 v[8:9], v[8:9], 2, s[2:3]
	s_waitcnt vmcnt(0)
	global_store_dword v[8:9], v7, off
.LBB138_33:
	s_or_b64 exec, exec, s[4:5]
	scratch_load_dwordx2 v[8:9], off, off offset:16
	ds_read2st64_b32 v[10:11], v1 offset0:4 offset1:5
	s_waitcnt vmcnt(0) lgkmcnt(0)
	v_pk_add_f32 v[8:9], v[10:11], v[8:9]
	ds_bpermute_b32 v10, v0, v8
	ds_bpermute_b32 v11, v0, v9
	s_waitcnt lgkmcnt(0)
	v_pk_add_f32 v[8:9], v[8:9], v[10:11]
	ds_bpermute_b32 v10, v2, v8
	ds_bpermute_b32 v11, v2, v9
	s_waitcnt lgkmcnt(0)
	;; [unrolled: 4-line block ×6, first 2 shown]
	v_pk_add_f32 v[2:3], v[2:3], v[4:5]
	scratch_store_dwordx2 off, v[2:3], off offset:16
	s_and_b64 exec, exec, s[0:1]
	s_cbranch_execz .LBB138_35
; %bb.34:
	scratch_load_dword v2, v1, off offset:16
	v_lshl_or_b32 v0, s10, 1, v13
	v_mov_b32_e32 v1, 0
	v_lshl_add_u64 v[0:1], v[0:1], 2, s[2:3]
	s_waitcnt vmcnt(0)
	global_store_dword v[0:1], v2, off
.LBB138_35:
	s_endpgm
	.section	.rodata,"a",@progbits
	.p2align	6, 0x0
	.amdhsa_kernel _ZL13mul_mat_vec_qIL9ggml_type13ELi3ELb0ELb0EEvPKvS2_PKi31ggml_cuda_mm_fusion_args_devicePfj15HIP_vector_typeIjLj3EEjjjS8_jjjS8_jjjj
		.amdhsa_group_segment_fixed_size 1536
		.amdhsa_private_segment_fixed_size 32
		.amdhsa_kernarg_size 144
		.amdhsa_user_sgpr_count 2
		.amdhsa_user_sgpr_dispatch_ptr 0
		.amdhsa_user_sgpr_queue_ptr 0
		.amdhsa_user_sgpr_kernarg_segment_ptr 1
		.amdhsa_user_sgpr_dispatch_id 0
		.amdhsa_user_sgpr_kernarg_preload_length 0
		.amdhsa_user_sgpr_kernarg_preload_offset 0
		.amdhsa_user_sgpr_private_segment_size 0
		.amdhsa_uses_dynamic_stack 0
		.amdhsa_enable_private_segment 1
		.amdhsa_system_sgpr_workgroup_id_x 1
		.amdhsa_system_sgpr_workgroup_id_y 1
		.amdhsa_system_sgpr_workgroup_id_z 1
		.amdhsa_system_sgpr_workgroup_info 0
		.amdhsa_system_vgpr_workitem_id 1
		.amdhsa_next_free_vgpr 74
		.amdhsa_next_free_sgpr 30
		.amdhsa_accum_offset 76
		.amdhsa_reserve_vcc 1
		.amdhsa_float_round_mode_32 0
		.amdhsa_float_round_mode_16_64 0
		.amdhsa_float_denorm_mode_32 3
		.amdhsa_float_denorm_mode_16_64 3
		.amdhsa_dx10_clamp 1
		.amdhsa_ieee_mode 1
		.amdhsa_fp16_overflow 0
		.amdhsa_tg_split 0
		.amdhsa_exception_fp_ieee_invalid_op 0
		.amdhsa_exception_fp_denorm_src 0
		.amdhsa_exception_fp_ieee_div_zero 0
		.amdhsa_exception_fp_ieee_overflow 0
		.amdhsa_exception_fp_ieee_underflow 0
		.amdhsa_exception_fp_ieee_inexact 0
		.amdhsa_exception_int_div_zero 0
	.end_amdhsa_kernel
	.section	.text._ZL13mul_mat_vec_qIL9ggml_type13ELi3ELb0ELb0EEvPKvS2_PKi31ggml_cuda_mm_fusion_args_devicePfj15HIP_vector_typeIjLj3EEjjjS8_jjjS8_jjjj,"axG",@progbits,_ZL13mul_mat_vec_qIL9ggml_type13ELi3ELb0ELb0EEvPKvS2_PKi31ggml_cuda_mm_fusion_args_devicePfj15HIP_vector_typeIjLj3EEjjjS8_jjjS8_jjjj,comdat
.Lfunc_end138:
	.size	_ZL13mul_mat_vec_qIL9ggml_type13ELi3ELb0ELb0EEvPKvS2_PKi31ggml_cuda_mm_fusion_args_devicePfj15HIP_vector_typeIjLj3EEjjjS8_jjjS8_jjjj, .Lfunc_end138-_ZL13mul_mat_vec_qIL9ggml_type13ELi3ELb0ELb0EEvPKvS2_PKi31ggml_cuda_mm_fusion_args_devicePfj15HIP_vector_typeIjLj3EEjjjS8_jjjS8_jjjj
                                        ; -- End function
	.section	.AMDGPU.csdata,"",@progbits
; Kernel info:
; codeLenInByte = 3788
; NumSgprs: 36
; NumVgprs: 74
; NumAgprs: 0
; TotalNumVgprs: 74
; ScratchSize: 32
; MemoryBound: 0
; FloatMode: 240
; IeeeMode: 1
; LDSByteSize: 1536 bytes/workgroup (compile time only)
; SGPRBlocks: 4
; VGPRBlocks: 9
; NumSGPRsForWavesPerEU: 36
; NumVGPRsForWavesPerEU: 74
; AccumOffset: 76
; Occupancy: 6
; WaveLimiterHint : 0
; COMPUTE_PGM_RSRC2:SCRATCH_EN: 1
; COMPUTE_PGM_RSRC2:USER_SGPR: 2
; COMPUTE_PGM_RSRC2:TRAP_HANDLER: 0
; COMPUTE_PGM_RSRC2:TGID_X_EN: 1
; COMPUTE_PGM_RSRC2:TGID_Y_EN: 1
; COMPUTE_PGM_RSRC2:TGID_Z_EN: 1
; COMPUTE_PGM_RSRC2:TIDIG_COMP_CNT: 1
; COMPUTE_PGM_RSRC3_GFX90A:ACCUM_OFFSET: 18
; COMPUTE_PGM_RSRC3_GFX90A:TG_SPLIT: 0
	.section	.text._ZL13mul_mat_vec_qIL9ggml_type13ELi4ELb0ELb0EEvPKvS2_PKi31ggml_cuda_mm_fusion_args_devicePfj15HIP_vector_typeIjLj3EEjjjS8_jjjS8_jjjj,"axG",@progbits,_ZL13mul_mat_vec_qIL9ggml_type13ELi4ELb0ELb0EEvPKvS2_PKi31ggml_cuda_mm_fusion_args_devicePfj15HIP_vector_typeIjLj3EEjjjS8_jjjS8_jjjj,comdat
	.globl	_ZL13mul_mat_vec_qIL9ggml_type13ELi4ELb0ELb0EEvPKvS2_PKi31ggml_cuda_mm_fusion_args_devicePfj15HIP_vector_typeIjLj3EEjjjS8_jjjS8_jjjj ; -- Begin function _ZL13mul_mat_vec_qIL9ggml_type13ELi4ELb0ELb0EEvPKvS2_PKi31ggml_cuda_mm_fusion_args_devicePfj15HIP_vector_typeIjLj3EEjjjS8_jjjS8_jjjj
	.p2align	8
	.type	_ZL13mul_mat_vec_qIL9ggml_type13ELi4ELb0ELb0EEvPKvS2_PKi31ggml_cuda_mm_fusion_args_devicePfj15HIP_vector_typeIjLj3EEjjjS8_jjjS8_jjjj,@function
_ZL13mul_mat_vec_qIL9ggml_type13ELi4ELb0ELb0EEvPKvS2_PKi31ggml_cuda_mm_fusion_args_devicePfj15HIP_vector_typeIjLj3EEjjjS8_jjjS8_jjjj: ; @_ZL13mul_mat_vec_qIL9ggml_type13ELi4ELb0ELb0EEvPKvS2_PKi31ggml_cuda_mm_fusion_args_devicePfj15HIP_vector_typeIjLj3EEjjjS8_jjjS8_jjjj
; %bb.0:
	s_load_dword s20, s[0:1], 0x40
	s_load_dwordx4 s[8:11], s[0:1], 0x50
	s_load_dword s7, s[0:1], 0x60
	s_load_dwordx4 s[12:15], s[0:1], 0x68
	;; [unrolled: 2-line block ×3, first 2 shown]
	s_lshl_b32 s5, s2, 1
	s_waitcnt lgkmcnt(0)
	s_lshr_b32 s2, s20, 8
	s_mov_b32 s20, 0
	v_bfe_u32 v9, v0, 10, 10
	v_and_b32_e32 v8, 0x3ff, v0
	s_mov_b32 s21, s20
	v_lshl_add_u32 v4, v9, 6, v8
	s_mov_b32 s22, s20
	s_mov_b32 s23, s20
	v_mov_b64_e32 v[0:1], s[20:21]
	v_mov_b64_e32 v[2:3], s[22:23]
	v_lshrrev_b32_e32 v15, 4, v4
	scratch_store_dwordx4 off, v[0:3], off offset:16
	scratch_store_dwordx4 off, v[0:3], off
	v_cmp_gt_u32_e32 vcc, s2, v15
	v_mov_b32_e32 v5, 0
	v_mov_b32_e32 v6, 0
	;; [unrolled: 1-line block ×8, first 2 shown]
	s_and_saveexec_b64 s[24:25], vcc
	s_cbranch_execz .LBB139_32
; %bb.1:
	s_mul_hi_u32 s11, s11, s3
	s_add_i32 s11, s3, s11
	s_lshr_b32 s7, s11, s7
	s_load_dwordx4 s[20:23], s[0:1], 0x0
	s_mul_i32 s11, s7, s12
	s_mul_hi_u32 s7, s15, s4
	s_add_i32 s7, s4, s7
	s_lshr_b32 s6, s7, s6
	s_mul_i32 s15, s6, s16
	s_mul_i32 s6, s4, s17
	s_mul_hi_u32 s7, s6, 36
	s_mul_i32 s6, s6, 36
	s_waitcnt lgkmcnt(0)
	s_add_u32 s6, s22, s6
	s_mul_i32 s12, s3, s13
	s_addc_u32 s7, s23, s7
	s_mul_hi_u32 s13, s12, 36
	s_mul_i32 s12, s12, 36
	v_lshlrev_b32_e32 v0, 1, v8
	s_add_u32 s6, s6, s12
	v_and_b32_e32 v1, 30, v0
	v_bfe_u32 v0, v0, 3, 2
	s_addc_u32 s7, s7, s13
	v_lshlrev_b32_e32 v32, 1, v0
	v_cmp_lt_u32_e32 vcc, 15, v1
	v_mad_u64_u32 v[18:19], s[12:13], v32, 36, s[6:7]
	v_bfe_u32 v1, v8, 2, 2
	v_mul_hi_u32_u24_e32 v3, 0x48, v1
	v_mul_u32_u24_e32 v2, 0x48, v1
	s_movk_i32 s12, 0x120
	v_mad_u64_u32 v[2:3], s[12:13], v15, s12, v[2:3]
	v_lshl_add_u64 v[2:3], s[6:7], 0, v[2:3]
	v_lshl_add_u64 v[20:21], v[2:3], 0, 36
	v_lshlrev_b32_e32 v2, 3, v15
	v_mad_u64_u32 v[22:23], s[6:7], s9, 3, v[2:3]
	s_add_i32 s6, s5, 1
	v_mov_b32_e32 v13, 0
	v_and_b32_e32 v14, 3, v8
	s_mul_i32 s16, s5, s8
	s_add_i32 s15, s15, s11
	s_mul_i32 s6, s8, s6
	v_lshlrev_b32_e32 v10, 5, v0
	v_mov_b32_e32 v11, v13
	v_lshlrev_b32_e32 v16, 2, v14
	v_mov_b32_e32 v17, v13
	s_add_i32 s11, s15, s16
	v_lshl_add_u32 v33, s9, 1, v2
	v_add_u32_e32 v23, s9, v2
	s_add_i32 s15, s15, s6
	s_mov_b64 s[8:9], 0
	s_movk_i32 s16, 0xb0
	v_mov_b64_e32 v[24:25], s[20:21]
	v_lshlrev_b32_e32 v12, 1, v0
	s_mov_b32 s17, 0x5040100
	s_mov_b32 s19, 0x20004
	;; [unrolled: 1-line block ×3, first 2 shown]
	s_movk_i32 s23, 0xf0f
	s_movk_i32 s26, 0x3f3f
	s_mov_b32 s27, 0x30303030
	s_mov_b32 s28, 0x10101010
	;; [unrolled: 1-line block ×3, first 2 shown]
	s_mov_b64 s[12:13], 0x900
	v_mov_b32_e32 v0, v13
	v_mov_b32_e32 v3, v13
	;; [unrolled: 1-line block ×8, first 2 shown]
	s_branch .LBB139_3
.LBB139_2:                              ;   in Loop: Header=BB139_3 Depth=1
	s_or_b64 exec, exec, s[6:7]
	s_waitcnt vmcnt(24)
	v_ashrrev_i32_e32 v56, v32, v56
	v_ashrrev_i32_e32 v55, v32, v55
	v_and_b32_e32 v78, 0xf0f0f0f, v52
	v_lshlrev_b32_e32 v80, 4, v56
	v_and_b32_e32 v77, 0xf0f0f0f, v53
	v_lshlrev_b32_e32 v79, 4, v55
	v_and_or_b32 v78, v80, s28, v78
	v_lshrrev_b32_e32 v53, 4, v53
	v_mov_b32_e32 v80, v13
	v_mov_b32_e32 v29, v13
	v_and_or_b32 v77, v79, s28, v77
	v_and_b32_e32 v53, 0xf0f0f0f, v53
	v_lshrrev_b32_e32 v52, 4, v52
	v_lshlrev_b32_e32 v55, 3, v55
	s_waitcnt vmcnt(4)
	v_dot4c_i32_i8_e32 v80, v78, v62
	v_dot4c_i32_i8_e32 v29, 0x1010101, v62
	v_mov_b32_e32 v67, v13
	v_and_b32_e32 v52, 0xf0f0f0f, v52
	v_lshlrev_b32_e32 v56, 3, v56
	v_and_or_b32 v55, v55, s28, v53
	v_lshrrev_b16_e32 v53, 8, v75
	s_waitcnt vmcnt(1)
	v_dot4c_i32_i8_e32 v80, v77, v63
	v_and_b32_sdwa v75, s29, v75 dst_sel:DWORD dst_unused:UNUSED_PAD src0_sel:DWORD src1_sel:BYTE_0
	v_dot4c_i32_i8_e32 v29, 0x1010101, v63
	v_dot4c_i32_i8_e32 v67, 0x1010101, v31
	v_and_or_b32 v56, v56, s28, v52
	v_lshrrev_b16_e32 v52, 8, v76
	v_mul_lo_u32 v75, v80, v75
	v_and_b32_sdwa v76, s29, v76 dst_sel:DWORD dst_unused:UNUSED_PAD src0_sel:DWORD src1_sel:BYTE_0
	v_mov_b32_e32 v80, v13
	v_dot4c_i32_i8_e32 v67, 0x1010101, v30
	v_mul_lo_u32 v76, v29, v76
	v_dot4c_i32_i8_e32 v80, v56, v31
	v_cvt_f32_i32_e32 v76, v76
	v_dot4c_i32_i8_e32 v80, v55, v30
	v_mul_lo_u32 v52, v67, v52
	v_cvt_f32_i32_e32 v75, v75
	v_cvt_f32_i32_e32 v52, v52
	v_mul_lo_u32 v53, v80, v53
	v_cvt_f32_f16_sdwa v79, v40 dst_sel:DWORD dst_unused:UNUSED_PAD src0_sel:WORD_1
	v_cvt_f32_i32_e32 v53, v53
	v_fma_mix_f32 v76, v81, v76, 0 op_sel_hi:[1,0,0]
	v_fma_mix_f32 v75, v81, v75, 0 op_sel_hi:[1,0,0]
	s_waitcnt vmcnt(0)
	v_fma_mix_f32 v52, v82, v52, v76 op_sel_hi:[1,0,0]
	v_fma_mix_f32 v53, v82, v53, v75 op_sel_hi:[1,0,0]
	v_mul_f32_e32 v52, v52, v79
	v_fma_mix_f32 v52, v53, v40, -v52 op_sel_hi:[0,1,0]
	v_add_f32_e32 v2, v2, v52
	v_ashrrev_i32_e32 v52, v32, v59
	v_cvt_f32_f16_e32 v28, v81
	v_ashrrev_i32_e32 v53, v32, v58
	v_and_b32_e32 v59, 0xf0f0f0f, v54
	v_lshlrev_b32_e32 v81, 4, v52
	v_cvt_f32_f16_e32 v26, v82
	v_and_b32_e32 v58, 0xf0f0f0f, v57
	v_lshlrev_b32_e32 v80, 4, v53
	v_and_or_b32 v59, v81, s28, v59
	v_mov_b32_e32 v82, v13
	v_mov_b32_e32 v75, v13
	v_and_or_b32 v58, v80, s28, v58
	v_lshrrev_b32_e32 v54, 4, v54
	v_dot4c_i32_i8_e32 v82, v59, v69
	v_dot4c_i32_i8_e32 v75, 0x1010101, v69
	v_mov_b32_e32 v76, v13
	v_lshrrev_b32_e32 v57, 4, v57
	v_and_b32_e32 v54, 0xf0f0f0f, v54
	v_lshlrev_b32_e32 v52, 3, v52
	v_lshrrev_b16_e32 v81, 8, v73
	v_dot4c_i32_i8_e32 v82, v58, v70
	v_and_b32_sdwa v73, s29, v73 dst_sel:DWORD dst_unused:UNUSED_PAD src0_sel:DWORD src1_sel:BYTE_0
	v_dot4c_i32_i8_e32 v75, 0x1010101, v70
	v_dot4c_i32_i8_e32 v76, 0x1010101, v68
	v_and_b32_e32 v57, 0xf0f0f0f, v57
	v_lshlrev_b32_e32 v53, 3, v53
	v_and_or_b32 v54, v52, s28, v54
	v_lshrrev_b16_e32 v80, 8, v74
	v_mul_lo_u32 v73, v82, v73
	v_and_b32_sdwa v74, s29, v74 dst_sel:DWORD dst_unused:UNUSED_PAD src0_sel:DWORD src1_sel:BYTE_0
	v_mov_b32_e32 v82, v13
	v_dot4c_i32_i8_e32 v76, 0x1010101, v66
	v_and_or_b32 v57, v53, s28, v57
	v_mul_lo_u32 v74, v75, v74
	v_dot4c_i32_i8_e32 v82, v54, v68
	v_cvt_f32_i32_e32 v74, v74
	v_dot4c_i32_i8_e32 v82, v57, v66
	v_mul_lo_u32 v80, v76, v80
	v_cvt_f32_i32_e32 v73, v73
	v_cvt_f32_i32_e32 v80, v80
	v_mul_lo_u32 v81, v82, v81
	v_cvt_f32_f16_sdwa v53, v43 dst_sel:DWORD dst_unused:UNUSED_PAD src0_sel:WORD_1
	v_cvt_f32_i32_e32 v81, v81
	v_fma_mix_f32 v74, v64, v74, 0 op_sel_hi:[1,0,0]
	v_fma_mix_f32 v73, v64, v73, 0 op_sel_hi:[1,0,0]
	;; [unrolled: 1-line block ×4, first 2 shown]
	v_mul_f32_e32 v74, v74, v53
	v_mov_b32_e32 v80, v13
	v_fma_mix_f32 v73, v73, v43, -v74 op_sel_hi:[0,1,0]
	v_dot4c_i32_i8_e32 v80, v78, v69
	v_add_f32_e32 v1, v1, v73
	v_lshrrev_b16_e32 v73, 8, v71
	v_dot4c_i32_i8_e32 v80, v77, v70
	v_and_b32_sdwa v69, s29, v72 dst_sel:DWORD dst_unused:UNUSED_PAD src0_sel:DWORD src1_sel:BYTE_0
	v_and_b32_sdwa v70, s29, v71 dst_sel:DWORD dst_unused:UNUSED_PAD src0_sel:DWORD src1_sel:BYTE_0
	v_mov_b32_e32 v71, v13
	v_mul_lo_u32 v69, v80, v69
	v_mul_lo_u32 v70, v75, v70
	v_dot4c_i32_i8_e32 v71, v56, v68
	v_lshrrev_b16_e32 v74, 8, v72
	v_cvt_f32_i32_e32 v69, v69
	v_cvt_f32_i32_e32 v70, v70
	v_dot4c_i32_i8_e32 v71, v55, v66
	v_mul_lo_u32 v68, v76, v73
	v_cvt_f32_i32_e32 v68, v68
	v_fma_mix_f32 v69, v64, v69, 0 op_sel_hi:[1,0,0]
	v_mul_lo_u32 v66, v71, v74
	v_cvt_f32_i32_e32 v66, v66
	v_fma_mix_f32 v64, v64, v70, 0 op_sel_hi:[1,0,0]
	v_cvt_f32_f16_e32 v52, v43
	v_fma_mix_f32 v64, v65, v68, v64 op_sel_hi:[1,0,0]
	v_fma_mix_f32 v66, v65, v66, v69 op_sel_hi:[1,0,0]
	v_mul_f32_e32 v64, v64, v79
	v_fma_mix_f32 v64, v66, v40, -v64 op_sel_hi:[0,1,0]
	v_mov_b32_e32 v69, v13
	v_add_f32_e32 v0, v0, v64
	v_mov_b32_e32 v64, v13
	v_dot4c_i32_i8_e32 v69, v59, v48
	v_dot4c_i32_i8_e32 v64, 0x1010101, v48
	v_mov_b32_e32 v65, v13
	v_lshrrev_b16_e32 v68, 8, v61
	v_dot4c_i32_i8_e32 v69, v58, v49
	v_and_b32_sdwa v61, s29, v61 dst_sel:DWORD dst_unused:UNUSED_PAD src0_sel:DWORD src1_sel:BYTE_0
	v_dot4c_i32_i8_e32 v64, 0x1010101, v49
	v_dot4c_i32_i8_e32 v65, 0x1010101, v47
	v_lshrrev_b16_e32 v66, 8, v60
	v_mul_lo_u32 v61, v69, v61
	v_and_b32_sdwa v60, s29, v60 dst_sel:DWORD dst_unused:UNUSED_PAD src0_sel:DWORD src1_sel:BYTE_0
	v_mov_b32_e32 v69, v13
	v_dot4c_i32_i8_e32 v65, 0x1010101, v46
	v_mul_lo_u32 v60, v64, v60
	v_dot4c_i32_i8_e32 v69, v54, v47
	v_cvt_f32_i32_e32 v60, v60
	v_dot4c_i32_i8_e32 v69, v57, v46
	v_mul_lo_u32 v66, v65, v66
	v_cvt_f32_i32_e32 v61, v61
	v_cvt_f32_i32_e32 v66, v66
	v_mul_lo_u32 v68, v69, v68
	v_cvt_f32_i32_e32 v68, v68
	v_fma_mix_f32 v60, v44, v60, 0 op_sel_hi:[1,0,0]
	v_fma_mix_f32 v61, v44, v61, 0 op_sel_hi:[1,0,0]
	;; [unrolled: 1-line block ×4, first 2 shown]
	v_mul_f32_e32 v60, v60, v53
	v_mov_b32_e32 v66, v13
	v_fma_mix_f32 v60, v61, v43, -v60 op_sel_hi:[0,1,0]
	v_dot4c_i32_i8_e32 v66, v78, v48
	v_add_f32_e32 v7, v7, v60
	v_lshrrev_b16_e32 v60, 8, v50
	v_dot4c_i32_i8_e32 v66, v77, v49
	v_and_b32_sdwa v48, s29, v51 dst_sel:DWORD dst_unused:UNUSED_PAD src0_sel:DWORD src1_sel:BYTE_0
	v_and_b32_sdwa v49, s29, v50 dst_sel:DWORD dst_unused:UNUSED_PAD src0_sel:DWORD src1_sel:BYTE_0
	v_mov_b32_e32 v50, v13
	v_mul_lo_u32 v48, v66, v48
	v_mul_lo_u32 v49, v64, v49
	v_dot4c_i32_i8_e32 v50, v56, v47
	v_lshrrev_b16_e32 v61, 8, v51
	v_cvt_f32_i32_e32 v48, v48
	v_cvt_f32_i32_e32 v49, v49
	v_dot4c_i32_i8_e32 v50, v55, v46
	v_mul_lo_u32 v47, v65, v60
	v_cvt_f32_i32_e32 v47, v47
	v_fma_mix_f32 v48, v44, v48, 0 op_sel_hi:[1,0,0]
	v_mul_lo_u32 v46, v50, v61
	v_cvt_f32_i32_e32 v46, v46
	v_fma_mix_f32 v44, v44, v49, 0 op_sel_hi:[1,0,0]
	v_bfe_u32 v49, v42, 16, 8
	v_fma_mix_f32 v44, v45, v47, v44 op_sel_hi:[1,0,0]
	v_fma_mix_f32 v46, v45, v46, v48 op_sel_hi:[1,0,0]
	v_mul_f32_e32 v44, v44, v79
	v_fma_mix_f32 v44, v46, v40, -v44 op_sel_hi:[0,1,0]
	v_mov_b32_e32 v48, v13
	v_add_f32_e32 v6, v6, v44
	v_mov_b32_e32 v44, v13
	v_dot4c_i32_i8_e32 v48, v59, v39
	v_dot4c_i32_i8_e32 v44, 0x1010101, v39
	v_mov_b32_e32 v45, v13
	v_dot4c_i32_i8_e32 v48, v58, v38
	v_dot4c_i32_i8_e32 v44, 0x1010101, v38
	;; [unrolled: 1-line block ×3, first 2 shown]
	v_lshrrev_b16_e32 v46, 8, v42
	v_lshrrev_b32_e32 v47, 24, v42
	v_mul_lo_u32 v48, v48, v49
	v_and_b32_e32 v42, 0xff, v42
	v_mov_b32_e32 v49, v13
	v_dot4c_i32_i8_e32 v45, 0x1010101, v36
	v_mul_lo_u32 v42, v44, v42
	v_dot4c_i32_i8_e32 v49, v54, v37
	v_cvt_f32_i32_e32 v42, v42
	v_dot4c_i32_i8_e32 v49, v57, v36
	v_mul_lo_u32 v46, v45, v46
	v_cvt_f32_i32_e32 v48, v48
	v_cvt_f32_i32_e32 v46, v46
	v_mul_lo_u32 v47, v49, v47
	v_cvt_f32_i32_e32 v47, v47
	v_fma_mix_f32 v42, v34, v42, 0 op_sel_hi:[1,0,0]
	v_fma_mix_f32 v48, v34, v48, 0 op_sel_hi:[1,0,0]
	;; [unrolled: 1-line block ×4, first 2 shown]
	v_mul_f32_e32 v42, v42, v53
	v_mov_b32_e32 v46, v13
	v_fma_mix_f32 v42, v47, v43, -v42 op_sel_hi:[0,1,0]
	v_dot4c_i32_i8_e32 v46, v78, v39
	v_add_f32_e32 v5, v5, v42
	v_lshrrev_b16_e32 v42, 8, v41
	v_lshrrev_b32_e32 v43, 24, v41
	v_dot4c_i32_i8_e32 v46, v77, v38
	v_bfe_u32 v38, v41, 16, 8
	v_and_b32_e32 v39, 0xff, v41
	v_mov_b32_e32 v41, v13
	v_dot4c_i32_i8_e32 v41, v56, v37
	v_mul_lo_u32 v38, v46, v38
	v_mul_lo_u32 v39, v44, v39
	v_dot4c_i32_i8_e32 v41, v55, v36
	v_cvt_f32_i32_e32 v38, v38
	v_cvt_f32_i32_e32 v39, v39
	v_mul_lo_u32 v37, v45, v42
	v_mul_lo_u32 v36, v41, v43
	v_cvt_f32_i32_e32 v36, v36
	v_cvt_f32_i32_e32 v37, v37
	v_fma_mix_f32 v38, v34, v38, 0 op_sel_hi:[1,0,0]
	v_fma_mix_f32 v34, v34, v39, 0 op_sel_hi:[1,0,0]
	;; [unrolled: 1-line block ×4, first 2 shown]
	v_mov_b32_e32 v35, v13
	v_mov_b32_e32 v38, v13
	v_mul_f32_e32 v37, v34, v79
	v_pk_lshrrev_b16 v34, 8, v27 op_sel_hi:[0,1]
	v_dot4c_i32_i8_e32 v35, v59, v62
	v_and_b32_e32 v27, 0xff00ff, v27
	v_dot4c_i32_i8_e32 v38, v54, v31
	v_dot4c_i32_i8_e32 v35, v58, v63
	;; [unrolled: 1-line block ×3, first 2 shown]
	v_lshrrev_b32_e32 v30, 16, v27
	v_and_b32_e32 v27, 0xff, v27
	v_lshrrev_b32_e32 v39, 16, v34
	v_and_b32_e32 v34, 0xff, v34
	v_mul_lo_u32 v27, v35, v27
	v_mul_lo_u32 v29, v29, v30
	v_cvt_f32_i32_e32 v30, v27
	v_cvt_f32_i32_e32 v31, v29
	v_mul_lo_u32 v27, v38, v34
	v_mul_lo_u32 v29, v67, v39
	v_cvt_f32_i32_e32 v34, v27
	v_cvt_f32_i32_e32 v35, v29
	v_fma_mix_f32 v27, v36, v40, -v37 op_sel_hi:[0,1,0]
	v_pk_fma_f32 v[28:29], v[28:29], v[30:31], 0 op_sel_hi:[0,1,0]
	v_add_f32_e32 v4, v4, v27
	v_pk_fma_f32 v[26:27], v[26:27], v[34:35], v[28:29] op_sel_hi:[0,1,1]
	v_pk_mul_f32 v[26:27], v[26:27], v[52:53]
	v_add_u32_e32 v15, 8, v15
	v_sub_f32_e32 v26, v26, v27
	v_cmp_le_u32_e64 s[6:7], s2, v15
	v_add_f32_e32 v3, v3, v26
	v_lshl_add_u64 v[20:21], v[20:21], 0, s[12:13]
	v_add_u32_e32 v33, 64, v33
	v_add_u32_e32 v22, 64, v22
	s_or_b64 s[8:9], s[6:7], s[8:9]
	v_add_u32_e32 v23, 64, v23
	s_andn2_b64 exec, exec, s[8:9]
	s_cbranch_execz .LBB139_31
.LBB139_3:                              ; =>This Inner Loop Header: Depth=1
	v_lshl_add_u64 v[26:27], v[20:21], 0, v[16:17]
	global_load_dword v34, v[20:21], off offset:-36
	global_load_dword v35, v[20:21], off
	global_load_dword v38, v[26:27], off offset:-32
	global_load_dword v39, v[26:27], off offset:-16
	global_load_dword v36, v[26:27], off offset:4
	global_load_dword v37, v[26:27], off offset:20
	v_add_u32_e32 v26, s11, v15
	v_mad_i64_i32 v[28:29], s[6:7], v26, s16, v[24:25]
	v_lshl_add_u64 v[26:27], v[28:29], 0, v[16:17]
	v_lshl_add_u64 v[30:31], v[26:27], 0, v[10:11]
	global_load_dword v52, v[30:31], off offset:64
	global_load_dword v55, v[26:27], off offset:16
	;; [unrolled: 1-line block ×4, first 2 shown]
	v_lshl_add_u64 v[26:27], v[28:29], 0, v[12:13]
                                        ; implicit-def: $vgpr41
                                        ; implicit-def: $vgpr62
                                        ; implicit-def: $vgpr63
	s_and_saveexec_b64 s[6:7], vcc
	s_xor_b64 s[6:7], exec, s[6:7]
	s_cbranch_execz .LBB139_5
; %bb.4:                                ;   in Loop: Header=BB139_3 Depth=1
	global_load_ushort v62, v[26:27], off offset:8
	global_load_ushort v63, v[26:27], off offset:4
	global_load_ushort v30, v[26:27], off
	s_waitcnt vmcnt(1)
	v_lshrrev_b16_e32 v31, 2, v63
	s_waitcnt vmcnt(0)
	v_perm_b32 v30, v30, v62, s17
	v_perm_b32 v31, v62, v31, s17
	v_pk_lshrrev_b16 v30, s19, v30
	v_and_b32_e32 v31, 0xf0f3030, v31
	v_and_or_b32 v41, v30, s22, v31
.LBB139_5:                              ;   in Loop: Header=BB139_3 Depth=1
	s_andn2_saveexec_b64 s[6:7], s[6:7]
	s_cbranch_execz .LBB139_7
; %bb.6:                                ;   in Loop: Header=BB139_3 Depth=1
	global_load_ushort v63, v[26:27], off offset:4
	global_load_ushort v62, v[26:27], off offset:8
	s_waitcnt vmcnt(0)
	v_perm_b32 v30, v63, v62, s17
	v_and_b32_e32 v41, 0x3f3f3f3f, v30
.LBB139_7:                              ;   in Loop: Header=BB139_3 Depth=1
	s_or_b64 exec, exec, s[6:7]
	v_add_u32_e32 v40, s15, v15
	v_mov_b64_e32 v[30:31], s[20:21]
	v_mad_i64_i32 v[30:31], s[6:7], v40, s16, v[30:31]
	v_lshl_add_u64 v[42:43], v[30:31], 0, v[16:17]
	v_lshl_add_u64 v[44:45], v[42:43], 0, v[10:11]
	global_load_dword v54, v[44:45], off offset:64
	global_load_dword v40, v[28:29], off
	global_load_dword v58, v[42:43], off offset:16
	global_load_dword v57, v[44:45], off offset:48
	;; [unrolled: 1-line block ×3, first 2 shown]
	v_lshl_add_u64 v[28:29], v[30:31], 0, v[12:13]
                                        ; implicit-def: $vgpr67
                                        ; implicit-def: $vgpr42
	s_and_saveexec_b64 s[6:7], vcc
	s_xor_b64 s[6:7], exec, s[6:7]
	s_cbranch_execz .LBB139_9
; %bb.8:                                ;   in Loop: Header=BB139_3 Depth=1
	global_load_ushort v43, v[28:29], off offset:8
	global_load_ushort v44, v[28:29], off offset:4
	global_load_ushort v42, v[28:29], off
	s_waitcnt vmcnt(1)
	v_lshrrev_b16_e32 v45, 2, v44
	s_waitcnt vmcnt(0)
	v_perm_b32 v42, v42, v43, s17
	v_perm_b32 v45, v43, v45, s17
	v_pk_lshrrev_b16 v42, s19, v42
	v_and_b32_e32 v45, 0xf0f3030, v45
	v_and_or_b32 v42, v42, s22, v45
	v_perm_b32 v67, v43, v44, s17
.LBB139_9:                              ;   in Loop: Header=BB139_3 Depth=1
	s_andn2_saveexec_b64 s[6:7], s[6:7]
	s_cbranch_execz .LBB139_11
; %bb.10:                               ;   in Loop: Header=BB139_3 Depth=1
	global_load_ushort v43, v[28:29], off offset:4
	global_load_ushort v44, v[28:29], off offset:8
	s_waitcnt vmcnt(0)
	v_perm_b32 v42, v43, v44, s17
	v_and_b32_e32 v42, 0x3f3f3f3f, v42
	v_perm_b32 v67, v44, v43, s17
.LBB139_11:                             ;   in Loop: Header=BB139_3 Depth=1
	s_or_b64 exec, exec, s[6:7]
	global_load_dword v43, v[30:31], off
	v_mad_u64_u32 v[50:51], s[6:7], v23, 36, v[18:19]
	v_lshlrev_b32_e32 v30, 2, v14
	v_mov_b32_e32 v31, v13
	v_lshl_add_u64 v[60:61], v[50:51], 0, v[30:31]
	global_load_dword v44, v[50:51], off
	global_load_dword v48, v[60:61], off offset:20
	global_load_dword v46, v[60:61], off offset:40
	;; [unrolled: 1-line block ×5, first 2 shown]
	v_lshrrev_b16_e32 v31, 4, v62
	v_lshrrev_b16_e32 v50, 2, v63
	v_and_b32_e32 v77, 0xf0f, v62
	v_and_b32_e32 v78, 0xf0f, v31
	;; [unrolled: 1-line block ×3, first 2 shown]
                                        ; implicit-def: $vgpr51
                                        ; implicit-def: $vgpr50
	s_and_saveexec_b64 s[6:7], vcc
	s_xor_b64 s[6:7], exec, s[6:7]
	s_cbranch_execz .LBB139_13
; %bb.12:                               ;   in Loop: Header=BB139_3 Depth=1
	global_load_ushort v31, v[26:27], off
	v_or_b32_e32 v50, v79, v78
	s_waitcnt vmcnt(0)
	v_lshrrev_b16_e32 v31, 2, v31
	v_and_b32_e32 v31, 0x3030, v31
	v_or_b32_e32 v51, v31, v77
.LBB139_13:                             ;   in Loop: Header=BB139_3 Depth=1
	s_or_saveexec_b64 s[6:7], s[6:7]
	v_and_b32_e32 v75, 0x3f3f, v63
	v_and_b32_e32 v76, 0x3f3f, v62
	s_xor_b64 exec, exec, s[6:7]
; %bb.14:                               ;   in Loop: Header=BB139_3 Depth=1
	v_and_b32_e32 v51, 0x3f3f, v63
	v_and_b32_e32 v50, 0x3f3f, v62
; %bb.15:                               ;   in Loop: Header=BB139_3 Depth=1
	s_or_b64 exec, exec, s[6:7]
	v_lshrrev_b32_e32 v80, 20, v67
	v_and_b32_sdwa v81, v67, s23 dst_sel:DWORD dst_unused:UNUSED_PAD src0_sel:WORD_1 src1_sel:DWORD
	v_and_b32_e32 v82, 0xf0f, v80
	v_lshrrev_b16_e32 v83, 2, v67
                                        ; implicit-def: $vgpr61
                                        ; implicit-def: $vgpr60
	s_and_saveexec_b64 s[6:7], vcc
	s_xor_b64 s[6:7], exec, s[6:7]
	s_cbranch_execz .LBB139_17
; %bb.16:                               ;   in Loop: Header=BB139_3 Depth=1
	global_load_ushort v31, v[28:29], off
	v_and_b32_e32 v60, 0x3030, v83
	v_or_b32_e32 v60, v60, v82
	s_waitcnt vmcnt(0)
	v_lshrrev_b16_e32 v31, 2, v31
	v_and_b32_e32 v31, 0x3030, v31
	v_or_b32_e32 v61, v31, v81
.LBB139_17:                             ;   in Loop: Header=BB139_3 Depth=1
	s_or_saveexec_b64 s[6:7], s[6:7]
	v_and_b32_e32 v73, 0x3f3f, v67
	v_and_b32_sdwa v74, v67, s26 dst_sel:DWORD dst_unused:UNUSED_PAD src0_sel:WORD_1 src1_sel:DWORD
	s_xor_b64 exec, exec, s[6:7]
; %bb.18:                               ;   in Loop: Header=BB139_3 Depth=1
	v_and_b32_e32 v61, 0x3f3f, v67
	v_and_b32_sdwa v60, v67, s26 dst_sel:DWORD dst_unused:UNUSED_PAD src0_sel:WORD_1 src1_sel:DWORD
; %bb.19:                               ;   in Loop: Header=BB139_3 Depth=1
	s_or_b64 exec, exec, s[6:7]
	v_mad_u64_u32 v[84:85], s[6:7], v33, 36, v[18:19]
	v_mov_b32_e32 v31, v13
	v_lshl_add_u64 v[86:87], v[84:85], 0, v[30:31]
	global_load_dword v64, v[84:85], off
	global_load_dword v69, v[86:87], off offset:20
	global_load_dword v66, v[86:87], off offset:40
	;; [unrolled: 1-line block ×5, first 2 shown]
                                        ; implicit-def: $vgpr72
                                        ; implicit-def: $vgpr71
	s_and_saveexec_b64 s[6:7], vcc
	s_xor_b64 s[6:7], exec, s[6:7]
	s_cbranch_execnz .LBB139_29
; %bb.20:                               ;   in Loop: Header=BB139_3 Depth=1
	s_andn2_saveexec_b64 s[6:7], s[6:7]
	s_cbranch_execnz .LBB139_30
.LBB139_21:                             ;   in Loop: Header=BB139_3 Depth=1
	s_or_b64 exec, exec, s[6:7]
	s_and_saveexec_b64 s[6:7], vcc
	s_xor_b64 s[6:7], exec, s[6:7]
	s_cbranch_execz .LBB139_23
.LBB139_22:                             ;   in Loop: Header=BB139_3 Depth=1
	global_load_ushort v31, v[28:29], off
	v_and_b32_e32 v62, 0x3030, v83
	v_or_b32_e32 v74, v62, v82
	s_waitcnt vmcnt(0)
	v_lshrrev_b16_e32 v31, 2, v31
	v_and_b32_e32 v31, 0x3030, v31
	v_or_b32_e32 v73, v31, v81
.LBB139_23:                             ;   in Loop: Header=BB139_3 Depth=1
	s_andn2_saveexec_b64 s[6:7], s[6:7]
	s_or_b64 exec, exec, s[6:7]
	v_mad_u64_u32 v[84:85], s[6:7], v22, 36, v[18:19]
	v_mov_b32_e32 v31, v13
	v_lshl_add_u64 v[86:87], v[84:85], 0, v[30:31]
	global_load_dword v81, v[84:85], off
	global_load_dword v62, v[86:87], off offset:20
	global_load_dword v30, v[86:87], off offset:40
	global_load_dword v31, v[86:87], off offset:56
	global_load_dword v63, v[86:87], off offset:4
	global_load_dword v82, v[84:85], off offset:36
	s_and_saveexec_b64 s[6:7], vcc
	s_xor_b64 s[6:7], exec, s[6:7]
	s_cbranch_execz .LBB139_25
; %bb.24:                               ;   in Loop: Header=BB139_3 Depth=1
	global_load_ushort v26, v[26:27], off
	v_or_b32_e32 v76, v79, v78
	s_waitcnt vmcnt(0)
	v_lshrrev_b16_e32 v26, 2, v26
	v_and_b32_e32 v26, 0x3030, v26
	v_or_b32_e32 v75, v26, v77
.LBB139_25:                             ;   in Loop: Header=BB139_3 Depth=1
	s_andn2_saveexec_b64 s[6:7], s[6:7]
	s_or_b64 exec, exec, s[6:7]
                                        ; implicit-def: $vgpr27
	s_and_saveexec_b64 s[6:7], vcc
	s_xor_b64 s[6:7], exec, s[6:7]
	s_cbranch_execz .LBB139_27
; %bb.26:                               ;   in Loop: Header=BB139_3 Depth=1
	global_load_ushort v26, v[28:29], off
	v_alignbit_b32 v27, v80, v67, 16
	v_and_b32_e32 v27, 0xf0f0f0f, v27
	s_waitcnt vmcnt(0)
	v_perm_b32 v26, v67, v26, s17
	v_pk_lshrrev_b16 v26, 2, v26 op_sel_hi:[0,1]
	v_and_or_b32 v27, v26, s27, v27
                                        ; implicit-def: $vgpr67
.LBB139_27:                             ;   in Loop: Header=BB139_3 Depth=1
	s_andn2_saveexec_b64 s[6:7], s[6:7]
	s_cbranch_execz .LBB139_2
; %bb.28:                               ;   in Loop: Header=BB139_3 Depth=1
	v_and_b32_e32 v27, 0x3f3f3f3f, v67
	s_branch .LBB139_2
.LBB139_29:                             ;   in Loop: Header=BB139_3 Depth=1
	global_load_ushort v31, v[26:27], off
	v_or_b32_e32 v71, v79, v78
                                        ; implicit-def: $vgpr63
                                        ; implicit-def: $vgpr62
	s_waitcnt vmcnt(0)
	v_lshrrev_b16_e32 v31, 2, v31
	v_and_b32_e32 v31, 0x3030, v31
	v_or_b32_e32 v72, v31, v77
	s_andn2_saveexec_b64 s[6:7], s[6:7]
	s_cbranch_execz .LBB139_21
.LBB139_30:                             ;   in Loop: Header=BB139_3 Depth=1
	v_and_b32_e32 v72, 0x3f3f, v63
	v_and_b32_e32 v71, 0x3f3f, v62
	s_or_b64 exec, exec, s[6:7]
	s_and_saveexec_b64 s[6:7], vcc
	s_xor_b64 s[6:7], exec, s[6:7]
	s_cbranch_execnz .LBB139_22
	s_branch .LBB139_23
.LBB139_31:
	s_or_b64 exec, exec, s[8:9]
	scratch_store_dwordx4 off, v[4:7], off
	scratch_store_dwordx4 off, v[0:3], off offset:16
.LBB139_32:
	s_or_b64 exec, exec, s[24:25]
	v_cmp_eq_u32_e32 vcc, 0, v9
	v_cmp_ne_u32_e64 s[6:7], 0, v9
	v_lshlrev_b32_e32 v10, 2, v8
	s_and_saveexec_b64 s[8:9], s[6:7]
	s_cbranch_execz .LBB139_34
; %bb.33:
	v_lshlrev_b32_e32 v9, 11, v9
	s_movk_i32 s2, 0xf800
	v_add3_u32 v9, v9, v10, s2
	ds_write2st64_b32 v9, v4, v5 offset1:1
	ds_write2st64_b32 v9, v6, v7 offset0:2 offset1:3
	ds_write2st64_b32 v9, v0, v1 offset0:4 offset1:5
	;; [unrolled: 1-line block ×3, first 2 shown]
.LBB139_34:
	s_or_b64 exec, exec, s[8:9]
	s_waitcnt lgkmcnt(0)
	s_barrier
	s_and_saveexec_b64 s[6:7], vcc
	s_cbranch_execz .LBB139_43
; %bb.35:
	scratch_load_dwordx2 v[2:3], off, off
	v_mbcnt_lo_u32_b32 v0, -1, 0
	ds_read2st64_b32 v[4:5], v10 offset1:1
	v_mbcnt_hi_u32_b32 v9, -1, v0
	v_and_b32_e32 v0, 64, v9
	v_xor_b32_e32 v1, 32, v9
	v_add_u32_e32 v14, 64, v0
	v_cmp_lt_i32_e32 vcc, v1, v14
	v_xor_b32_e32 v6, 16, v9
	v_xor_b32_e32 v11, 8, v9
	v_cndmask_b32_e32 v0, v9, v1, vcc
	v_lshlrev_b32_e32 v0, 2, v0
	v_cmp_lt_i32_e32 vcc, v6, v14
	v_xor_b32_e32 v12, 4, v9
	v_xor_b32_e32 v15, 2, v9
	v_cndmask_b32_e32 v1, v9, v6, vcc
	v_lshlrev_b32_e32 v1, 2, v1
	v_cmp_lt_i32_e32 vcc, v11, v14
	s_load_dwordx2 s[0:1], s[0:1], 0x38
	s_mul_i32 s2, s3, s14
	s_mul_i32 s4, s4, s18
	s_add_i32 s2, s2, s5
	s_mov_b32 s3, 0
	s_add_i32 s2, s2, s4
	s_lshl_b64 s[2:3], s[2:3], 2
	s_waitcnt lgkmcnt(0)
	s_add_u32 s2, s0, s2
	s_addc_u32 s3, s1, s3
	s_waitcnt vmcnt(0)
	v_pk_add_f32 v[2:3], v[4:5], v[2:3]
	ds_bpermute_b32 v4, v0, v2
	ds_bpermute_b32 v5, v0, v3
	s_waitcnt lgkmcnt(0)
	v_pk_add_f32 v[4:5], v[2:3], v[4:5]
	ds_bpermute_b32 v6, v1, v4
	ds_bpermute_b32 v7, v1, v5
	v_cndmask_b32_e32 v2, v9, v11, vcc
	v_lshlrev_b32_e32 v2, 2, v2
	v_cmp_lt_i32_e32 vcc, v12, v14
	v_xor_b32_e32 v11, 1, v9
	s_waitcnt lgkmcnt(0)
	v_pk_add_f32 v[4:5], v[4:5], v[6:7]
	ds_bpermute_b32 v6, v2, v4
	ds_bpermute_b32 v7, v2, v5
	v_cndmask_b32_e32 v3, v9, v12, vcc
	v_lshlrev_b32_e32 v3, 2, v3
	v_cmp_lt_i32_e32 vcc, v15, v14
	s_waitcnt lgkmcnt(0)
	v_pk_add_f32 v[6:7], v[4:5], v[6:7]
	ds_bpermute_b32 v12, v3, v6
	ds_bpermute_b32 v13, v3, v7
	v_cndmask_b32_e32 v4, v9, v15, vcc
	v_lshlrev_b32_e32 v4, 2, v4
	v_cmp_lt_i32_e32 vcc, v11, v14
	s_waitcnt lgkmcnt(0)
	v_pk_add_f32 v[6:7], v[6:7], v[12:13]
	ds_bpermute_b32 v12, v4, v6
	ds_bpermute_b32 v13, v4, v7
	v_cndmask_b32_e32 v5, v9, v11, vcc
	v_lshlrev_b32_e32 v5, 2, v5
	v_or_b32_e32 v9, s5, v8
	v_cmp_gt_u32_e32 vcc, 2, v8
	s_waitcnt lgkmcnt(0)
	v_pk_add_f32 v[6:7], v[6:7], v[12:13]
	ds_bpermute_b32 v12, v5, v6
	ds_bpermute_b32 v13, v5, v7
	v_cmp_gt_u32_e64 s[0:1], s10, v9
	s_and_b64 s[0:1], vcc, s[0:1]
	s_waitcnt lgkmcnt(0)
	v_pk_add_f32 v[6:7], v[6:7], v[12:13]
	scratch_store_dwordx2 off, v[6:7], off
	s_and_saveexec_b64 s[4:5], s[0:1]
	s_cbranch_execz .LBB139_37
; %bb.36:
	scratch_load_dword v6, v10, off
	s_waitcnt vmcnt(0)
	global_store_dword v10, v6, s[2:3]
.LBB139_37:
	s_or_b64 exec, exec, s[4:5]
	scratch_load_dwordx2 v[6:7], off, off offset:8
	ds_read2st64_b32 v[12:13], v10 offset0:2 offset1:3
	s_waitcnt vmcnt(0) lgkmcnt(0)
	v_pk_add_f32 v[6:7], v[12:13], v[6:7]
	ds_bpermute_b32 v12, v0, v6
	ds_bpermute_b32 v13, v0, v7
	s_waitcnt lgkmcnt(0)
	v_pk_add_f32 v[6:7], v[6:7], v[12:13]
	ds_bpermute_b32 v12, v1, v6
	ds_bpermute_b32 v13, v1, v7
	s_waitcnt lgkmcnt(0)
	v_pk_add_f32 v[6:7], v[6:7], v[12:13]
	ds_bpermute_b32 v12, v2, v6
	ds_bpermute_b32 v13, v2, v7
	s_waitcnt lgkmcnt(0)
	v_pk_add_f32 v[6:7], v[6:7], v[12:13]
	ds_bpermute_b32 v12, v3, v6
	ds_bpermute_b32 v13, v3, v7
	s_waitcnt lgkmcnt(0)
	v_pk_add_f32 v[6:7], v[6:7], v[12:13]
	ds_bpermute_b32 v12, v4, v6
	ds_bpermute_b32 v13, v4, v7
	s_waitcnt lgkmcnt(0)
	v_pk_add_f32 v[6:7], v[6:7], v[12:13]
	ds_bpermute_b32 v12, v5, v6
	ds_bpermute_b32 v13, v5, v7
	s_waitcnt lgkmcnt(0)
	v_pk_add_f32 v[6:7], v[6:7], v[12:13]
	scratch_store_dwordx2 off, v[6:7], off offset:8
	s_and_saveexec_b64 s[4:5], s[0:1]
	s_cbranch_execz .LBB139_39
; %bb.38:
	scratch_load_dword v9, v10, off offset:8
	v_add_u32_e32 v6, s10, v8
	v_mov_b32_e32 v7, 0
	v_lshl_add_u64 v[6:7], v[6:7], 2, s[2:3]
	s_waitcnt vmcnt(0)
	global_store_dword v[6:7], v9, off
.LBB139_39:
	s_or_b64 exec, exec, s[4:5]
	scratch_load_dwordx2 v[6:7], off, off offset:16
	ds_read2st64_b32 v[12:13], v10 offset0:4 offset1:5
	s_waitcnt vmcnt(0) lgkmcnt(0)
	v_pk_add_f32 v[6:7], v[12:13], v[6:7]
	ds_bpermute_b32 v12, v0, v6
	ds_bpermute_b32 v13, v0, v7
	s_waitcnt lgkmcnt(0)
	v_pk_add_f32 v[6:7], v[6:7], v[12:13]
	ds_bpermute_b32 v12, v1, v6
	ds_bpermute_b32 v13, v1, v7
	s_waitcnt lgkmcnt(0)
	;; [unrolled: 4-line block ×6, first 2 shown]
	v_pk_add_f32 v[6:7], v[6:7], v[12:13]
	scratch_store_dwordx2 off, v[6:7], off offset:16
	s_and_saveexec_b64 s[4:5], s[0:1]
	s_cbranch_execz .LBB139_41
; %bb.40:
	scratch_load_dword v9, v10, off offset:16
	v_lshl_or_b32 v6, s10, 1, v8
	v_mov_b32_e32 v7, 0
	v_lshl_add_u64 v[6:7], v[6:7], 2, s[2:3]
	s_waitcnt vmcnt(0)
	global_store_dword v[6:7], v9, off
.LBB139_41:
	s_or_b64 exec, exec, s[4:5]
	scratch_load_dwordx2 v[6:7], off, off offset:24
	ds_read2st64_b32 v[12:13], v10 offset0:6 offset1:7
	s_waitcnt vmcnt(0) lgkmcnt(0)
	v_pk_add_f32 v[6:7], v[12:13], v[6:7]
	ds_bpermute_b32 v12, v0, v6
	ds_bpermute_b32 v13, v0, v7
	s_waitcnt lgkmcnt(0)
	v_pk_add_f32 v[6:7], v[6:7], v[12:13]
	ds_bpermute_b32 v0, v1, v6
	ds_bpermute_b32 v1, v1, v7
	s_waitcnt lgkmcnt(0)
	;; [unrolled: 4-line block ×6, first 2 shown]
	v_pk_add_f32 v[0:1], v[0:1], v[2:3]
	scratch_store_dwordx2 off, v[0:1], off offset:24
	s_and_b64 exec, exec, s[0:1]
	s_cbranch_execz .LBB139_43
; %bb.42:
	scratch_load_dword v2, v10, off offset:24
	v_mad_u64_u32 v[0:1], s[0:1], s10, 3, v[8:9]
	v_mov_b32_e32 v1, 0
	v_lshl_add_u64 v[0:1], v[0:1], 2, s[2:3]
	s_waitcnt vmcnt(0)
	global_store_dword v[0:1], v2, off
.LBB139_43:
	s_endpgm
	.section	.rodata,"a",@progbits
	.p2align	6, 0x0
	.amdhsa_kernel _ZL13mul_mat_vec_qIL9ggml_type13ELi4ELb0ELb0EEvPKvS2_PKi31ggml_cuda_mm_fusion_args_devicePfj15HIP_vector_typeIjLj3EEjjjS8_jjjS8_jjjj
		.amdhsa_group_segment_fixed_size 2048
		.amdhsa_private_segment_fixed_size 48
		.amdhsa_kernarg_size 144
		.amdhsa_user_sgpr_count 2
		.amdhsa_user_sgpr_dispatch_ptr 0
		.amdhsa_user_sgpr_queue_ptr 0
		.amdhsa_user_sgpr_kernarg_segment_ptr 1
		.amdhsa_user_sgpr_dispatch_id 0
		.amdhsa_user_sgpr_kernarg_preload_length 0
		.amdhsa_user_sgpr_kernarg_preload_offset 0
		.amdhsa_user_sgpr_private_segment_size 0
		.amdhsa_uses_dynamic_stack 0
		.amdhsa_enable_private_segment 1
		.amdhsa_system_sgpr_workgroup_id_x 1
		.amdhsa_system_sgpr_workgroup_id_y 1
		.amdhsa_system_sgpr_workgroup_id_z 1
		.amdhsa_system_sgpr_workgroup_info 0
		.amdhsa_system_vgpr_workitem_id 1
		.amdhsa_next_free_vgpr 88
		.amdhsa_next_free_sgpr 30
		.amdhsa_accum_offset 88
		.amdhsa_reserve_vcc 1
		.amdhsa_float_round_mode_32 0
		.amdhsa_float_round_mode_16_64 0
		.amdhsa_float_denorm_mode_32 3
		.amdhsa_float_denorm_mode_16_64 3
		.amdhsa_dx10_clamp 1
		.amdhsa_ieee_mode 1
		.amdhsa_fp16_overflow 0
		.amdhsa_tg_split 0
		.amdhsa_exception_fp_ieee_invalid_op 0
		.amdhsa_exception_fp_denorm_src 0
		.amdhsa_exception_fp_ieee_div_zero 0
		.amdhsa_exception_fp_ieee_overflow 0
		.amdhsa_exception_fp_ieee_underflow 0
		.amdhsa_exception_fp_ieee_inexact 0
		.amdhsa_exception_int_div_zero 0
	.end_amdhsa_kernel
	.section	.text._ZL13mul_mat_vec_qIL9ggml_type13ELi4ELb0ELb0EEvPKvS2_PKi31ggml_cuda_mm_fusion_args_devicePfj15HIP_vector_typeIjLj3EEjjjS8_jjjS8_jjjj,"axG",@progbits,_ZL13mul_mat_vec_qIL9ggml_type13ELi4ELb0ELb0EEvPKvS2_PKi31ggml_cuda_mm_fusion_args_devicePfj15HIP_vector_typeIjLj3EEjjjS8_jjjS8_jjjj,comdat
.Lfunc_end139:
	.size	_ZL13mul_mat_vec_qIL9ggml_type13ELi4ELb0ELb0EEvPKvS2_PKi31ggml_cuda_mm_fusion_args_devicePfj15HIP_vector_typeIjLj3EEjjjS8_jjjS8_jjjj, .Lfunc_end139-_ZL13mul_mat_vec_qIL9ggml_type13ELi4ELb0ELb0EEvPKvS2_PKi31ggml_cuda_mm_fusion_args_devicePfj15HIP_vector_typeIjLj3EEjjjS8_jjjS8_jjjj
                                        ; -- End function
	.section	.AMDGPU.csdata,"",@progbits
; Kernel info:
; codeLenInByte = 4668
; NumSgprs: 36
; NumVgprs: 88
; NumAgprs: 0
; TotalNumVgprs: 88
; ScratchSize: 48
; MemoryBound: 0
; FloatMode: 240
; IeeeMode: 1
; LDSByteSize: 2048 bytes/workgroup (compile time only)
; SGPRBlocks: 4
; VGPRBlocks: 10
; NumSGPRsForWavesPerEU: 36
; NumVGPRsForWavesPerEU: 88
; AccumOffset: 88
; Occupancy: 5
; WaveLimiterHint : 0
; COMPUTE_PGM_RSRC2:SCRATCH_EN: 1
; COMPUTE_PGM_RSRC2:USER_SGPR: 2
; COMPUTE_PGM_RSRC2:TRAP_HANDLER: 0
; COMPUTE_PGM_RSRC2:TGID_X_EN: 1
; COMPUTE_PGM_RSRC2:TGID_Y_EN: 1
; COMPUTE_PGM_RSRC2:TGID_Z_EN: 1
; COMPUTE_PGM_RSRC2:TIDIG_COMP_CNT: 1
; COMPUTE_PGM_RSRC3_GFX90A:ACCUM_OFFSET: 21
; COMPUTE_PGM_RSRC3_GFX90A:TG_SPLIT: 0
	.section	.text._ZL13mul_mat_vec_qIL9ggml_type13ELi5ELb0ELb0EEvPKvS2_PKi31ggml_cuda_mm_fusion_args_devicePfj15HIP_vector_typeIjLj3EEjjjS8_jjjS8_jjjj,"axG",@progbits,_ZL13mul_mat_vec_qIL9ggml_type13ELi5ELb0ELb0EEvPKvS2_PKi31ggml_cuda_mm_fusion_args_devicePfj15HIP_vector_typeIjLj3EEjjjS8_jjjS8_jjjj,comdat
	.globl	_ZL13mul_mat_vec_qIL9ggml_type13ELi5ELb0ELb0EEvPKvS2_PKi31ggml_cuda_mm_fusion_args_devicePfj15HIP_vector_typeIjLj3EEjjjS8_jjjS8_jjjj ; -- Begin function _ZL13mul_mat_vec_qIL9ggml_type13ELi5ELb0ELb0EEvPKvS2_PKi31ggml_cuda_mm_fusion_args_devicePfj15HIP_vector_typeIjLj3EEjjjS8_jjjS8_jjjj
	.p2align	8
	.type	_ZL13mul_mat_vec_qIL9ggml_type13ELi5ELb0ELb0EEvPKvS2_PKi31ggml_cuda_mm_fusion_args_devicePfj15HIP_vector_typeIjLj3EEjjjS8_jjjS8_jjjj,@function
_ZL13mul_mat_vec_qIL9ggml_type13ELi5ELb0ELb0EEvPKvS2_PKi31ggml_cuda_mm_fusion_args_devicePfj15HIP_vector_typeIjLj3EEjjjS8_jjjS8_jjjj: ; @_ZL13mul_mat_vec_qIL9ggml_type13ELi5ELb0ELb0EEvPKvS2_PKi31ggml_cuda_mm_fusion_args_devicePfj15HIP_vector_typeIjLj3EEjjjS8_jjjS8_jjjj
; %bb.0:
	v_bfe_u32 v9, v0, 10, 10
	v_and_b32_e32 v8, 0x3ff, v0
	s_mov_b32 s20, 0
	s_load_dword s5, s[0:1], 0x40
	s_load_dwordx4 s[8:11], s[0:1], 0x50
	s_load_dword s7, s[0:1], 0x60
	s_load_dwordx4 s[12:15], s[0:1], 0x68
	;; [unrolled: 2-line block ×3, first 2 shown]
	v_lshl_or_b32 v4, v9, 6, v8
	s_mov_b32 s21, s20
	s_waitcnt lgkmcnt(0)
	s_lshr_b32 s5, s5, 8
	v_mov_b32_e32 v11, 0
	s_mov_b32 s22, s20
	s_mov_b32 s23, s20
	v_mov_b64_e32 v[0:1], s[20:21]
	v_lshrrev_b32_e32 v15, 4, v4
	s_lshl_b32 s2, s2, 1
	v_mov_b32_e32 v10, v11
	v_mov_b64_e32 v[2:3], s[22:23]
	v_cmp_gt_u32_e32 vcc, s5, v15
	scratch_store_dwordx2 off, v[10:11], off offset:32
	scratch_store_dwordx4 off, v[0:3], off offset:16
	scratch_store_dwordx4 off, v[0:3], off
	s_and_saveexec_b64 s[24:25], vcc
	s_cbranch_execz .LBB140_40
; %bb.1:
	s_mul_hi_u32 s11, s11, s3
	s_add_i32 s11, s3, s11
	s_lshr_b32 s7, s11, s7
	s_load_dwordx4 s[20:23], s[0:1], 0x0
	s_mul_i32 s11, s7, s12
	s_mul_hi_u32 s7, s15, s4
	s_add_i32 s7, s4, s7
	s_lshr_b32 s6, s7, s6
	s_mul_i32 s15, s6, s16
	s_mul_i32 s6, s4, s17
	s_mul_hi_u32 s7, s6, 36
	s_mul_i32 s6, s6, 36
	s_waitcnt lgkmcnt(0)
	s_add_u32 s6, s22, s6
	s_mul_i32 s12, s3, s13
	s_addc_u32 s7, s23, s7
	s_mul_hi_u32 s13, s12, 36
	s_mul_i32 s12, s12, 36
	v_lshlrev_b32_e32 v0, 1, v8
	s_add_u32 s6, s6, s12
	v_and_b32_e32 v1, 30, v0
	v_bfe_u32 v0, v0, 3, 2
	s_addc_u32 s7, s7, s13
	v_lshlrev_b32_e32 v32, 1, v0
	v_cmp_lt_u32_e32 vcc, 15, v1
	v_mad_u64_u32 v[18:19], s[12:13], v32, 36, s[6:7]
	v_lshl_add_u32 v1, v9, 6, v8
	v_bfe_u32 v2, v8, 2, 2
	v_lshrrev_b32_e32 v1, 4, v1
	v_mul_hi_u32_u24_e32 v3, 0x48, v2
	v_mul_u32_u24_e32 v2, 0x48, v2
	s_movk_i32 s12, 0x120
	v_mad_u64_u32 v[2:3], s[12:13], v1, s12, v[2:3]
	v_lshl_add_u64 v[2:3], s[6:7], 0, v[2:3]
	s_add_i32 s7, s2, 1
	v_and_b32_e32 v14, 3, v8
	s_mul_i32 s16, s2, s8
	s_add_i32 s6, s15, s11
	s_mul_i32 s7, s8, s7
	v_lshlrev_b32_e32 v12, 5, v0
	v_mov_b32_e32 v13, v11
	v_lshlrev_b32_e32 v16, 2, v14
	v_mov_b32_e32 v17, v11
	v_lshl_add_u64 v[20:21], v[2:3], 0, 36
	s_add_i32 s11, s6, s16
	s_lshl_b32 s15, s9, 1
	v_lshlrev_b32_e32 v33, 3, v15
	s_mul_i32 s19, s9, 3
	s_lshl_b32 s22, s9, 2
	s_add_i32 s8, s6, s7
	s_mov_b64 s[12:13], 0
	s_movk_i32 s23, 0xb0
	v_mov_b64_e32 v[22:23], s[20:21]
	v_lshlrev_b32_e32 v10, 1, v0
	s_mov_b32 s26, 0x5040100
	s_mov_b32 s27, 0x20004
	s_mov_b32 s28, 0x30300f0f
	s_movk_i32 s29, 0xf0f
	s_movk_i32 s30, 0x3f3f
	s_mov_b32 s31, 0x30303030
	s_mov_b32 s33, 0x10101010
	;; [unrolled: 1-line block ×3, first 2 shown]
	s_mov_b64 s[16:17], 0x480
	v_mov_b32_e32 v2, v11
	v_mov_b32_e32 v25, v11
	;; [unrolled: 1-line block ×10, first 2 shown]
	s_branch .LBB140_3
.LBB140_2:                              ;   in Loop: Header=BB140_3 Depth=1
	s_or_b64 exec, exec, s[6:7]
	s_waitcnt vmcnt(30)
	v_ashrrev_i32_e32 v31, v32, v58
	v_ashrrev_i32_e32 v57, v32, v57
	v_and_b32_e32 v84, 0xf0f0f0f, v54
	v_lshlrev_b32_e32 v87, 4, v31
	v_and_b32_e32 v58, 0xf0f0f0f, v55
	v_lshlrev_b32_e32 v86, 4, v57
	v_and_or_b32 v84, v87, s33, v84
	v_mov_b32_e32 v87, v11
	v_and_or_b32 v58, v86, s33, v58
	v_lshrrev_b32_e32 v54, 4, v54
	s_waitcnt vmcnt(4)
	v_dot4c_i32_i8_e32 v87, v84, v72
	v_mov_b32_e32 v29, v11
	v_lshrrev_b32_e32 v55, 4, v55
	v_and_b32_e32 v54, 0xf0f0f0f, v54
	v_lshlrev_b32_e32 v31, 3, v31
	v_lshrrev_b16_e32 v86, 8, v79
	s_waitcnt vmcnt(1)
	v_dot4c_i32_i8_e32 v87, v58, v73
	v_and_b32_sdwa v79, s34, v79 dst_sel:DWORD dst_unused:UNUSED_PAD src0_sel:DWORD src1_sel:BYTE_0
	v_dot4c_i32_i8_e32 v29, 0x1010101, v72
	v_mov_b32_e32 v74, v11
	v_and_b32_e32 v55, 0xf0f0f0f, v55
	v_lshlrev_b32_e32 v57, 3, v57
	v_and_or_b32 v54, v31, s33, v54
	v_mul_lo_u32 v79, v87, v79
	v_mov_b32_e32 v87, v11
	v_dot4c_i32_i8_e32 v29, 0x1010101, v73
	v_dot4c_i32_i8_e32 v74, 0x1010101, v71
	v_and_or_b32 v55, v57, s33, v55
	v_lshrrev_b16_e32 v31, 8, v80
	v_and_b32_sdwa v80, s34, v80 dst_sel:DWORD dst_unused:UNUSED_PAD src0_sel:DWORD src1_sel:BYTE_0
	v_dot4c_i32_i8_e32 v87, v54, v71
	v_dot4c_i32_i8_e32 v74, 0x1010101, v70
	v_mul_lo_u32 v80, v29, v80
	v_dot4c_i32_i8_e32 v87, v55, v70
	v_cvt_f32_i32_e32 v79, v79
	v_cvt_f32_i32_e32 v80, v80
	v_mul_lo_u32 v31, v74, v31
	v_mul_lo_u32 v86, v87, v86
	v_cvt_f32_i32_e32 v86, v86
	v_cvt_f32_i32_e32 v31, v31
	v_cvt_f32_f16_sdwa v57, v40 dst_sel:DWORD dst_unused:UNUSED_PAD src0_sel:WORD_1
	v_fma_mix_f32 v79, v93, v79, 0 op_sel_hi:[1,0,0]
	v_fma_mix_f32 v80, v93, v80, 0 op_sel_hi:[1,0,0]
	s_waitcnt vmcnt(0)
	v_cvt_f32_f16_e32 v26, v30
	v_fma_mix_f32 v79, v30, v86, v79 op_sel_hi:[1,0,0]
	v_fma_mix_f32 v30, v30, v31, v80 op_sel_hi:[1,0,0]
	v_ashrrev_i32_e32 v31, v32, v60
	v_mul_f32_e32 v30, v30, v57
	v_fma_mix_f32 v30, v79, v40, -v30 op_sel_hi:[0,1,0]
	v_add_f32_e32 v24, v24, v30
	v_ashrrev_i32_e32 v30, v32, v61
	v_and_b32_e32 v61, 0xf0f0f0f, v56
	v_lshlrev_b32_e32 v87, 4, v30
	v_mov_b32_e32 v79, v11
	v_and_b32_e32 v60, 0xf0f0f0f, v59
	v_lshlrev_b32_e32 v86, 4, v31
	v_and_or_b32 v61, v87, s33, v61
	v_mov_b32_e32 v88, v11
	v_dot4c_i32_i8_e32 v79, 0x1010101, v89
	v_mov_b32_e32 v80, v11
	v_and_or_b32 v60, v86, s33, v60
	v_lshrrev_b32_e32 v56, 4, v56
	v_dot4c_i32_i8_e32 v88, v61, v89
	v_dot4c_i32_i8_e32 v79, 0x1010101, v90
	;; [unrolled: 1-line block ×3, first 2 shown]
	v_lshrrev_b32_e32 v59, 4, v59
	v_and_b32_e32 v56, 0xf0f0f0f, v56
	v_lshlrev_b32_e32 v30, 3, v30
	v_lshrrev_b16_e32 v86, 8, v78
	v_lshrrev_b16_e32 v87, 8, v75
	v_dot4c_i32_i8_e32 v88, v60, v90
	v_and_b32_sdwa v75, s34, v75 dst_sel:DWORD dst_unused:UNUSED_PAD src0_sel:DWORD src1_sel:BYTE_0
	v_and_b32_sdwa v78, s34, v78 dst_sel:DWORD dst_unused:UNUSED_PAD src0_sel:DWORD src1_sel:BYTE_0
	v_dot4c_i32_i8_e32 v80, 0x1010101, v83
	v_and_b32_e32 v59, 0xf0f0f0f, v59
	v_lshlrev_b32_e32 v31, 3, v31
	v_and_or_b32 v56, v30, s33, v56
	v_mul_lo_u32 v75, v88, v75
	v_mul_lo_u32 v78, v79, v78
	v_mov_b32_e32 v88, v11
	v_and_or_b32 v59, v31, s33, v59
	v_cvt_f32_i32_e32 v78, v78
	v_dot4c_i32_i8_e32 v88, v56, v85
	v_mul_lo_u32 v86, v80, v86
	v_dot4c_i32_i8_e32 v88, v59, v83
	v_cvt_f32_i32_e32 v86, v86
	v_cvt_f32_i32_e32 v75, v75
	v_cvt_f32_f16_sdwa v31, v43 dst_sel:DWORD dst_unused:UNUSED_PAD src0_sel:WORD_1
	v_mul_lo_u32 v87, v88, v87
	v_cvt_f32_i32_e32 v87, v87
	v_fma_mix_f32 v78, v81, v78, 0 op_sel_hi:[1,0,0]
	v_fma_mix_f32 v75, v81, v75, 0 op_sel_hi:[1,0,0]
	;; [unrolled: 1-line block ×3, first 2 shown]
	v_mov_b32_e32 v86, v11
	v_dot4c_i32_i8_e32 v86, v84, v89
	v_fma_mix_f32 v75, v82, v87, v75 op_sel_hi:[1,0,0]
	v_dot4c_i32_i8_e32 v86, v58, v90
	v_and_b32_sdwa v87, s34, v92 dst_sel:DWORD dst_unused:UNUSED_PAD src0_sel:DWORD src1_sel:BYTE_0
	v_mul_f32_e32 v78, v78, v31
	v_fma_mix_f32 v75, v75, v43, -v78 op_sel_hi:[0,1,0]
	v_mul_lo_u32 v86, v86, v87
	v_and_b32_sdwa v87, s34, v91 dst_sel:DWORD dst_unused:UNUSED_PAD src0_sel:DWORD src1_sel:BYTE_0
	v_mul_lo_u32 v79, v79, v87
	v_mov_b32_e32 v87, v11
	v_add_f32_e32 v3, v3, v75
	v_lshrrev_b16_e32 v75, 8, v91
	v_dot4c_i32_i8_e32 v87, v54, v85
	v_lshrrev_b16_e32 v78, 8, v92
	v_cvt_f32_i32_e32 v79, v79
	v_dot4c_i32_i8_e32 v87, v55, v83
	v_mul_lo_u32 v75, v80, v75
	v_cvt_f32_i32_e32 v86, v86
	v_cvt_f32_i32_e32 v75, v75
	v_mul_lo_u32 v78, v87, v78
	v_cvt_f32_i32_e32 v78, v78
	v_fma_mix_f32 v79, v81, v79, 0 op_sel_hi:[1,0,0]
	v_fma_mix_f32 v80, v81, v86, 0 op_sel_hi:[1,0,0]
	;; [unrolled: 1-line block ×4, first 2 shown]
	v_mul_f32_e32 v75, v75, v57
	v_fma_mix_f32 v75, v78, v40, -v75 op_sel_hi:[0,1,0]
	v_mov_b32_e32 v81, v11
	v_add_f32_e32 v2, v2, v75
	v_mov_b32_e32 v75, v11
	v_dot4c_i32_i8_e32 v81, v61, v66
	v_dot4c_i32_i8_e32 v75, 0x1010101, v66
	v_mov_b32_e32 v78, v11
	v_lshrrev_b16_e32 v80, 8, v77
	v_dot4c_i32_i8_e32 v81, v60, v67
	v_and_b32_sdwa v77, s34, v77 dst_sel:DWORD dst_unused:UNUSED_PAD src0_sel:DWORD src1_sel:BYTE_0
	v_dot4c_i32_i8_e32 v75, 0x1010101, v67
	v_dot4c_i32_i8_e32 v78, 0x1010101, v65
	v_lshrrev_b16_e32 v79, 8, v76
	v_mul_lo_u32 v77, v81, v77
	v_and_b32_sdwa v76, s34, v76 dst_sel:DWORD dst_unused:UNUSED_PAD src0_sel:DWORD src1_sel:BYTE_0
	v_mov_b32_e32 v81, v11
	v_dot4c_i32_i8_e32 v78, 0x1010101, v64
	v_mul_lo_u32 v76, v75, v76
	v_dot4c_i32_i8_e32 v81, v56, v65
	v_cvt_f32_i32_e32 v76, v76
	v_dot4c_i32_i8_e32 v81, v59, v64
	v_mul_lo_u32 v79, v78, v79
	v_cvt_f32_i32_e32 v77, v77
	v_cvt_f32_i32_e32 v79, v79
	v_mul_lo_u32 v80, v81, v80
	v_cvt_f32_i32_e32 v80, v80
	v_fma_mix_f32 v76, v62, v76, 0 op_sel_hi:[1,0,0]
	v_fma_mix_f32 v77, v62, v77, 0 op_sel_hi:[1,0,0]
	;; [unrolled: 1-line block ×4, first 2 shown]
	v_mul_f32_e32 v76, v76, v31
	v_mov_b32_e32 v79, v11
	v_fma_mix_f32 v76, v77, v43, -v76 op_sel_hi:[0,1,0]
	v_dot4c_i32_i8_e32 v79, v84, v66
	v_add_f32_e32 v1, v1, v76
	v_lshrrev_b16_e32 v76, 8, v68
	v_dot4c_i32_i8_e32 v79, v58, v67
	v_and_b32_sdwa v66, s34, v69 dst_sel:DWORD dst_unused:UNUSED_PAD src0_sel:DWORD src1_sel:BYTE_0
	v_and_b32_sdwa v67, s34, v68 dst_sel:DWORD dst_unused:UNUSED_PAD src0_sel:DWORD src1_sel:BYTE_0
	v_mov_b32_e32 v68, v11
	v_mul_lo_u32 v66, v79, v66
	v_mul_lo_u32 v67, v75, v67
	v_dot4c_i32_i8_e32 v68, v54, v65
	v_lshrrev_b16_e32 v77, 8, v69
	v_cvt_f32_i32_e32 v66, v66
	v_cvt_f32_i32_e32 v67, v67
	v_dot4c_i32_i8_e32 v68, v55, v64
	v_mul_lo_u32 v65, v78, v76
	v_cvt_f32_i32_e32 v65, v65
	v_fma_mix_f32 v66, v62, v66, 0 op_sel_hi:[1,0,0]
	v_mul_lo_u32 v64, v68, v77
	v_cvt_f32_i32_e32 v64, v64
	v_fma_mix_f32 v62, v62, v67, 0 op_sel_hi:[1,0,0]
	v_cvt_f32_f16_e32 v30, v43
	v_fma_mix_f32 v62, v63, v65, v62 op_sel_hi:[1,0,0]
	v_fma_mix_f32 v64, v63, v64, v66 op_sel_hi:[1,0,0]
	v_mul_f32_e32 v62, v62, v57
	v_fma_mix_f32 v62, v64, v40, -v62 op_sel_hi:[0,1,0]
	v_mov_b32_e32 v66, v11
	v_add_f32_e32 v0, v0, v62
	v_mov_b32_e32 v62, v11
	v_dot4c_i32_i8_e32 v66, v61, v48
	v_dot4c_i32_i8_e32 v62, 0x1010101, v48
	v_mov_b32_e32 v63, v11
	v_lshrrev_b16_e32 v65, 8, v53
	v_dot4c_i32_i8_e32 v66, v60, v49
	v_and_b32_sdwa v53, s34, v53 dst_sel:DWORD dst_unused:UNUSED_PAD src0_sel:DWORD src1_sel:BYTE_0
	v_dot4c_i32_i8_e32 v62, 0x1010101, v49
	v_dot4c_i32_i8_e32 v63, 0x1010101, v47
	v_lshrrev_b16_e32 v64, 8, v52
	v_mul_lo_u32 v53, v66, v53
	v_and_b32_sdwa v52, s34, v52 dst_sel:DWORD dst_unused:UNUSED_PAD src0_sel:DWORD src1_sel:BYTE_0
	v_mov_b32_e32 v66, v11
	v_dot4c_i32_i8_e32 v63, 0x1010101, v46
	v_mul_lo_u32 v52, v62, v52
	v_dot4c_i32_i8_e32 v66, v56, v47
	v_cvt_f32_i32_e32 v52, v52
	v_dot4c_i32_i8_e32 v66, v59, v46
	v_mul_lo_u32 v64, v63, v64
	v_cvt_f32_i32_e32 v53, v53
	v_cvt_f32_i32_e32 v64, v64
	v_mul_lo_u32 v65, v66, v65
	v_cvt_f32_i32_e32 v65, v65
	v_fma_mix_f32 v52, v44, v52, 0 op_sel_hi:[1,0,0]
	v_fma_mix_f32 v53, v44, v53, 0 op_sel_hi:[1,0,0]
	;; [unrolled: 1-line block ×4, first 2 shown]
	v_mul_f32_e32 v52, v52, v31
	v_mov_b32_e32 v64, v11
	v_fma_mix_f32 v52, v53, v43, -v52 op_sel_hi:[0,1,0]
	v_dot4c_i32_i8_e32 v64, v84, v48
	v_add_f32_e32 v7, v7, v52
	v_lshrrev_b16_e32 v52, 8, v50
	v_dot4c_i32_i8_e32 v64, v58, v49
	v_and_b32_sdwa v48, s34, v51 dst_sel:DWORD dst_unused:UNUSED_PAD src0_sel:DWORD src1_sel:BYTE_0
	v_and_b32_sdwa v49, s34, v50 dst_sel:DWORD dst_unused:UNUSED_PAD src0_sel:DWORD src1_sel:BYTE_0
	v_mov_b32_e32 v50, v11
	v_mul_lo_u32 v48, v64, v48
	v_mul_lo_u32 v49, v62, v49
	v_dot4c_i32_i8_e32 v50, v54, v47
	v_lshrrev_b16_e32 v53, 8, v51
	v_cvt_f32_i32_e32 v48, v48
	v_cvt_f32_i32_e32 v49, v49
	v_dot4c_i32_i8_e32 v50, v55, v46
	v_mul_lo_u32 v47, v63, v52
	v_cvt_f32_i32_e32 v47, v47
	v_fma_mix_f32 v48, v44, v48, 0 op_sel_hi:[1,0,0]
	v_mul_lo_u32 v46, v50, v53
	v_cvt_f32_i32_e32 v46, v46
	v_fma_mix_f32 v44, v44, v49, 0 op_sel_hi:[1,0,0]
	v_bfe_u32 v49, v42, 16, 8
	v_fma_mix_f32 v44, v45, v47, v44 op_sel_hi:[1,0,0]
	v_fma_mix_f32 v46, v45, v46, v48 op_sel_hi:[1,0,0]
	v_mul_f32_e32 v44, v44, v57
	v_fma_mix_f32 v44, v46, v40, -v44 op_sel_hi:[0,1,0]
	v_mov_b32_e32 v48, v11
	v_add_f32_e32 v6, v6, v44
	v_mov_b32_e32 v44, v11
	v_dot4c_i32_i8_e32 v48, v61, v39
	v_dot4c_i32_i8_e32 v44, 0x1010101, v39
	v_mov_b32_e32 v45, v11
	v_dot4c_i32_i8_e32 v48, v60, v38
	v_dot4c_i32_i8_e32 v44, 0x1010101, v38
	;; [unrolled: 1-line block ×3, first 2 shown]
	v_lshrrev_b16_e32 v46, 8, v42
	v_lshrrev_b32_e32 v47, 24, v42
	v_mul_lo_u32 v48, v48, v49
	v_and_b32_e32 v42, 0xff, v42
	v_mov_b32_e32 v49, v11
	v_dot4c_i32_i8_e32 v45, 0x1010101, v36
	v_mul_lo_u32 v42, v44, v42
	v_dot4c_i32_i8_e32 v49, v56, v37
	v_cvt_f32_i32_e32 v42, v42
	v_dot4c_i32_i8_e32 v49, v59, v36
	v_mul_lo_u32 v46, v45, v46
	v_cvt_f32_i32_e32 v48, v48
	v_cvt_f32_i32_e32 v46, v46
	v_mul_lo_u32 v47, v49, v47
	v_cvt_f32_i32_e32 v47, v47
	v_fma_mix_f32 v42, v34, v42, 0 op_sel_hi:[1,0,0]
	v_fma_mix_f32 v48, v34, v48, 0 op_sel_hi:[1,0,0]
	;; [unrolled: 1-line block ×4, first 2 shown]
	v_mul_f32_e32 v42, v42, v31
	v_mov_b32_e32 v46, v11
	v_fma_mix_f32 v42, v47, v43, -v42 op_sel_hi:[0,1,0]
	v_dot4c_i32_i8_e32 v46, v84, v39
	v_add_f32_e32 v5, v5, v42
	v_lshrrev_b16_e32 v42, 8, v41
	v_lshrrev_b32_e32 v43, 24, v41
	v_dot4c_i32_i8_e32 v46, v58, v38
	v_bfe_u32 v38, v41, 16, 8
	v_and_b32_e32 v39, 0xff, v41
	v_mov_b32_e32 v41, v11
	v_dot4c_i32_i8_e32 v41, v54, v37
	v_mul_lo_u32 v38, v46, v38
	v_mul_lo_u32 v39, v44, v39
	v_dot4c_i32_i8_e32 v41, v55, v36
	v_cvt_f32_i32_e32 v38, v38
	v_cvt_f32_i32_e32 v39, v39
	v_mul_lo_u32 v37, v45, v42
	v_mul_lo_u32 v36, v41, v43
	v_cvt_f32_i32_e32 v36, v36
	v_cvt_f32_i32_e32 v37, v37
	v_fma_mix_f32 v38, v34, v38, 0 op_sel_hi:[1,0,0]
	v_fma_mix_f32 v34, v34, v39, 0 op_sel_hi:[1,0,0]
	;; [unrolled: 1-line block ×4, first 2 shown]
	v_mov_b32_e32 v35, v11
	v_mul_f32_e32 v39, v34, v57
	v_pk_lshrrev_b16 v34, 8, v27 op_sel_hi:[0,1]
	v_dot4c_i32_i8_e32 v35, v61, v72
	v_and_b32_e32 v27, 0xff00ff, v27
	v_mov_b32_e32 v36, v11
	v_dot4c_i32_i8_e32 v35, v60, v73
	v_dot4c_i32_i8_e32 v36, v56, v71
	v_lshrrev_b32_e32 v37, 16, v34
	v_and_b32_e32 v41, 0xff, v34
	v_lshrrev_b32_e32 v34, 16, v27
	v_and_b32_e32 v27, 0xff, v27
	v_dot4c_i32_i8_e32 v36, v59, v70
	v_mul_lo_u32 v27, v35, v27
	v_mul_lo_u32 v29, v29, v34
	v_cvt_f32_f16_e32 v28, v93
	v_cvt_f32_i32_e32 v34, v27
	v_cvt_f32_i32_e32 v35, v29
	v_mul_lo_u32 v27, v36, v41
	v_mul_lo_u32 v29, v74, v37
	v_cvt_f32_i32_e32 v36, v27
	v_cvt_f32_i32_e32 v37, v29
	v_fma_mix_f32 v27, v38, v40, -v39 op_sel_hi:[0,1,0]
	v_pk_fma_f32 v[28:29], v[28:29], v[34:35], 0 op_sel_hi:[0,1,0]
	v_add_f32_e32 v4, v4, v27
	v_pk_fma_f32 v[26:27], v[26:27], v[36:37], v[28:29] op_sel_hi:[0,1,1]
	v_pk_mul_f32 v[26:27], v[26:27], v[30:31]
	v_add_u32_e32 v15, 4, v15
	v_sub_f32_e32 v26, v26, v27
	v_cmp_le_u32_e64 s[6:7], s5, v15
	v_add_f32_e32 v25, v25, v26
	v_lshl_add_u64 v[20:21], v[20:21], 0, s[16:17]
	s_or_b64 s[12:13], s[6:7], s[12:13]
	v_add_u32_e32 v33, 32, v33
	s_andn2_b64 exec, exec, s[12:13]
	s_cbranch_execz .LBB140_39
.LBB140_3:                              ; =>This Inner Loop Header: Depth=1
	v_lshl_add_u64 v[26:27], v[20:21], 0, v[16:17]
	global_load_dword v34, v[20:21], off offset:-36
	global_load_dword v35, v[20:21], off
	global_load_dword v38, v[26:27], off offset:-32
	global_load_dword v39, v[26:27], off offset:-16
	global_load_dword v36, v[26:27], off offset:4
	global_load_dword v37, v[26:27], off offset:20
	v_add_u32_e32 v26, s11, v15
	v_mad_i64_i32 v[28:29], s[6:7], v26, s23, v[22:23]
	v_lshl_add_u64 v[26:27], v[28:29], 0, v[16:17]
	v_lshl_add_u64 v[30:31], v[26:27], 0, v[12:13]
	global_load_dword v54, v[30:31], off offset:64
	global_load_dword v57, v[26:27], off offset:16
	;; [unrolled: 1-line block ×4, first 2 shown]
	v_lshl_add_u64 v[26:27], v[28:29], 0, v[10:11]
                                        ; implicit-def: $vgpr41
                                        ; implicit-def: $vgpr70
                                        ; implicit-def: $vgpr71
	s_and_saveexec_b64 s[6:7], vcc
	s_xor_b64 s[6:7], exec, s[6:7]
	s_cbranch_execz .LBB140_5
; %bb.4:                                ;   in Loop: Header=BB140_3 Depth=1
	global_load_ushort v70, v[26:27], off offset:8
	global_load_ushort v71, v[26:27], off offset:4
	global_load_ushort v30, v[26:27], off
	s_waitcnt vmcnt(1)
	v_lshrrev_b16_e32 v31, 2, v71
	s_waitcnt vmcnt(0)
	v_perm_b32 v30, v30, v70, s26
	v_perm_b32 v31, v70, v31, s26
	v_pk_lshrrev_b16 v30, s27, v30
	v_and_b32_e32 v31, 0xf0f3030, v31
	v_and_or_b32 v41, v30, s28, v31
.LBB140_5:                              ;   in Loop: Header=BB140_3 Depth=1
	s_andn2_saveexec_b64 s[6:7], s[6:7]
	s_cbranch_execz .LBB140_7
; %bb.6:                                ;   in Loop: Header=BB140_3 Depth=1
	global_load_ushort v71, v[26:27], off offset:4
	global_load_ushort v70, v[26:27], off offset:8
	s_waitcnt vmcnt(0)
	v_perm_b32 v30, v71, v70, s26
	v_and_b32_e32 v41, 0x3f3f3f3f, v30
.LBB140_7:                              ;   in Loop: Header=BB140_3 Depth=1
	s_or_b64 exec, exec, s[6:7]
	v_add_u32_e32 v40, s8, v15
	v_mov_b64_e32 v[30:31], s[20:21]
	v_mad_i64_i32 v[30:31], s[6:7], v40, s23, v[30:31]
	v_lshl_add_u64 v[42:43], v[30:31], 0, v[16:17]
	v_lshl_add_u64 v[44:45], v[42:43], 0, v[12:13]
	global_load_dword v56, v[44:45], off offset:64
	global_load_dword v40, v[28:29], off
	global_load_dword v60, v[42:43], off offset:16
	global_load_dword v59, v[44:45], off offset:48
	;; [unrolled: 1-line block ×3, first 2 shown]
	v_lshl_add_u64 v[28:29], v[30:31], 0, v[10:11]
                                        ; implicit-def: $vgpr74
                                        ; implicit-def: $vgpr42
	s_and_saveexec_b64 s[6:7], vcc
	s_xor_b64 s[6:7], exec, s[6:7]
	s_cbranch_execz .LBB140_9
; %bb.8:                                ;   in Loop: Header=BB140_3 Depth=1
	global_load_ushort v43, v[28:29], off offset:8
	global_load_ushort v44, v[28:29], off offset:4
	global_load_ushort v42, v[28:29], off
	s_waitcnt vmcnt(1)
	v_lshrrev_b16_e32 v45, 2, v44
	s_waitcnt vmcnt(0)
	v_perm_b32 v42, v42, v43, s26
	v_perm_b32 v45, v43, v45, s26
	v_pk_lshrrev_b16 v42, s27, v42
	v_and_b32_e32 v45, 0xf0f3030, v45
	v_and_or_b32 v42, v42, s28, v45
	v_perm_b32 v74, v43, v44, s26
.LBB140_9:                              ;   in Loop: Header=BB140_3 Depth=1
	s_andn2_saveexec_b64 s[6:7], s[6:7]
	s_cbranch_execz .LBB140_11
; %bb.10:                               ;   in Loop: Header=BB140_3 Depth=1
	global_load_ushort v43, v[28:29], off offset:4
	global_load_ushort v44, v[28:29], off offset:8
	s_waitcnt vmcnt(0)
	v_perm_b32 v42, v43, v44, s26
	v_and_b32_e32 v42, 0x3f3f3f3f, v42
	v_perm_b32 v74, v44, v43, s26
.LBB140_11:                             ;   in Loop: Header=BB140_3 Depth=1
	s_or_b64 exec, exec, s[6:7]
	global_load_dword v43, v[30:31], off
	v_add_u32_e32 v30, s9, v33
	v_mad_u64_u32 v[50:51], s[6:7], v30, 36, v[18:19]
	v_lshlrev_b32_e32 v30, 2, v14
	v_mov_b32_e32 v31, v11
	v_lshl_add_u64 v[52:53], v[50:51], 0, v[30:31]
	global_load_dword v44, v[50:51], off
	global_load_dword v48, v[52:53], off offset:20
	global_load_dword v46, v[52:53], off offset:40
	;; [unrolled: 1-line block ×5, first 2 shown]
	v_lshrrev_b16_e32 v31, 4, v70
	v_lshrrev_b16_e32 v50, 2, v71
	v_and_b32_e32 v84, 0xf0f, v70
	v_and_b32_e32 v86, 0xf0f, v31
	;; [unrolled: 1-line block ×3, first 2 shown]
                                        ; implicit-def: $vgpr51
                                        ; implicit-def: $vgpr50
	s_and_saveexec_b64 s[6:7], vcc
	s_xor_b64 s[6:7], exec, s[6:7]
	s_cbranch_execz .LBB140_13
; %bb.12:                               ;   in Loop: Header=BB140_3 Depth=1
	global_load_ushort v31, v[26:27], off
	v_or_b32_e32 v50, v87, v86
	s_waitcnt vmcnt(0)
	v_lshrrev_b16_e32 v31, 2, v31
	v_and_b32_e32 v31, 0x3030, v31
	v_or_b32_e32 v51, v31, v84
.LBB140_13:                             ;   in Loop: Header=BB140_3 Depth=1
	s_or_saveexec_b64 s[6:7], s[6:7]
	v_and_b32_e32 v79, 0x3f3f, v71
	v_and_b32_e32 v80, 0x3f3f, v70
	s_xor_b64 exec, exec, s[6:7]
; %bb.14:                               ;   in Loop: Header=BB140_3 Depth=1
	v_and_b32_e32 v51, 0x3f3f, v71
	v_and_b32_e32 v50, 0x3f3f, v70
; %bb.15:                               ;   in Loop: Header=BB140_3 Depth=1
	s_or_b64 exec, exec, s[6:7]
	v_lshrrev_b32_e32 v88, 20, v74
	v_and_b32_sdwa v72, v74, s29 dst_sel:DWORD dst_unused:UNUSED_PAD src0_sel:WORD_1 src1_sel:DWORD
	v_and_b32_e32 v73, 0xf0f, v88
	v_lshrrev_b16_e32 v93, 2, v74
                                        ; implicit-def: $vgpr53
                                        ; implicit-def: $vgpr52
	s_and_saveexec_b64 s[6:7], vcc
	s_xor_b64 s[6:7], exec, s[6:7]
	s_cbranch_execz .LBB140_17
; %bb.16:                               ;   in Loop: Header=BB140_3 Depth=1
	global_load_ushort v31, v[28:29], off
	v_and_b32_e32 v52, 0x3030, v93
	v_or_b32_e32 v52, v52, v73
	s_waitcnt vmcnt(0)
	v_lshrrev_b16_e32 v31, 2, v31
	v_and_b32_e32 v31, 0x3030, v31
	v_or_b32_e32 v53, v31, v72
.LBB140_17:                             ;   in Loop: Header=BB140_3 Depth=1
	s_or_saveexec_b64 s[6:7], s[6:7]
	v_and_b32_e32 v75, 0x3f3f, v74
	v_and_b32_sdwa v78, v74, s30 dst_sel:DWORD dst_unused:UNUSED_PAD src0_sel:WORD_1 src1_sel:DWORD
	s_xor_b64 exec, exec, s[6:7]
; %bb.18:                               ;   in Loop: Header=BB140_3 Depth=1
	v_and_b32_e32 v53, 0x3f3f, v74
	v_and_b32_sdwa v52, v74, s30 dst_sel:DWORD dst_unused:UNUSED_PAD src0_sel:WORD_1 src1_sel:DWORD
; %bb.19:                               ;   in Loop: Header=BB140_3 Depth=1
	s_or_b64 exec, exec, s[6:7]
	v_add_u32_e32 v31, s15, v33
	v_mad_u64_u32 v[68:69], s[6:7], v31, 36, v[18:19]
	v_mov_b32_e32 v31, v11
	v_lshl_add_u64 v[76:77], v[68:69], 0, v[30:31]
	global_load_dword v62, v[68:69], off
	global_load_dword v66, v[76:77], off offset:20
	global_load_dword v64, v[76:77], off offset:40
	;; [unrolled: 1-line block ×5, first 2 shown]
                                        ; implicit-def: $vgpr69
                                        ; implicit-def: $vgpr68
	s_and_saveexec_b64 s[6:7], vcc
	s_xor_b64 s[6:7], exec, s[6:7]
	s_cbranch_execz .LBB140_21
; %bb.20:                               ;   in Loop: Header=BB140_3 Depth=1
	global_load_ushort v31, v[26:27], off
	v_or_b32_e32 v68, v87, v86
	s_waitcnt vmcnt(0)
	v_lshrrev_b16_e32 v31, 2, v31
	v_and_b32_e32 v31, 0x3030, v31
	v_or_b32_e32 v69, v31, v84
	s_andn2_saveexec_b64 s[6:7], s[6:7]
	s_branch .LBB140_22
.LBB140_21:                             ;   in Loop: Header=BB140_3 Depth=1
	s_andn2_saveexec_b64 s[6:7], s[6:7]
.LBB140_22:                             ;   in Loop: Header=BB140_3 Depth=1
	v_and_b32_e32 v69, 0x3f3f, v71
	v_and_b32_e32 v68, 0x3f3f, v70
; %bb.23:                               ;   in Loop: Header=BB140_3 Depth=1
	s_or_b64 exec, exec, s[6:7]
                                        ; implicit-def: $vgpr77
                                        ; implicit-def: $vgpr76
	s_and_saveexec_b64 s[6:7], vcc
	s_xor_b64 s[6:7], exec, s[6:7]
	s_cbranch_execz .LBB140_25
; %bb.24:                               ;   in Loop: Header=BB140_3 Depth=1
	global_load_ushort v31, v[28:29], off
	v_and_b32_e32 v76, 0x3030, v93
	v_or_b32_e32 v76, v76, v73
	s_waitcnt vmcnt(0)
	v_lshrrev_b16_e32 v31, 2, v31
	v_and_b32_e32 v31, 0x3030, v31
	v_or_b32_e32 v77, v31, v72
	s_andn2_saveexec_b64 s[6:7], s[6:7]
	s_cbranch_execnz .LBB140_26
	s_branch .LBB140_27
.LBB140_25:                             ;   in Loop: Header=BB140_3 Depth=1
	s_andn2_saveexec_b64 s[6:7], s[6:7]
.LBB140_26:                             ;   in Loop: Header=BB140_3 Depth=1
	v_and_b32_e32 v77, 0x3f3f, v74
	v_and_b32_sdwa v76, v74, s30 dst_sel:DWORD dst_unused:UNUSED_PAD src0_sel:WORD_1 src1_sel:DWORD
.LBB140_27:                             ;   in Loop: Header=BB140_3 Depth=1
	s_or_b64 exec, exec, s[6:7]
	v_add_u32_e32 v31, s19, v33
	v_mad_u64_u32 v[94:95], s[6:7], v31, 36, v[18:19]
	v_mov_b32_e32 v31, v11
	v_lshl_add_u64 v[96:97], v[94:95], 0, v[30:31]
	global_load_dword v81, v[94:95], off
	global_load_dword v89, v[96:97], off offset:20
	global_load_dword v83, v[96:97], off offset:40
	;; [unrolled: 1-line block ×5, first 2 shown]
                                        ; implicit-def: $vgpr92
                                        ; implicit-def: $vgpr91
	s_and_saveexec_b64 s[6:7], vcc
	s_xor_b64 s[6:7], exec, s[6:7]
	s_cbranch_execz .LBB140_37
; %bb.28:                               ;   in Loop: Header=BB140_3 Depth=1
	global_load_ushort v31, v[26:27], off
	v_or_b32_e32 v91, v87, v86
                                        ; implicit-def: $vgpr71
                                        ; implicit-def: $vgpr70
	s_waitcnt vmcnt(0)
	v_lshrrev_b16_e32 v31, 2, v31
	v_and_b32_e32 v31, 0x3030, v31
	v_or_b32_e32 v92, v31, v84
	s_andn2_saveexec_b64 s[6:7], s[6:7]
	s_cbranch_execnz .LBB140_38
.LBB140_29:                             ;   in Loop: Header=BB140_3 Depth=1
	s_or_b64 exec, exec, s[6:7]
	s_and_saveexec_b64 s[6:7], vcc
	s_xor_b64 s[6:7], exec, s[6:7]
	s_cbranch_execz .LBB140_31
.LBB140_30:                             ;   in Loop: Header=BB140_3 Depth=1
	global_load_ushort v31, v[28:29], off
	v_and_b32_e32 v70, 0x3030, v93
	v_or_b32_e32 v78, v70, v73
	s_waitcnt vmcnt(0)
	v_lshrrev_b16_e32 v31, 2, v31
	v_and_b32_e32 v31, 0x3030, v31
	v_or_b32_e32 v75, v31, v72
.LBB140_31:                             ;   in Loop: Header=BB140_3 Depth=1
	s_andn2_saveexec_b64 s[6:7], s[6:7]
	s_or_b64 exec, exec, s[6:7]
	v_add_u32_e32 v31, s22, v33
	v_mad_u64_u32 v[94:95], s[6:7], v31, 36, v[18:19]
	v_mov_b32_e32 v31, v11
	v_lshl_add_u64 v[30:31], v[94:95], 0, v[30:31]
	global_load_dword v93, v[94:95], off
	global_load_dword v72, v[30:31], off offset:20
	global_load_dword v70, v[30:31], off offset:40
	global_load_dword v71, v[30:31], off offset:56
	global_load_dword v73, v[30:31], off offset:4
                                        ; kill: killed $vgpr30_vgpr31
	s_nop 0
	global_load_dword v30, v[94:95], off offset:36
	s_and_saveexec_b64 s[6:7], vcc
	s_xor_b64 s[6:7], exec, s[6:7]
	s_cbranch_execz .LBB140_33
; %bb.32:                               ;   in Loop: Header=BB140_3 Depth=1
	global_load_ushort v26, v[26:27], off
	v_or_b32_e32 v80, v87, v86
	s_waitcnt vmcnt(0)
	v_lshrrev_b16_e32 v26, 2, v26
	v_and_b32_e32 v26, 0x3030, v26
	v_or_b32_e32 v79, v26, v84
.LBB140_33:                             ;   in Loop: Header=BB140_3 Depth=1
	s_andn2_saveexec_b64 s[6:7], s[6:7]
	s_or_b64 exec, exec, s[6:7]
                                        ; implicit-def: $vgpr27
	s_and_saveexec_b64 s[6:7], vcc
	s_xor_b64 s[6:7], exec, s[6:7]
	s_cbranch_execz .LBB140_35
; %bb.34:                               ;   in Loop: Header=BB140_3 Depth=1
	global_load_ushort v26, v[28:29], off
	v_alignbit_b32 v27, v88, v74, 16
	v_and_b32_e32 v27, 0xf0f0f0f, v27
	s_waitcnt vmcnt(0)
	v_perm_b32 v26, v74, v26, s26
	v_pk_lshrrev_b16 v26, 2, v26 op_sel_hi:[0,1]
	v_and_or_b32 v27, v26, s31, v27
                                        ; implicit-def: $vgpr74
.LBB140_35:                             ;   in Loop: Header=BB140_3 Depth=1
	s_andn2_saveexec_b64 s[6:7], s[6:7]
	s_cbranch_execz .LBB140_2
; %bb.36:                               ;   in Loop: Header=BB140_3 Depth=1
	v_and_b32_e32 v27, 0x3f3f3f3f, v74
	s_branch .LBB140_2
.LBB140_37:                             ;   in Loop: Header=BB140_3 Depth=1
	s_andn2_saveexec_b64 s[6:7], s[6:7]
	s_cbranch_execz .LBB140_29
.LBB140_38:                             ;   in Loop: Header=BB140_3 Depth=1
	v_and_b32_e32 v92, 0x3f3f, v71
	v_and_b32_e32 v91, 0x3f3f, v70
	s_or_b64 exec, exec, s[6:7]
	s_and_saveexec_b64 s[6:7], vcc
	s_xor_b64 s[6:7], exec, s[6:7]
	s_cbranch_execnz .LBB140_30
	s_branch .LBB140_31
.LBB140_39:
	s_or_b64 exec, exec, s[12:13]
	scratch_store_dwordx4 off, v[4:7], off
	scratch_store_dwordx4 off, v[0:3], off offset:16
	scratch_store_dwordx2 off, v[24:25], off offset:32
.LBB140_40:
	s_or_b64 exec, exec, s[24:25]
	s_mov_b32 s5, 0
	v_cmp_eq_u32_e32 vcc, 0, v9
	s_waitcnt lgkmcnt(0)
	; wave barrier
	s_and_saveexec_b64 s[6:7], vcc
	s_cbranch_execz .LBB140_51
; %bb.41:
	scratch_load_dwordx2 v[2:3], off, off
	v_mbcnt_lo_u32_b32 v0, -1, 0
	v_mbcnt_hi_u32_b32 v9, -1, v0
	s_load_dwordx2 s[6:7], s[0:1], 0x38
	s_mul_i32 s0, s3, s14
	v_or_b32_e32 v1, s2, v8
	v_and_b32_e32 v0, 64, v9
	s_mul_i32 s4, s4, s18
	s_add_i32 s2, s0, s2
	v_cmp_gt_u32_e64 s[0:1], s10, v1
	v_xor_b32_e32 v1, 32, v9
	v_add_u32_e32 v14, 64, v0
	s_add_i32 s4, s2, s4
	v_cmp_lt_i32_e64 s[2:3], v1, v14
	v_cmp_gt_u32_e32 vcc, 2, v8
	s_nop 0
	v_cndmask_b32_e64 v0, v9, v1, s[2:3]
	v_lshlrev_b32_e32 v0, 2, v0
	v_xor_b32_e32 v1, 16, v9
	v_cmp_lt_i32_e64 s[2:3], v1, v14
	s_waitcnt vmcnt(0)
	ds_bpermute_b32 v4, v0, v2
	ds_bpermute_b32 v5, v0, v3
	v_cndmask_b32_e64 v1, v9, v1, s[2:3]
	v_lshlrev_b32_e32 v1, 2, v1
	s_waitcnt lgkmcnt(0)
	v_pk_add_f32 v[4:5], v[2:3], v[4:5]
	ds_bpermute_b32 v6, v1, v4
	ds_bpermute_b32 v7, v1, v5
	v_xor_b32_e32 v2, 8, v9
	v_cmp_lt_i32_e64 s[2:3], v2, v14
	v_xor_b32_e32 v3, 4, v9
	s_waitcnt lgkmcnt(0)
	v_pk_add_f32 v[4:5], v[4:5], v[6:7]
	v_cndmask_b32_e64 v2, v9, v2, s[2:3]
	v_lshlrev_b32_e32 v2, 2, v2
	ds_bpermute_b32 v6, v2, v4
	ds_bpermute_b32 v7, v2, v5
	v_cmp_lt_i32_e64 s[2:3], v3, v14
	s_waitcnt lgkmcnt(0)
	v_pk_add_f32 v[6:7], v[4:5], v[6:7]
	v_cndmask_b32_e64 v3, v9, v3, s[2:3]
	v_lshlrev_b32_e32 v3, 2, v3
	ds_bpermute_b32 v10, v3, v6
	ds_bpermute_b32 v11, v3, v7
	v_xor_b32_e32 v4, 2, v9
	v_cmp_lt_i32_e64 s[2:3], v4, v14
	v_xor_b32_e32 v5, 1, v9
	s_waitcnt lgkmcnt(0)
	v_pk_add_f32 v[10:11], v[6:7], v[10:11]
	v_cndmask_b32_e64 v4, v9, v4, s[2:3]
	v_lshlrev_b32_e32 v4, 2, v4
	ds_bpermute_b32 v12, v4, v10
	ds_bpermute_b32 v13, v4, v11
	v_cmp_lt_i32_e64 s[2:3], v5, v14
	s_waitcnt lgkmcnt(0)
	v_pk_add_f32 v[10:11], v[10:11], v[12:13]
	v_cndmask_b32_e64 v5, v9, v5, s[2:3]
	v_lshlrev_b32_e32 v6, 2, v5
	ds_bpermute_b32 v12, v6, v10
	ds_bpermute_b32 v13, v6, v11
	s_lshl_b64 s[2:3], s[4:5], 2
	s_add_u32 s2, s6, s2
	s_addc_u32 s3, s7, s3
	s_and_b64 s[0:1], vcc, s[0:1]
	s_waitcnt lgkmcnt(0)
	v_pk_add_f32 v[10:11], v[10:11], v[12:13]
	v_lshlrev_b32_e32 v5, 2, v8
	scratch_store_dwordx2 off, v[10:11], off
	s_and_saveexec_b64 s[4:5], s[0:1]
	s_cbranch_execz .LBB140_43
; %bb.42:
	scratch_load_dword v7, v5, off
	s_waitcnt vmcnt(0)
	global_store_dword v5, v7, s[2:3]
.LBB140_43:
	s_or_b64 exec, exec, s[4:5]
	scratch_load_dwordx2 v[10:11], off, off offset:8
	s_waitcnt vmcnt(0)
	ds_bpermute_b32 v12, v0, v10
	ds_bpermute_b32 v13, v0, v11
	s_waitcnt lgkmcnt(0)
	v_pk_add_f32 v[10:11], v[10:11], v[12:13]
	ds_bpermute_b32 v12, v1, v10
	ds_bpermute_b32 v13, v1, v11
	s_waitcnt lgkmcnt(0)
	v_pk_add_f32 v[10:11], v[10:11], v[12:13]
	;; [unrolled: 4-line block ×6, first 2 shown]
	scratch_store_dwordx2 off, v[10:11], off offset:8
	s_and_saveexec_b64 s[4:5], s[0:1]
	s_cbranch_execz .LBB140_45
; %bb.44:
	scratch_load_dword v7, v5, off offset:8
	v_add_u32_e32 v10, s10, v8
	v_mov_b32_e32 v11, 0
	v_lshl_add_u64 v[10:11], v[10:11], 2, s[2:3]
	s_waitcnt vmcnt(0)
	global_store_dword v[10:11], v7, off
.LBB140_45:
	s_or_b64 exec, exec, s[4:5]
	scratch_load_dwordx2 v[10:11], off, off offset:16
	s_waitcnt vmcnt(0)
	ds_bpermute_b32 v12, v0, v10
	ds_bpermute_b32 v13, v0, v11
	s_waitcnt lgkmcnt(0)
	v_pk_add_f32 v[10:11], v[10:11], v[12:13]
	ds_bpermute_b32 v12, v1, v10
	ds_bpermute_b32 v13, v1, v11
	s_waitcnt lgkmcnt(0)
	v_pk_add_f32 v[10:11], v[10:11], v[12:13]
	;; [unrolled: 4-line block ×6, first 2 shown]
	scratch_store_dwordx2 off, v[10:11], off offset:16
	s_and_saveexec_b64 s[4:5], s[0:1]
	s_cbranch_execz .LBB140_47
; %bb.46:
	scratch_load_dword v7, v5, off offset:16
	v_lshl_or_b32 v10, s10, 1, v8
	v_mov_b32_e32 v11, 0
	v_lshl_add_u64 v[10:11], v[10:11], 2, s[2:3]
	s_waitcnt vmcnt(0)
	global_store_dword v[10:11], v7, off
.LBB140_47:
	s_or_b64 exec, exec, s[4:5]
	scratch_load_dwordx2 v[10:11], off, off offset:24
	s_waitcnt vmcnt(0)
	ds_bpermute_b32 v12, v0, v10
	ds_bpermute_b32 v13, v0, v11
	s_waitcnt lgkmcnt(0)
	v_pk_add_f32 v[10:11], v[10:11], v[12:13]
	ds_bpermute_b32 v12, v1, v10
	ds_bpermute_b32 v13, v1, v11
	s_waitcnt lgkmcnt(0)
	v_pk_add_f32 v[10:11], v[10:11], v[12:13]
	;; [unrolled: 4-line block ×6, first 2 shown]
	scratch_store_dwordx2 off, v[10:11], off offset:24
	s_and_saveexec_b64 s[4:5], s[0:1]
	s_cbranch_execz .LBB140_49
; %bb.48:
	scratch_load_dword v7, v5, off offset:24
	v_mad_u64_u32 v[10:11], s[6:7], s10, 3, v[8:9]
	v_mov_b32_e32 v11, 0
	v_lshl_add_u64 v[10:11], v[10:11], 2, s[2:3]
	s_waitcnt vmcnt(0)
	global_store_dword v[10:11], v7, off
.LBB140_49:
	s_or_b64 exec, exec, s[4:5]
	scratch_load_dwordx2 v[10:11], off, off offset:32
	s_waitcnt vmcnt(0)
	ds_bpermute_b32 v12, v0, v10
	ds_bpermute_b32 v13, v0, v11
	s_waitcnt lgkmcnt(0)
	v_pk_add_f32 v[10:11], v[10:11], v[12:13]
	ds_bpermute_b32 v0, v1, v10
	ds_bpermute_b32 v1, v1, v11
	s_waitcnt lgkmcnt(0)
	v_pk_add_f32 v[0:1], v[10:11], v[0:1]
	;; [unrolled: 4-line block ×6, first 2 shown]
	scratch_store_dwordx2 off, v[0:1], off offset:32
	s_and_b64 exec, exec, s[0:1]
	s_cbranch_execz .LBB140_51
; %bb.50:
	scratch_load_dword v2, v5, off offset:32
	v_lshl_or_b32 v0, s10, 2, v8
	v_mov_b32_e32 v1, 0
	v_lshl_add_u64 v[0:1], v[0:1], 2, s[2:3]
	s_waitcnt vmcnt(0)
	global_store_dword v[0:1], v2, off
.LBB140_51:
	s_endpgm
	.section	.rodata,"a",@progbits
	.p2align	6, 0x0
	.amdhsa_kernel _ZL13mul_mat_vec_qIL9ggml_type13ELi5ELb0ELb0EEvPKvS2_PKi31ggml_cuda_mm_fusion_args_devicePfj15HIP_vector_typeIjLj3EEjjjS8_jjjS8_jjjj
		.amdhsa_group_segment_fixed_size 0
		.amdhsa_private_segment_fixed_size 48
		.amdhsa_kernarg_size 144
		.amdhsa_user_sgpr_count 2
		.amdhsa_user_sgpr_dispatch_ptr 0
		.amdhsa_user_sgpr_queue_ptr 0
		.amdhsa_user_sgpr_kernarg_segment_ptr 1
		.amdhsa_user_sgpr_dispatch_id 0
		.amdhsa_user_sgpr_kernarg_preload_length 0
		.amdhsa_user_sgpr_kernarg_preload_offset 0
		.amdhsa_user_sgpr_private_segment_size 0
		.amdhsa_uses_dynamic_stack 0
		.amdhsa_enable_private_segment 1
		.amdhsa_system_sgpr_workgroup_id_x 1
		.amdhsa_system_sgpr_workgroup_id_y 1
		.amdhsa_system_sgpr_workgroup_id_z 1
		.amdhsa_system_sgpr_workgroup_info 0
		.amdhsa_system_vgpr_workitem_id 1
		.amdhsa_next_free_vgpr 98
		.amdhsa_next_free_sgpr 35
		.amdhsa_accum_offset 100
		.amdhsa_reserve_vcc 1
		.amdhsa_float_round_mode_32 0
		.amdhsa_float_round_mode_16_64 0
		.amdhsa_float_denorm_mode_32 3
		.amdhsa_float_denorm_mode_16_64 3
		.amdhsa_dx10_clamp 1
		.amdhsa_ieee_mode 1
		.amdhsa_fp16_overflow 0
		.amdhsa_tg_split 0
		.amdhsa_exception_fp_ieee_invalid_op 0
		.amdhsa_exception_fp_denorm_src 0
		.amdhsa_exception_fp_ieee_div_zero 0
		.amdhsa_exception_fp_ieee_overflow 0
		.amdhsa_exception_fp_ieee_underflow 0
		.amdhsa_exception_fp_ieee_inexact 0
		.amdhsa_exception_int_div_zero 0
	.end_amdhsa_kernel
	.section	.text._ZL13mul_mat_vec_qIL9ggml_type13ELi5ELb0ELb0EEvPKvS2_PKi31ggml_cuda_mm_fusion_args_devicePfj15HIP_vector_typeIjLj3EEjjjS8_jjjS8_jjjj,"axG",@progbits,_ZL13mul_mat_vec_qIL9ggml_type13ELi5ELb0ELb0EEvPKvS2_PKi31ggml_cuda_mm_fusion_args_devicePfj15HIP_vector_typeIjLj3EEjjjS8_jjjS8_jjjj,comdat
.Lfunc_end140:
	.size	_ZL13mul_mat_vec_qIL9ggml_type13ELi5ELb0ELb0EEvPKvS2_PKi31ggml_cuda_mm_fusion_args_devicePfj15HIP_vector_typeIjLj3EEjjjS8_jjjS8_jjjj, .Lfunc_end140-_ZL13mul_mat_vec_qIL9ggml_type13ELi5ELb0ELb0EEvPKvS2_PKi31ggml_cuda_mm_fusion_args_devicePfj15HIP_vector_typeIjLj3EEjjjS8_jjjS8_jjjj
                                        ; -- End function
	.section	.AMDGPU.csdata,"",@progbits
; Kernel info:
; codeLenInByte = 5392
; NumSgprs: 41
; NumVgprs: 98
; NumAgprs: 0
; TotalNumVgprs: 98
; ScratchSize: 48
; MemoryBound: 0
; FloatMode: 240
; IeeeMode: 1
; LDSByteSize: 0 bytes/workgroup (compile time only)
; SGPRBlocks: 5
; VGPRBlocks: 12
; NumSGPRsForWavesPerEU: 41
; NumVGPRsForWavesPerEU: 98
; AccumOffset: 100
; Occupancy: 4
; WaveLimiterHint : 0
; COMPUTE_PGM_RSRC2:SCRATCH_EN: 1
; COMPUTE_PGM_RSRC2:USER_SGPR: 2
; COMPUTE_PGM_RSRC2:TRAP_HANDLER: 0
; COMPUTE_PGM_RSRC2:TGID_X_EN: 1
; COMPUTE_PGM_RSRC2:TGID_Y_EN: 1
; COMPUTE_PGM_RSRC2:TGID_Z_EN: 1
; COMPUTE_PGM_RSRC2:TIDIG_COMP_CNT: 1
; COMPUTE_PGM_RSRC3_GFX90A:ACCUM_OFFSET: 24
; COMPUTE_PGM_RSRC3_GFX90A:TG_SPLIT: 0
	.section	.text._ZL13mul_mat_vec_qIL9ggml_type13ELi6ELb0ELb0EEvPKvS2_PKi31ggml_cuda_mm_fusion_args_devicePfj15HIP_vector_typeIjLj3EEjjjS8_jjjS8_jjjj,"axG",@progbits,_ZL13mul_mat_vec_qIL9ggml_type13ELi6ELb0ELb0EEvPKvS2_PKi31ggml_cuda_mm_fusion_args_devicePfj15HIP_vector_typeIjLj3EEjjjS8_jjjS8_jjjj,comdat
	.globl	_ZL13mul_mat_vec_qIL9ggml_type13ELi6ELb0ELb0EEvPKvS2_PKi31ggml_cuda_mm_fusion_args_devicePfj15HIP_vector_typeIjLj3EEjjjS8_jjjS8_jjjj ; -- Begin function _ZL13mul_mat_vec_qIL9ggml_type13ELi6ELb0ELb0EEvPKvS2_PKi31ggml_cuda_mm_fusion_args_devicePfj15HIP_vector_typeIjLj3EEjjjS8_jjjS8_jjjj
	.p2align	8
	.type	_ZL13mul_mat_vec_qIL9ggml_type13ELi6ELb0ELb0EEvPKvS2_PKi31ggml_cuda_mm_fusion_args_devicePfj15HIP_vector_typeIjLj3EEjjjS8_jjjS8_jjjj,@function
_ZL13mul_mat_vec_qIL9ggml_type13ELi6ELb0ELb0EEvPKvS2_PKi31ggml_cuda_mm_fusion_args_devicePfj15HIP_vector_typeIjLj3EEjjjS8_jjjS8_jjjj: ; @_ZL13mul_mat_vec_qIL9ggml_type13ELi6ELb0ELb0EEvPKvS2_PKi31ggml_cuda_mm_fusion_args_devicePfj15HIP_vector_typeIjLj3EEjjjS8_jjjS8_jjjj
; %bb.0:
	v_bfe_u32 v13, v0, 10, 10
	v_and_b32_e32 v12, 0x3ff, v0
	s_mov_b32 s20, 0
	s_load_dword s5, s[0:1], 0x40
	s_load_dwordx4 s[8:11], s[0:1], 0x50
	s_load_dword s7, s[0:1], 0x60
	s_load_dwordx4 s[12:15], s[0:1], 0x68
	;; [unrolled: 2-line block ×3, first 2 shown]
	v_lshl_or_b32 v4, v13, 6, v12
	s_mov_b32 s21, s20
	s_waitcnt lgkmcnt(0)
	s_lshr_b32 s5, s5, 8
	s_mov_b32 s22, s20
	s_mov_b32 s23, s20
	v_mov_b64_e32 v[0:1], s[20:21]
	v_lshrrev_b32_e32 v19, 4, v4
	s_lshl_b32 s2, s2, 1
	v_mov_b64_e32 v[2:3], s[22:23]
	v_cmp_gt_u32_e32 vcc, s5, v19
	scratch_store_dwordx4 off, v[0:3], off offset:32
	scratch_store_dwordx4 off, v[0:3], off offset:16
	scratch_store_dwordx4 off, v[0:3], off
	s_and_saveexec_b64 s[24:25], vcc
	s_cbranch_execz .LBB141_48
; %bb.1:
	s_mul_hi_u32 s11, s11, s3
	s_add_i32 s11, s3, s11
	s_lshr_b32 s7, s11, s7
	s_load_dwordx4 s[20:23], s[0:1], 0x0
	s_mul_i32 s11, s7, s12
	s_mul_hi_u32 s7, s15, s4
	s_add_i32 s7, s4, s7
	s_lshr_b32 s6, s7, s6
	s_mul_i32 s15, s6, s16
	s_mul_i32 s6, s4, s17
	s_mul_hi_u32 s7, s6, 36
	s_mul_i32 s6, s6, 36
	s_waitcnt lgkmcnt(0)
	s_add_u32 s6, s22, s6
	s_mul_i32 s12, s3, s13
	s_addc_u32 s7, s23, s7
	s_mul_hi_u32 s13, s12, 36
	s_mul_i32 s12, s12, 36
	v_lshlrev_b32_e32 v0, 1, v12
	s_add_u32 s6, s6, s12
	v_and_b32_e32 v1, 30, v0
	v_bfe_u32 v0, v0, 3, 2
	s_addc_u32 s7, s7, s13
	v_lshlrev_b32_e32 v34, 1, v0
	v_cmp_lt_u32_e32 vcc, 15, v1
	v_mad_u64_u32 v[22:23], s[12:13], v34, 36, s[6:7]
	v_lshl_add_u32 v1, v13, 6, v12
	v_bfe_u32 v2, v12, 2, 2
	v_lshrrev_b32_e32 v1, 4, v1
	v_mul_hi_u32_u24_e32 v3, 0x48, v2
	v_mul_u32_u24_e32 v2, 0x48, v2
	s_movk_i32 s12, 0x120
	v_mad_u64_u32 v[2:3], s[12:13], v1, s12, v[2:3]
	v_lshl_add_u64 v[2:3], s[6:7], 0, v[2:3]
	s_add_i32 s7, s2, 1
	v_mov_b32_e32 v17, 0
	v_and_b32_e32 v18, 3, v12
	s_mul_i32 s16, s2, s8
	s_add_i32 s6, s15, s11
	s_mul_i32 s7, s8, s7
	v_lshlrev_b32_e32 v14, 5, v0
	v_mov_b32_e32 v15, v17
	v_lshlrev_b32_e32 v20, 2, v18
	v_mov_b32_e32 v21, v17
	v_lshl_add_u64 v[24:25], v[2:3], 0, 36
	s_add_i32 s11, s6, s16
	s_lshl_b32 s15, s9, 1
	v_lshlrev_b32_e32 v35, 3, v19
	s_mul_i32 s19, s9, 3
	s_lshl_b32 s22, s9, 2
	s_mul_i32 s23, s9, 5
	s_add_i32 s8, s6, s7
	s_mov_b64 s[12:13], 0
	s_movk_i32 s26, 0xb0
	v_mov_b64_e32 v[26:27], s[20:21]
	v_lshlrev_b32_e32 v16, 1, v0
	s_mov_b32 s27, 0x5040100
	s_mov_b32 s28, 0x20004
	;; [unrolled: 1-line block ×3, first 2 shown]
	s_movk_i32 s30, 0xf0f
	s_movk_i32 s31, 0x3f3f
	s_mov_b32 s33, 0x30303030
	s_mov_b32 s34, 0x10101010
	s_mov_b32 s35, 0xffff
	s_mov_b64 s[16:17], 0x480
	v_mov_b32_e32 v0, v17
	v_mov_b32_e32 v3, v17
	v_mov_b32_e32 v2, v17
	v_mov_b32_e32 v1, v17
	v_mov_b32_e32 v8, v17
	v_mov_b32_e32 v9, v17
	v_mov_b32_e32 v10, v17
	v_mov_b32_e32 v11, v17
	v_mov_b32_e32 v4, v17
	v_mov_b32_e32 v5, v17
	v_mov_b32_e32 v6, v17
	v_mov_b32_e32 v7, v17
	s_branch .LBB141_3
.LBB141_2:                              ;   in Loop: Header=BB141_3 Depth=1
	s_or_b64 exec, exec, s[6:7]
	s_waitcnt vmcnt(36)
	v_ashrrev_i32_e32 v33, v34, v68
	v_ashrrev_i32_e32 v67, v34, v67
	v_and_b32_e32 v91, 0xf0f0f0f, v61
	v_lshlrev_b32_e32 v93, 4, v33
	v_and_b32_e32 v68, 0xf0f0f0f, v63
	v_lshlrev_b32_e32 v92, 4, v67
	v_and_or_b32 v91, v93, s34, v91
	v_mov_b32_e32 v93, v17
	v_and_or_b32 v68, v92, s34, v68
	v_lshrrev_b32_e32 v61, 4, v61
	s_waitcnt vmcnt(4)
	v_dot4c_i32_i8_e32 v93, v91, v76
	v_mov_b32_e32 v31, v17
	v_lshrrev_b32_e32 v63, 4, v63
	v_and_b32_e32 v61, 0xf0f0f0f, v61
	v_lshlrev_b32_e32 v33, 3, v33
	v_lshrrev_b16_e32 v92, 8, v85
	s_waitcnt vmcnt(1)
	v_dot4c_i32_i8_e32 v93, v68, v77
	v_and_b32_sdwa v85, s35, v85 dst_sel:DWORD dst_unused:UNUSED_PAD src0_sel:DWORD src1_sel:BYTE_0
	v_dot4c_i32_i8_e32 v31, 0x1010101, v76
	v_mov_b32_e32 v78, v17
	v_and_b32_e32 v63, 0xf0f0f0f, v63
	v_lshlrev_b32_e32 v67, 3, v67
	v_and_or_b32 v61, v33, s34, v61
	v_mul_lo_u32 v85, v93, v85
	v_mov_b32_e32 v93, v17
	v_dot4c_i32_i8_e32 v31, 0x1010101, v77
	v_dot4c_i32_i8_e32 v78, 0x1010101, v75
	v_and_or_b32 v63, v67, s34, v63
	v_lshrrev_b16_e32 v33, 8, v86
	v_and_b32_sdwa v86, s35, v86 dst_sel:DWORD dst_unused:UNUSED_PAD src0_sel:DWORD src1_sel:BYTE_0
	v_dot4c_i32_i8_e32 v93, v61, v75
	v_dot4c_i32_i8_e32 v78, 0x1010101, v74
	v_mul_lo_u32 v86, v31, v86
	v_dot4c_i32_i8_e32 v93, v63, v74
	v_cvt_f32_i32_e32 v85, v85
	v_cvt_f32_i32_e32 v86, v86
	v_mul_lo_u32 v33, v78, v33
	v_mul_lo_u32 v92, v93, v92
	v_cvt_f32_i32_e32 v92, v92
	v_cvt_f32_i32_e32 v33, v33
	v_cvt_f32_f16_sdwa v67, v42 dst_sel:DWORD dst_unused:UNUSED_PAD src0_sel:WORD_1
	v_fma_mix_f32 v85, v103, v85, 0 op_sel_hi:[1,0,0]
	v_fma_mix_f32 v86, v103, v86, 0 op_sel_hi:[1,0,0]
	s_waitcnt vmcnt(0)
	v_cvt_f32_f16_e32 v28, v32
	v_fma_mix_f32 v85, v32, v92, v85 op_sel_hi:[1,0,0]
	v_fma_mix_f32 v32, v32, v33, v86 op_sel_hi:[1,0,0]
	v_ashrrev_i32_e32 v33, v34, v70
	v_mul_f32_e32 v32, v32, v67
	v_fma_mix_f32 v32, v85, v42, -v32 op_sel_hi:[0,1,0]
	v_add_f32_e32 v2, v2, v32
	v_ashrrev_i32_e32 v32, v34, v71
	v_and_b32_e32 v71, 0xf0f0f0f, v66
	v_lshlrev_b32_e32 v93, 4, v32
	v_mov_b32_e32 v85, v17
	v_and_b32_e32 v70, 0xf0f0f0f, v69
	v_lshlrev_b32_e32 v92, 4, v33
	v_and_or_b32 v71, v93, s34, v71
	v_mov_b32_e32 v94, v17
	v_dot4c_i32_i8_e32 v85, 0x1010101, v101
	v_mov_b32_e32 v86, v17
	v_and_or_b32 v70, v92, s34, v70
	v_lshrrev_b32_e32 v66, 4, v66
	v_dot4c_i32_i8_e32 v94, v71, v101
	v_dot4c_i32_i8_e32 v85, 0x1010101, v102
	;; [unrolled: 1-line block ×3, first 2 shown]
	v_lshrrev_b32_e32 v69, 4, v69
	v_and_b32_e32 v66, 0xf0f0f0f, v66
	v_lshlrev_b32_e32 v32, 3, v32
	v_lshrrev_b16_e32 v92, 8, v84
	v_lshrrev_b16_e32 v93, 8, v82
	v_dot4c_i32_i8_e32 v94, v70, v102
	v_and_b32_sdwa v82, s35, v82 dst_sel:DWORD dst_unused:UNUSED_PAD src0_sel:DWORD src1_sel:BYTE_0
	v_and_b32_sdwa v84, s35, v84 dst_sel:DWORD dst_unused:UNUSED_PAD src0_sel:DWORD src1_sel:BYTE_0
	v_dot4c_i32_i8_e32 v86, 0x1010101, v99
	v_and_b32_e32 v69, 0xf0f0f0f, v69
	v_lshlrev_b32_e32 v33, 3, v33
	v_and_or_b32 v66, v32, s34, v66
	v_mul_lo_u32 v82, v94, v82
	v_mul_lo_u32 v84, v85, v84
	v_mov_b32_e32 v94, v17
	v_and_or_b32 v69, v33, s34, v69
	v_cvt_f32_i32_e32 v84, v84
	v_dot4c_i32_i8_e32 v94, v66, v100
	v_mul_lo_u32 v92, v86, v92
	v_dot4c_i32_i8_e32 v94, v69, v99
	v_cvt_f32_i32_e32 v92, v92
	v_cvt_f32_i32_e32 v82, v82
	v_cvt_f32_f16_sdwa v33, v45 dst_sel:DWORD dst_unused:UNUSED_PAD src0_sel:WORD_1
	v_mul_lo_u32 v93, v94, v93
	v_cvt_f32_i32_e32 v93, v93
	v_fma_mix_f32 v84, v97, v84, 0 op_sel_hi:[1,0,0]
	v_fma_mix_f32 v82, v97, v82, 0 op_sel_hi:[1,0,0]
	;; [unrolled: 1-line block ×3, first 2 shown]
	v_mov_b32_e32 v92, v17
	v_dot4c_i32_i8_e32 v92, v91, v101
	v_fma_mix_f32 v82, v98, v93, v82 op_sel_hi:[1,0,0]
	v_dot4c_i32_i8_e32 v92, v68, v102
	v_and_b32_sdwa v93, s35, v105 dst_sel:DWORD dst_unused:UNUSED_PAD src0_sel:DWORD src1_sel:BYTE_0
	v_mul_f32_e32 v84, v84, v33
	v_fma_mix_f32 v82, v82, v45, -v84 op_sel_hi:[0,1,0]
	v_mul_lo_u32 v92, v92, v93
	v_and_b32_sdwa v93, s35, v104 dst_sel:DWORD dst_unused:UNUSED_PAD src0_sel:DWORD src1_sel:BYTE_0
	v_mul_lo_u32 v85, v85, v93
	v_mov_b32_e32 v93, v17
	v_add_f32_e32 v1, v1, v82
	v_lshrrev_b16_e32 v82, 8, v104
	v_dot4c_i32_i8_e32 v93, v61, v100
	v_lshrrev_b16_e32 v84, 8, v105
	v_cvt_f32_i32_e32 v85, v85
	v_dot4c_i32_i8_e32 v93, v63, v99
	v_mul_lo_u32 v82, v86, v82
	v_cvt_f32_i32_e32 v92, v92
	v_cvt_f32_i32_e32 v82, v82
	v_mul_lo_u32 v84, v93, v84
	v_cvt_f32_i32_e32 v84, v84
	v_fma_mix_f32 v85, v97, v85, 0 op_sel_hi:[1,0,0]
	v_fma_mix_f32 v86, v97, v92, 0 op_sel_hi:[1,0,0]
	;; [unrolled: 1-line block ×4, first 2 shown]
	v_mul_f32_e32 v82, v82, v67
	v_fma_mix_f32 v82, v84, v42, -v82 op_sel_hi:[0,1,0]
	v_mov_b32_e32 v92, v17
	v_add_f32_e32 v0, v0, v82
	v_mov_b32_e32 v82, v17
	v_dot4c_i32_i8_e32 v92, v71, v87
	v_mov_b32_e32 v94, v17
	v_dot4c_i32_i8_e32 v82, 0x1010101, v87
	;; [unrolled: 2-line block ×3, first 2 shown]
	v_and_b32_sdwa v93, s35, v96 dst_sel:DWORD dst_unused:UNUSED_PAD src0_sel:DWORD src1_sel:BYTE_0
	v_dot4c_i32_i8_e32 v94, v66, v83
	v_dot4c_i32_i8_e32 v82, 0x1010101, v88
	;; [unrolled: 1-line block ×3, first 2 shown]
	v_lshrrev_b16_e32 v86, 8, v96
	v_mul_lo_u32 v92, v92, v93
	v_and_b32_sdwa v93, s35, v95 dst_sel:DWORD dst_unused:UNUSED_PAD src0_sel:DWORD src1_sel:BYTE_0
	v_dot4c_i32_i8_e32 v94, v69, v81
	v_dot4c_i32_i8_e32 v84, 0x1010101, v81
	v_lshrrev_b16_e32 v85, 8, v95
	v_cvt_f32_i32_e32 v92, v92
	v_mul_lo_u32 v93, v82, v93
	v_mul_lo_u32 v86, v94, v86
	v_cvt_f32_i32_e32 v93, v93
	v_cvt_f32_i32_e32 v86, v86
	v_mul_lo_u32 v85, v84, v85
	v_cvt_f32_i32_e32 v85, v85
	v_fma_mix_f32 v92, v79, v92, 0 op_sel_hi:[1,0,0]
	v_fma_mix_f32 v93, v79, v93, 0 op_sel_hi:[1,0,0]
	;; [unrolled: 1-line block ×3, first 2 shown]
	v_mov_b32_e32 v92, v17
	v_fma_mix_f32 v85, v80, v85, v93 op_sel_hi:[1,0,0]
	v_dot4c_i32_i8_e32 v92, v91, v87
	v_mul_f32_e32 v85, v85, v33
	v_dot4c_i32_i8_e32 v92, v68, v88
	v_and_b32_sdwa v88, s35, v89 dst_sel:DWORD dst_unused:UNUSED_PAD src0_sel:DWORD src1_sel:BYTE_0
	v_fma_mix_f32 v85, v86, v45, -v85 op_sel_hi:[0,1,0]
	v_and_b32_sdwa v87, s35, v90 dst_sel:DWORD dst_unused:UNUSED_PAD src0_sel:DWORD src1_sel:BYTE_0
	v_mul_lo_u32 v82, v82, v88
	v_mov_b32_e32 v88, v17
	v_add_f32_e32 v7, v7, v85
	v_lshrrev_b16_e32 v85, 8, v89
	v_mul_lo_u32 v87, v92, v87
	v_dot4c_i32_i8_e32 v88, v61, v83
	v_lshrrev_b16_e32 v86, 8, v90
	v_cvt_f32_i32_e32 v87, v87
	v_cvt_f32_i32_e32 v82, v82
	v_dot4c_i32_i8_e32 v88, v63, v81
	v_mul_lo_u32 v83, v84, v85
	v_cvt_f32_i32_e32 v83, v83
	v_fma_mix_f32 v84, v79, v87, 0 op_sel_hi:[1,0,0]
	v_mul_lo_u32 v81, v88, v86
	v_cvt_f32_i32_e32 v81, v81
	v_fma_mix_f32 v79, v79, v82, 0 op_sel_hi:[1,0,0]
	v_lshrrev_b16_e32 v82, 8, v73
	v_fma_mix_f32 v79, v80, v83, v79 op_sel_hi:[1,0,0]
	v_fma_mix_f32 v81, v80, v81, v84 op_sel_hi:[1,0,0]
	v_mul_f32_e32 v79, v79, v67
	v_fma_mix_f32 v79, v81, v42, -v79 op_sel_hi:[0,1,0]
	v_mov_b32_e32 v83, v17
	v_add_f32_e32 v6, v6, v79
	v_mov_b32_e32 v79, v17
	v_dot4c_i32_i8_e32 v83, v71, v60
	v_dot4c_i32_i8_e32 v79, 0x1010101, v60
	v_mov_b32_e32 v80, v17
	v_dot4c_i32_i8_e32 v83, v70, v62
	v_and_b32_sdwa v73, s35, v73 dst_sel:DWORD dst_unused:UNUSED_PAD src0_sel:DWORD src1_sel:BYTE_0
	v_dot4c_i32_i8_e32 v79, 0x1010101, v62
	v_dot4c_i32_i8_e32 v80, 0x1010101, v59
	v_lshrrev_b16_e32 v81, 8, v72
	v_mul_lo_u32 v73, v83, v73
	v_and_b32_sdwa v72, s35, v72 dst_sel:DWORD dst_unused:UNUSED_PAD src0_sel:DWORD src1_sel:BYTE_0
	v_mov_b32_e32 v83, v17
	v_dot4c_i32_i8_e32 v80, 0x1010101, v58
	v_mul_lo_u32 v72, v79, v72
	v_dot4c_i32_i8_e32 v83, v66, v59
	v_cvt_f32_i32_e32 v72, v72
	v_dot4c_i32_i8_e32 v83, v69, v58
	v_mul_lo_u32 v81, v80, v81
	v_cvt_f32_i32_e32 v73, v73
	v_cvt_f32_i32_e32 v81, v81
	v_mul_lo_u32 v82, v83, v82
	v_cvt_f32_i32_e32 v82, v82
	v_fma_mix_f32 v72, v56, v72, 0 op_sel_hi:[1,0,0]
	v_fma_mix_f32 v73, v56, v73, 0 op_sel_hi:[1,0,0]
	;; [unrolled: 1-line block ×4, first 2 shown]
	v_mul_f32_e32 v72, v72, v33
	v_mov_b32_e32 v81, v17
	v_fma_mix_f32 v72, v73, v45, -v72 op_sel_hi:[0,1,0]
	v_dot4c_i32_i8_e32 v81, v91, v60
	v_add_f32_e32 v5, v5, v72
	v_lshrrev_b16_e32 v72, 8, v64
	v_dot4c_i32_i8_e32 v81, v68, v62
	v_and_b32_sdwa v60, s35, v65 dst_sel:DWORD dst_unused:UNUSED_PAD src0_sel:DWORD src1_sel:BYTE_0
	v_and_b32_sdwa v62, s35, v64 dst_sel:DWORD dst_unused:UNUSED_PAD src0_sel:DWORD src1_sel:BYTE_0
	v_mov_b32_e32 v64, v17
	v_mul_lo_u32 v60, v81, v60
	v_mul_lo_u32 v62, v79, v62
	v_dot4c_i32_i8_e32 v64, v61, v59
	v_lshrrev_b16_e32 v73, 8, v65
	v_cvt_f32_i32_e32 v60, v60
	v_cvt_f32_i32_e32 v62, v62
	v_dot4c_i32_i8_e32 v64, v63, v58
	v_mul_lo_u32 v59, v80, v72
	v_cvt_f32_i32_e32 v59, v59
	v_fma_mix_f32 v60, v56, v60, 0 op_sel_hi:[1,0,0]
	v_mul_lo_u32 v58, v64, v73
	v_cvt_f32_i32_e32 v58, v58
	v_fma_mix_f32 v56, v56, v62, 0 op_sel_hi:[1,0,0]
	v_cvt_f32_f16_e32 v32, v45
	v_fma_mix_f32 v56, v57, v59, v56 op_sel_hi:[1,0,0]
	v_fma_mix_f32 v58, v57, v58, v60 op_sel_hi:[1,0,0]
	v_mul_f32_e32 v56, v56, v67
	v_fma_mix_f32 v56, v58, v42, -v56 op_sel_hi:[0,1,0]
	v_mov_b32_e32 v60, v17
	v_add_f32_e32 v4, v4, v56
	v_mov_b32_e32 v56, v17
	v_dot4c_i32_i8_e32 v60, v71, v50
	v_dot4c_i32_i8_e32 v56, 0x1010101, v50
	v_mov_b32_e32 v57, v17
	v_lshrrev_b16_e32 v59, 8, v55
	v_dot4c_i32_i8_e32 v60, v70, v51
	v_and_b32_sdwa v55, s35, v55 dst_sel:DWORD dst_unused:UNUSED_PAD src0_sel:DWORD src1_sel:BYTE_0
	v_dot4c_i32_i8_e32 v56, 0x1010101, v51
	v_dot4c_i32_i8_e32 v57, 0x1010101, v49
	v_lshrrev_b16_e32 v58, 8, v54
	v_mul_lo_u32 v55, v60, v55
	v_and_b32_sdwa v54, s35, v54 dst_sel:DWORD dst_unused:UNUSED_PAD src0_sel:DWORD src1_sel:BYTE_0
	v_mov_b32_e32 v60, v17
	v_dot4c_i32_i8_e32 v57, 0x1010101, v48
	v_mul_lo_u32 v54, v56, v54
	v_dot4c_i32_i8_e32 v60, v66, v49
	v_cvt_f32_i32_e32 v54, v54
	v_dot4c_i32_i8_e32 v60, v69, v48
	v_mul_lo_u32 v58, v57, v58
	v_cvt_f32_i32_e32 v55, v55
	v_cvt_f32_i32_e32 v58, v58
	v_mul_lo_u32 v59, v60, v59
	v_cvt_f32_i32_e32 v59, v59
	v_fma_mix_f32 v54, v46, v54, 0 op_sel_hi:[1,0,0]
	v_fma_mix_f32 v55, v46, v55, 0 op_sel_hi:[1,0,0]
	v_fma_mix_f32 v54, v47, v58, v54 op_sel_hi:[1,0,0]
	v_fma_mix_f32 v55, v47, v59, v55 op_sel_hi:[1,0,0]
	v_mul_f32_e32 v54, v54, v33
	v_mov_b32_e32 v58, v17
	v_fma_mix_f32 v54, v55, v45, -v54 op_sel_hi:[0,1,0]
	v_dot4c_i32_i8_e32 v58, v91, v50
	v_add_f32_e32 v11, v11, v54
	v_lshrrev_b16_e32 v54, 8, v52
	v_dot4c_i32_i8_e32 v58, v68, v51
	v_and_b32_sdwa v50, s35, v53 dst_sel:DWORD dst_unused:UNUSED_PAD src0_sel:DWORD src1_sel:BYTE_0
	v_and_b32_sdwa v51, s35, v52 dst_sel:DWORD dst_unused:UNUSED_PAD src0_sel:DWORD src1_sel:BYTE_0
	v_mov_b32_e32 v52, v17
	v_mul_lo_u32 v50, v58, v50
	v_mul_lo_u32 v51, v56, v51
	v_dot4c_i32_i8_e32 v52, v61, v49
	v_lshrrev_b16_e32 v55, 8, v53
	v_cvt_f32_i32_e32 v50, v50
	v_cvt_f32_i32_e32 v51, v51
	v_dot4c_i32_i8_e32 v52, v63, v48
	v_mul_lo_u32 v49, v57, v54
	v_cvt_f32_i32_e32 v49, v49
	v_fma_mix_f32 v50, v46, v50, 0 op_sel_hi:[1,0,0]
	v_mul_lo_u32 v48, v52, v55
	v_cvt_f32_i32_e32 v48, v48
	v_fma_mix_f32 v46, v46, v51, 0 op_sel_hi:[1,0,0]
	v_bfe_u32 v51, v44, 16, 8
	v_fma_mix_f32 v46, v47, v49, v46 op_sel_hi:[1,0,0]
	v_fma_mix_f32 v48, v47, v48, v50 op_sel_hi:[1,0,0]
	v_mul_f32_e32 v46, v46, v67
	v_fma_mix_f32 v46, v48, v42, -v46 op_sel_hi:[0,1,0]
	v_mov_b32_e32 v50, v17
	v_add_f32_e32 v10, v10, v46
	v_mov_b32_e32 v46, v17
	v_dot4c_i32_i8_e32 v50, v71, v41
	v_dot4c_i32_i8_e32 v46, 0x1010101, v41
	v_mov_b32_e32 v47, v17
	v_dot4c_i32_i8_e32 v50, v70, v40
	v_dot4c_i32_i8_e32 v46, 0x1010101, v40
	;; [unrolled: 1-line block ×3, first 2 shown]
	v_lshrrev_b16_e32 v48, 8, v44
	v_lshrrev_b32_e32 v49, 24, v44
	v_mul_lo_u32 v50, v50, v51
	v_and_b32_e32 v44, 0xff, v44
	v_mov_b32_e32 v51, v17
	v_dot4c_i32_i8_e32 v47, 0x1010101, v38
	v_mul_lo_u32 v44, v46, v44
	v_dot4c_i32_i8_e32 v51, v66, v39
	v_cvt_f32_i32_e32 v44, v44
	v_dot4c_i32_i8_e32 v51, v69, v38
	v_mul_lo_u32 v48, v47, v48
	v_cvt_f32_i32_e32 v50, v50
	v_cvt_f32_i32_e32 v48, v48
	v_mul_lo_u32 v49, v51, v49
	v_cvt_f32_i32_e32 v49, v49
	v_fma_mix_f32 v44, v36, v44, 0 op_sel_hi:[1,0,0]
	v_fma_mix_f32 v50, v36, v50, 0 op_sel_hi:[1,0,0]
	;; [unrolled: 1-line block ×4, first 2 shown]
	v_mul_f32_e32 v44, v44, v33
	v_mov_b32_e32 v48, v17
	v_fma_mix_f32 v44, v49, v45, -v44 op_sel_hi:[0,1,0]
	v_dot4c_i32_i8_e32 v48, v91, v41
	v_add_f32_e32 v9, v9, v44
	v_lshrrev_b16_e32 v44, 8, v43
	v_lshrrev_b32_e32 v45, 24, v43
	v_dot4c_i32_i8_e32 v48, v68, v40
	v_bfe_u32 v40, v43, 16, 8
	v_and_b32_e32 v41, 0xff, v43
	v_mov_b32_e32 v43, v17
	v_dot4c_i32_i8_e32 v43, v61, v39
	v_mul_lo_u32 v40, v48, v40
	v_mul_lo_u32 v41, v46, v41
	v_dot4c_i32_i8_e32 v43, v63, v38
	v_cvt_f32_i32_e32 v40, v40
	v_cvt_f32_i32_e32 v41, v41
	v_mul_lo_u32 v39, v47, v44
	v_mul_lo_u32 v38, v43, v45
	v_cvt_f32_i32_e32 v38, v38
	v_cvt_f32_i32_e32 v39, v39
	v_fma_mix_f32 v40, v36, v40, 0 op_sel_hi:[1,0,0]
	v_fma_mix_f32 v36, v36, v41, 0 op_sel_hi:[1,0,0]
	;; [unrolled: 1-line block ×4, first 2 shown]
	v_mov_b32_e32 v37, v17
	v_mul_f32_e32 v41, v36, v67
	v_pk_lshrrev_b16 v36, 8, v29 op_sel_hi:[0,1]
	v_dot4c_i32_i8_e32 v37, v71, v76
	v_and_b32_e32 v29, 0xff00ff, v29
	v_mov_b32_e32 v38, v17
	v_dot4c_i32_i8_e32 v37, v70, v77
	v_dot4c_i32_i8_e32 v38, v66, v75
	v_lshrrev_b32_e32 v39, 16, v36
	v_and_b32_e32 v43, 0xff, v36
	v_lshrrev_b32_e32 v36, 16, v29
	v_and_b32_e32 v29, 0xff, v29
	v_dot4c_i32_i8_e32 v38, v69, v74
	v_mul_lo_u32 v29, v37, v29
	v_mul_lo_u32 v31, v31, v36
	v_cvt_f32_f16_e32 v30, v103
	v_cvt_f32_i32_e32 v36, v29
	v_cvt_f32_i32_e32 v37, v31
	v_mul_lo_u32 v29, v38, v43
	v_mul_lo_u32 v31, v78, v39
	v_cvt_f32_i32_e32 v38, v29
	v_cvt_f32_i32_e32 v39, v31
	v_fma_mix_f32 v29, v40, v42, -v41 op_sel_hi:[0,1,0]
	v_pk_fma_f32 v[30:31], v[30:31], v[36:37], 0 op_sel_hi:[0,1,0]
	v_add_f32_e32 v8, v8, v29
	v_pk_fma_f32 v[28:29], v[28:29], v[38:39], v[30:31] op_sel_hi:[0,1,1]
	v_pk_mul_f32 v[28:29], v[28:29], v[32:33]
	v_add_u32_e32 v19, 4, v19
	v_sub_f32_e32 v28, v28, v29
	v_cmp_le_u32_e64 s[6:7], s5, v19
	v_add_f32_e32 v3, v3, v28
	v_lshl_add_u64 v[24:25], v[24:25], 0, s[16:17]
	s_or_b64 s[12:13], s[6:7], s[12:13]
	v_add_u32_e32 v35, 32, v35
	s_andn2_b64 exec, exec, s[12:13]
	s_cbranch_execz .LBB141_47
.LBB141_3:                              ; =>This Inner Loop Header: Depth=1
	v_lshl_add_u64 v[28:29], v[24:25], 0, v[20:21]
	global_load_dword v36, v[24:25], off offset:-36
	global_load_dword v37, v[24:25], off
	global_load_dword v40, v[28:29], off offset:-32
	global_load_dword v41, v[28:29], off offset:-16
	global_load_dword v38, v[28:29], off offset:4
	global_load_dword v39, v[28:29], off offset:20
	v_add_u32_e32 v28, s11, v19
	v_mad_i64_i32 v[30:31], s[6:7], v28, s26, v[26:27]
	v_lshl_add_u64 v[28:29], v[30:31], 0, v[20:21]
	v_lshl_add_u64 v[32:33], v[28:29], 0, v[14:15]
	global_load_dword v61, v[32:33], off offset:64
	global_load_dword v67, v[28:29], off offset:16
	;; [unrolled: 1-line block ×4, first 2 shown]
	v_lshl_add_u64 v[28:29], v[30:31], 0, v[16:17]
                                        ; implicit-def: $vgpr43
                                        ; implicit-def: $vgpr74
                                        ; implicit-def: $vgpr75
	s_and_saveexec_b64 s[6:7], vcc
	s_xor_b64 s[6:7], exec, s[6:7]
	s_cbranch_execz .LBB141_5
; %bb.4:                                ;   in Loop: Header=BB141_3 Depth=1
	global_load_ushort v74, v[28:29], off offset:8
	global_load_ushort v75, v[28:29], off offset:4
	global_load_ushort v32, v[28:29], off
	s_waitcnt vmcnt(1)
	v_lshrrev_b16_e32 v33, 2, v75
	s_waitcnt vmcnt(0)
	v_perm_b32 v32, v32, v74, s27
	v_perm_b32 v33, v74, v33, s27
	v_pk_lshrrev_b16 v32, s28, v32
	v_and_b32_e32 v33, 0xf0f3030, v33
	v_and_or_b32 v43, v32, s29, v33
.LBB141_5:                              ;   in Loop: Header=BB141_3 Depth=1
	s_andn2_saveexec_b64 s[6:7], s[6:7]
	s_cbranch_execz .LBB141_7
; %bb.6:                                ;   in Loop: Header=BB141_3 Depth=1
	global_load_ushort v75, v[28:29], off offset:4
	global_load_ushort v74, v[28:29], off offset:8
	s_waitcnt vmcnt(0)
	v_perm_b32 v32, v75, v74, s27
	v_and_b32_e32 v43, 0x3f3f3f3f, v32
.LBB141_7:                              ;   in Loop: Header=BB141_3 Depth=1
	s_or_b64 exec, exec, s[6:7]
	v_add_u32_e32 v42, s8, v19
	v_mov_b64_e32 v[32:33], s[20:21]
	v_mad_i64_i32 v[32:33], s[6:7], v42, s26, v[32:33]
	v_lshl_add_u64 v[44:45], v[32:33], 0, v[20:21]
	v_lshl_add_u64 v[46:47], v[44:45], 0, v[14:15]
	global_load_dword v66, v[46:47], off offset:64
	global_load_dword v42, v[30:31], off
	global_load_dword v70, v[44:45], off offset:16
	global_load_dword v69, v[46:47], off offset:48
	global_load_dword v71, v[44:45], off offset:32
	v_lshl_add_u64 v[30:31], v[32:33], 0, v[16:17]
                                        ; implicit-def: $vgpr78
                                        ; implicit-def: $vgpr44
	s_and_saveexec_b64 s[6:7], vcc
	s_xor_b64 s[6:7], exec, s[6:7]
	s_cbranch_execz .LBB141_9
; %bb.8:                                ;   in Loop: Header=BB141_3 Depth=1
	global_load_ushort v45, v[30:31], off offset:8
	global_load_ushort v46, v[30:31], off offset:4
	global_load_ushort v44, v[30:31], off
	s_waitcnt vmcnt(1)
	v_lshrrev_b16_e32 v47, 2, v46
	s_waitcnt vmcnt(0)
	v_perm_b32 v44, v44, v45, s27
	v_perm_b32 v47, v45, v47, s27
	v_pk_lshrrev_b16 v44, s28, v44
	v_and_b32_e32 v47, 0xf0f3030, v47
	v_and_or_b32 v44, v44, s29, v47
	v_perm_b32 v78, v45, v46, s27
.LBB141_9:                              ;   in Loop: Header=BB141_3 Depth=1
	s_andn2_saveexec_b64 s[6:7], s[6:7]
	s_cbranch_execz .LBB141_11
; %bb.10:                               ;   in Loop: Header=BB141_3 Depth=1
	global_load_ushort v45, v[30:31], off offset:4
	global_load_ushort v46, v[30:31], off offset:8
	s_waitcnt vmcnt(0)
	v_perm_b32 v44, v45, v46, s27
	v_and_b32_e32 v44, 0x3f3f3f3f, v44
	v_perm_b32 v78, v46, v45, s27
.LBB141_11:                             ;   in Loop: Header=BB141_3 Depth=1
	s_or_b64 exec, exec, s[6:7]
	global_load_dword v45, v[32:33], off
	v_add_u32_e32 v32, s9, v35
	v_mad_u64_u32 v[52:53], s[6:7], v32, 36, v[22:23]
	v_lshlrev_b32_e32 v32, 2, v18
	v_mov_b32_e32 v33, v17
	v_lshl_add_u64 v[54:55], v[52:53], 0, v[32:33]
	global_load_dword v46, v[52:53], off
	global_load_dword v50, v[54:55], off offset:20
	global_load_dword v48, v[54:55], off offset:40
	;; [unrolled: 1-line block ×5, first 2 shown]
	v_lshrrev_b16_e32 v33, 4, v74
	v_lshrrev_b16_e32 v52, 2, v75
	v_and_b32_e32 v91, 0xf0f, v74
	v_and_b32_e32 v92, 0xf0f, v33
	;; [unrolled: 1-line block ×3, first 2 shown]
                                        ; implicit-def: $vgpr53
                                        ; implicit-def: $vgpr52
	s_and_saveexec_b64 s[6:7], vcc
	s_xor_b64 s[6:7], exec, s[6:7]
	s_cbranch_execz .LBB141_13
; %bb.12:                               ;   in Loop: Header=BB141_3 Depth=1
	global_load_ushort v33, v[28:29], off
	v_or_b32_e32 v52, v93, v92
	s_waitcnt vmcnt(0)
	v_lshrrev_b16_e32 v33, 2, v33
	v_and_b32_e32 v33, 0x3030, v33
	v_or_b32_e32 v53, v33, v91
.LBB141_13:                             ;   in Loop: Header=BB141_3 Depth=1
	s_or_saveexec_b64 s[6:7], s[6:7]
	v_and_b32_e32 v85, 0x3f3f, v75
	v_and_b32_e32 v86, 0x3f3f, v74
	s_xor_b64 exec, exec, s[6:7]
; %bb.14:                               ;   in Loop: Header=BB141_3 Depth=1
	v_and_b32_e32 v53, 0x3f3f, v75
	v_and_b32_e32 v52, 0x3f3f, v74
; %bb.15:                               ;   in Loop: Header=BB141_3 Depth=1
	s_or_b64 exec, exec, s[6:7]
	v_lshrrev_b32_e32 v94, 20, v78
	v_and_b32_sdwa v76, v78, s30 dst_sel:DWORD dst_unused:UNUSED_PAD src0_sel:WORD_1 src1_sel:DWORD
	v_and_b32_e32 v77, 0xf0f, v94
	v_lshrrev_b16_e32 v103, 2, v78
                                        ; implicit-def: $vgpr55
                                        ; implicit-def: $vgpr54
	s_and_saveexec_b64 s[6:7], vcc
	s_xor_b64 s[6:7], exec, s[6:7]
	s_cbranch_execz .LBB141_17
; %bb.16:                               ;   in Loop: Header=BB141_3 Depth=1
	global_load_ushort v33, v[30:31], off
	v_and_b32_e32 v54, 0x3030, v103
	v_or_b32_e32 v54, v54, v77
	s_waitcnt vmcnt(0)
	v_lshrrev_b16_e32 v33, 2, v33
	v_and_b32_e32 v33, 0x3030, v33
	v_or_b32_e32 v55, v33, v76
.LBB141_17:                             ;   in Loop: Header=BB141_3 Depth=1
	s_or_saveexec_b64 s[6:7], s[6:7]
	v_and_b32_e32 v82, 0x3f3f, v78
	v_and_b32_sdwa v84, v78, s31 dst_sel:DWORD dst_unused:UNUSED_PAD src0_sel:WORD_1 src1_sel:DWORD
	s_xor_b64 exec, exec, s[6:7]
; %bb.18:                               ;   in Loop: Header=BB141_3 Depth=1
	v_and_b32_e32 v55, 0x3f3f, v78
	v_and_b32_sdwa v54, v78, s31 dst_sel:DWORD dst_unused:UNUSED_PAD src0_sel:WORD_1 src1_sel:DWORD
; %bb.19:                               ;   in Loop: Header=BB141_3 Depth=1
	s_or_b64 exec, exec, s[6:7]
	v_add_u32_e32 v33, s15, v35
	v_mad_u64_u32 v[64:65], s[6:7], v33, 36, v[22:23]
	v_mov_b32_e32 v33, v17
	v_lshl_add_u64 v[72:73], v[64:65], 0, v[32:33]
	global_load_dword v56, v[64:65], off
	global_load_dword v60, v[72:73], off offset:20
	global_load_dword v58, v[72:73], off offset:40
	;; [unrolled: 1-line block ×5, first 2 shown]
                                        ; implicit-def: $vgpr65
                                        ; implicit-def: $vgpr64
	s_and_saveexec_b64 s[6:7], vcc
	s_xor_b64 s[6:7], exec, s[6:7]
	s_cbranch_execz .LBB141_21
; %bb.20:                               ;   in Loop: Header=BB141_3 Depth=1
	global_load_ushort v33, v[28:29], off
	v_or_b32_e32 v64, v93, v92
	s_waitcnt vmcnt(0)
	v_lshrrev_b16_e32 v33, 2, v33
	v_and_b32_e32 v33, 0x3030, v33
	v_or_b32_e32 v65, v33, v91
	s_andn2_saveexec_b64 s[6:7], s[6:7]
	s_branch .LBB141_22
.LBB141_21:                             ;   in Loop: Header=BB141_3 Depth=1
	s_andn2_saveexec_b64 s[6:7], s[6:7]
.LBB141_22:                             ;   in Loop: Header=BB141_3 Depth=1
	v_and_b32_e32 v65, 0x3f3f, v75
	v_and_b32_e32 v64, 0x3f3f, v74
; %bb.23:                               ;   in Loop: Header=BB141_3 Depth=1
	s_or_b64 exec, exec, s[6:7]
                                        ; implicit-def: $vgpr73
                                        ; implicit-def: $vgpr72
	s_and_saveexec_b64 s[6:7], vcc
	s_xor_b64 s[6:7], exec, s[6:7]
	s_cbranch_execz .LBB141_25
; %bb.24:                               ;   in Loop: Header=BB141_3 Depth=1
	global_load_ushort v33, v[30:31], off
	v_and_b32_e32 v72, 0x3030, v103
	v_or_b32_e32 v72, v72, v77
	s_waitcnt vmcnt(0)
	v_lshrrev_b16_e32 v33, 2, v33
	v_and_b32_e32 v33, 0x3030, v33
	v_or_b32_e32 v73, v33, v76
	s_andn2_saveexec_b64 s[6:7], s[6:7]
	s_cbranch_execnz .LBB141_26
	s_branch .LBB141_27
.LBB141_25:                             ;   in Loop: Header=BB141_3 Depth=1
	s_andn2_saveexec_b64 s[6:7], s[6:7]
.LBB141_26:                             ;   in Loop: Header=BB141_3 Depth=1
	v_and_b32_e32 v73, 0x3f3f, v78
	v_and_b32_sdwa v72, v78, s31 dst_sel:DWORD dst_unused:UNUSED_PAD src0_sel:WORD_1 src1_sel:DWORD
.LBB141_27:                             ;   in Loop: Header=BB141_3 Depth=1
	s_or_b64 exec, exec, s[6:7]
	v_add_u32_e32 v33, s19, v35
	v_mad_u64_u32 v[96:97], s[6:7], v33, 36, v[22:23]
	v_mov_b32_e32 v33, v17
	v_lshl_add_u64 v[98:99], v[96:97], 0, v[32:33]
	global_load_dword v79, v[96:97], off
	global_load_dword v87, v[98:99], off offset:20
	global_load_dword v81, v[98:99], off offset:40
	;; [unrolled: 1-line block ×5, first 2 shown]
                                        ; implicit-def: $vgpr90
                                        ; implicit-def: $vgpr89
	s_and_saveexec_b64 s[6:7], vcc
	s_xor_b64 s[6:7], exec, s[6:7]
	s_cbranch_execz .LBB141_29
; %bb.28:                               ;   in Loop: Header=BB141_3 Depth=1
	global_load_ushort v33, v[28:29], off
	v_or_b32_e32 v89, v93, v92
	s_waitcnt vmcnt(0)
	v_lshrrev_b16_e32 v33, 2, v33
	v_and_b32_e32 v33, 0x3030, v33
	v_or_b32_e32 v90, v33, v91
	s_andn2_saveexec_b64 s[6:7], s[6:7]
	s_branch .LBB141_30
.LBB141_29:                             ;   in Loop: Header=BB141_3 Depth=1
	s_andn2_saveexec_b64 s[6:7], s[6:7]
.LBB141_30:                             ;   in Loop: Header=BB141_3 Depth=1
	v_and_b32_e32 v90, 0x3f3f, v75
	v_and_b32_e32 v89, 0x3f3f, v74
; %bb.31:                               ;   in Loop: Header=BB141_3 Depth=1
	s_or_b64 exec, exec, s[6:7]
                                        ; implicit-def: $vgpr96
                                        ; implicit-def: $vgpr95
	s_and_saveexec_b64 s[6:7], vcc
	s_xor_b64 s[6:7], exec, s[6:7]
	s_cbranch_execz .LBB141_33
; %bb.32:                               ;   in Loop: Header=BB141_3 Depth=1
	global_load_ushort v33, v[30:31], off
	v_and_b32_e32 v95, 0x3030, v103
	v_or_b32_e32 v95, v95, v77
	s_waitcnt vmcnt(0)
	v_lshrrev_b16_e32 v33, 2, v33
	v_and_b32_e32 v33, 0x3030, v33
	v_or_b32_e32 v96, v33, v76
	s_andn2_saveexec_b64 s[6:7], s[6:7]
	s_cbranch_execnz .LBB141_34
	s_branch .LBB141_35
.LBB141_33:                             ;   in Loop: Header=BB141_3 Depth=1
	s_andn2_saveexec_b64 s[6:7], s[6:7]
.LBB141_34:                             ;   in Loop: Header=BB141_3 Depth=1
	v_and_b32_e32 v96, 0x3f3f, v78
	v_and_b32_sdwa v95, v78, s31 dst_sel:DWORD dst_unused:UNUSED_PAD src0_sel:WORD_1 src1_sel:DWORD
.LBB141_35:                             ;   in Loop: Header=BB141_3 Depth=1
	s_or_b64 exec, exec, s[6:7]
	v_add_u32_e32 v33, s22, v35
	v_mad_u64_u32 v[104:105], s[6:7], v33, 36, v[22:23]
	v_mov_b32_e32 v33, v17
	v_lshl_add_u64 v[106:107], v[104:105], 0, v[32:33]
	global_load_dword v97, v[104:105], off
	global_load_dword v101, v[106:107], off offset:20
	global_load_dword v99, v[106:107], off offset:40
	;; [unrolled: 1-line block ×5, first 2 shown]
                                        ; implicit-def: $vgpr105
                                        ; implicit-def: $vgpr104
	s_and_saveexec_b64 s[6:7], vcc
	s_xor_b64 s[6:7], exec, s[6:7]
	s_cbranch_execz .LBB141_45
; %bb.36:                               ;   in Loop: Header=BB141_3 Depth=1
	global_load_ushort v33, v[28:29], off
	v_or_b32_e32 v104, v93, v92
                                        ; implicit-def: $vgpr75
                                        ; implicit-def: $vgpr74
	s_waitcnt vmcnt(0)
	v_lshrrev_b16_e32 v33, 2, v33
	v_and_b32_e32 v33, 0x3030, v33
	v_or_b32_e32 v105, v33, v91
	s_andn2_saveexec_b64 s[6:7], s[6:7]
	s_cbranch_execnz .LBB141_46
.LBB141_37:                             ;   in Loop: Header=BB141_3 Depth=1
	s_or_b64 exec, exec, s[6:7]
	s_and_saveexec_b64 s[6:7], vcc
	s_xor_b64 s[6:7], exec, s[6:7]
	s_cbranch_execz .LBB141_39
.LBB141_38:                             ;   in Loop: Header=BB141_3 Depth=1
	global_load_ushort v33, v[30:31], off
	v_and_b32_e32 v74, 0x3030, v103
	v_or_b32_e32 v84, v74, v77
	s_waitcnt vmcnt(0)
	v_lshrrev_b16_e32 v33, 2, v33
	v_and_b32_e32 v33, 0x3030, v33
	v_or_b32_e32 v82, v33, v76
.LBB141_39:                             ;   in Loop: Header=BB141_3 Depth=1
	s_andn2_saveexec_b64 s[6:7], s[6:7]
	s_or_b64 exec, exec, s[6:7]
	v_add_u32_e32 v33, s23, v35
	v_mad_u64_u32 v[106:107], s[6:7], v33, 36, v[22:23]
	v_mov_b32_e32 v33, v17
	v_lshl_add_u64 v[108:109], v[106:107], 0, v[32:33]
	global_load_dword v103, v[106:107], off
	global_load_dword v76, v[108:109], off offset:20
	global_load_dword v74, v[108:109], off offset:40
	;; [unrolled: 1-line block ×5, first 2 shown]
	s_and_saveexec_b64 s[6:7], vcc
	s_xor_b64 s[6:7], exec, s[6:7]
	s_cbranch_execz .LBB141_41
; %bb.40:                               ;   in Loop: Header=BB141_3 Depth=1
	global_load_ushort v28, v[28:29], off
	v_or_b32_e32 v86, v93, v92
	s_waitcnt vmcnt(0)
	v_lshrrev_b16_e32 v28, 2, v28
	v_and_b32_e32 v28, 0x3030, v28
	v_or_b32_e32 v85, v28, v91
.LBB141_41:                             ;   in Loop: Header=BB141_3 Depth=1
	s_andn2_saveexec_b64 s[6:7], s[6:7]
	s_or_b64 exec, exec, s[6:7]
                                        ; implicit-def: $vgpr29
	s_and_saveexec_b64 s[6:7], vcc
	s_xor_b64 s[6:7], exec, s[6:7]
	s_cbranch_execz .LBB141_43
; %bb.42:                               ;   in Loop: Header=BB141_3 Depth=1
	global_load_ushort v28, v[30:31], off
	v_alignbit_b32 v29, v94, v78, 16
	v_and_b32_e32 v29, 0xf0f0f0f, v29
	s_waitcnt vmcnt(0)
	v_perm_b32 v28, v78, v28, s27
	v_pk_lshrrev_b16 v28, 2, v28 op_sel_hi:[0,1]
	v_and_or_b32 v29, v28, s33, v29
                                        ; implicit-def: $vgpr78
.LBB141_43:                             ;   in Loop: Header=BB141_3 Depth=1
	s_andn2_saveexec_b64 s[6:7], s[6:7]
	s_cbranch_execz .LBB141_2
; %bb.44:                               ;   in Loop: Header=BB141_3 Depth=1
	v_and_b32_e32 v29, 0x3f3f3f3f, v78
	s_branch .LBB141_2
.LBB141_45:                             ;   in Loop: Header=BB141_3 Depth=1
	s_andn2_saveexec_b64 s[6:7], s[6:7]
	s_cbranch_execz .LBB141_37
.LBB141_46:                             ;   in Loop: Header=BB141_3 Depth=1
	v_and_b32_e32 v105, 0x3f3f, v75
	v_and_b32_e32 v104, 0x3f3f, v74
	s_or_b64 exec, exec, s[6:7]
	s_and_saveexec_b64 s[6:7], vcc
	s_xor_b64 s[6:7], exec, s[6:7]
	s_cbranch_execnz .LBB141_38
	s_branch .LBB141_39
.LBB141_47:
	s_or_b64 exec, exec, s[12:13]
	scratch_store_dwordx4 off, v[8:11], off
	scratch_store_dwordx4 off, v[4:7], off offset:16
	scratch_store_dwordx4 off, v[0:3], off offset:32
.LBB141_48:
	s_or_b64 exec, exec, s[24:25]
	s_mov_b32 s5, 0
	v_cmp_eq_u32_e32 vcc, 0, v13
	s_waitcnt lgkmcnt(0)
	; wave barrier
	s_and_saveexec_b64 s[6:7], vcc
	s_cbranch_execz .LBB141_61
; %bb.49:
	scratch_load_dwordx2 v[2:3], off, off
	v_mbcnt_lo_u32_b32 v0, -1, 0
	v_mbcnt_hi_u32_b32 v13, -1, v0
	s_load_dwordx2 s[6:7], s[0:1], 0x38
	s_mul_i32 s0, s3, s14
	v_or_b32_e32 v1, s2, v12
	v_and_b32_e32 v0, 64, v13
	s_mul_i32 s4, s4, s18
	s_add_i32 s2, s0, s2
	v_cmp_gt_u32_e64 s[0:1], s10, v1
	v_xor_b32_e32 v1, 32, v13
	v_add_u32_e32 v14, 64, v0
	s_add_i32 s4, s2, s4
	v_cmp_lt_i32_e64 s[2:3], v1, v14
	v_cmp_gt_u32_e32 vcc, 2, v12
	s_nop 0
	v_cndmask_b32_e64 v0, v13, v1, s[2:3]
	v_lshlrev_b32_e32 v0, 2, v0
	v_xor_b32_e32 v1, 16, v13
	v_cmp_lt_i32_e64 s[2:3], v1, v14
	s_waitcnt vmcnt(0)
	ds_bpermute_b32 v4, v0, v2
	ds_bpermute_b32 v5, v0, v3
	v_cndmask_b32_e64 v1, v13, v1, s[2:3]
	v_lshlrev_b32_e32 v1, 2, v1
	s_waitcnt lgkmcnt(0)
	v_pk_add_f32 v[4:5], v[2:3], v[4:5]
	ds_bpermute_b32 v6, v1, v4
	ds_bpermute_b32 v7, v1, v5
	v_xor_b32_e32 v2, 8, v13
	v_cmp_lt_i32_e64 s[2:3], v2, v14
	v_xor_b32_e32 v3, 4, v13
	s_waitcnt lgkmcnt(0)
	v_pk_add_f32 v[4:5], v[4:5], v[6:7]
	v_cndmask_b32_e64 v2, v13, v2, s[2:3]
	v_lshlrev_b32_e32 v2, 2, v2
	ds_bpermute_b32 v6, v2, v4
	ds_bpermute_b32 v7, v2, v5
	v_cmp_lt_i32_e64 s[2:3], v3, v14
	s_waitcnt lgkmcnt(0)
	v_pk_add_f32 v[6:7], v[4:5], v[6:7]
	v_cndmask_b32_e64 v3, v13, v3, s[2:3]
	v_lshlrev_b32_e32 v3, 2, v3
	ds_bpermute_b32 v8, v3, v6
	ds_bpermute_b32 v9, v3, v7
	v_xor_b32_e32 v4, 2, v13
	v_cmp_lt_i32_e64 s[2:3], v4, v14
	v_xor_b32_e32 v5, 1, v13
	s_waitcnt lgkmcnt(0)
	v_pk_add_f32 v[8:9], v[6:7], v[8:9]
	v_cndmask_b32_e64 v4, v13, v4, s[2:3]
	v_lshlrev_b32_e32 v4, 2, v4
	ds_bpermute_b32 v10, v4, v8
	ds_bpermute_b32 v11, v4, v9
	v_cmp_lt_i32_e64 s[2:3], v5, v14
	s_waitcnt lgkmcnt(0)
	v_pk_add_f32 v[8:9], v[8:9], v[10:11]
	v_cndmask_b32_e64 v5, v13, v5, s[2:3]
	v_lshlrev_b32_e32 v6, 2, v5
	ds_bpermute_b32 v10, v6, v8
	ds_bpermute_b32 v11, v6, v9
	s_lshl_b64 s[2:3], s[4:5], 2
	s_add_u32 s2, s6, s2
	s_addc_u32 s3, s7, s3
	s_and_b64 s[0:1], vcc, s[0:1]
	s_waitcnt lgkmcnt(0)
	v_pk_add_f32 v[8:9], v[8:9], v[10:11]
	v_lshlrev_b32_e32 v5, 2, v12
	scratch_store_dwordx2 off, v[8:9], off
	s_and_saveexec_b64 s[4:5], s[0:1]
	s_cbranch_execz .LBB141_51
; %bb.50:
	scratch_load_dword v7, v5, off
	s_waitcnt vmcnt(0)
	global_store_dword v5, v7, s[2:3]
.LBB141_51:
	s_or_b64 exec, exec, s[4:5]
	scratch_load_dwordx2 v[8:9], off, off offset:8
	s_waitcnt vmcnt(0)
	ds_bpermute_b32 v10, v0, v8
	ds_bpermute_b32 v11, v0, v9
	s_waitcnt lgkmcnt(0)
	v_pk_add_f32 v[8:9], v[8:9], v[10:11]
	ds_bpermute_b32 v10, v1, v8
	ds_bpermute_b32 v11, v1, v9
	s_waitcnt lgkmcnt(0)
	v_pk_add_f32 v[8:9], v[8:9], v[10:11]
	;; [unrolled: 4-line block ×6, first 2 shown]
	scratch_store_dwordx2 off, v[8:9], off offset:8
	s_and_saveexec_b64 s[4:5], s[0:1]
	s_cbranch_execz .LBB141_53
; %bb.52:
	scratch_load_dword v7, v5, off offset:8
	v_add_u32_e32 v8, s10, v12
	v_mov_b32_e32 v9, 0
	v_lshl_add_u64 v[8:9], v[8:9], 2, s[2:3]
	s_waitcnt vmcnt(0)
	global_store_dword v[8:9], v7, off
.LBB141_53:
	s_or_b64 exec, exec, s[4:5]
	scratch_load_dwordx2 v[8:9], off, off offset:16
	s_waitcnt vmcnt(0)
	ds_bpermute_b32 v10, v0, v8
	ds_bpermute_b32 v11, v0, v9
	s_waitcnt lgkmcnt(0)
	v_pk_add_f32 v[8:9], v[8:9], v[10:11]
	ds_bpermute_b32 v10, v1, v8
	ds_bpermute_b32 v11, v1, v9
	s_waitcnt lgkmcnt(0)
	v_pk_add_f32 v[8:9], v[8:9], v[10:11]
	;; [unrolled: 4-line block ×6, first 2 shown]
	scratch_store_dwordx2 off, v[8:9], off offset:16
	s_and_saveexec_b64 s[4:5], s[0:1]
	s_cbranch_execz .LBB141_55
; %bb.54:
	scratch_load_dword v7, v5, off offset:16
	v_lshl_or_b32 v8, s10, 1, v12
	v_mov_b32_e32 v9, 0
	v_lshl_add_u64 v[8:9], v[8:9], 2, s[2:3]
	s_waitcnt vmcnt(0)
	global_store_dword v[8:9], v7, off
.LBB141_55:
	s_or_b64 exec, exec, s[4:5]
	scratch_load_dwordx2 v[8:9], off, off offset:24
	s_waitcnt vmcnt(0)
	ds_bpermute_b32 v10, v0, v8
	ds_bpermute_b32 v11, v0, v9
	s_waitcnt lgkmcnt(0)
	v_pk_add_f32 v[8:9], v[8:9], v[10:11]
	ds_bpermute_b32 v10, v1, v8
	ds_bpermute_b32 v11, v1, v9
	s_waitcnt lgkmcnt(0)
	v_pk_add_f32 v[8:9], v[8:9], v[10:11]
	;; [unrolled: 4-line block ×6, first 2 shown]
	scratch_store_dwordx2 off, v[8:9], off offset:24
	s_and_saveexec_b64 s[4:5], s[0:1]
	s_cbranch_execz .LBB141_57
; %bb.56:
	scratch_load_dword v7, v5, off offset:24
	v_mad_u64_u32 v[8:9], s[6:7], s10, 3, v[12:13]
	v_mov_b32_e32 v9, 0
	v_lshl_add_u64 v[8:9], v[8:9], 2, s[2:3]
	s_waitcnt vmcnt(0)
	global_store_dword v[8:9], v7, off
.LBB141_57:
	s_or_b64 exec, exec, s[4:5]
	scratch_load_dwordx2 v[8:9], off, off offset:32
	s_waitcnt vmcnt(0)
	ds_bpermute_b32 v10, v0, v8
	ds_bpermute_b32 v11, v0, v9
	s_waitcnt lgkmcnt(0)
	v_pk_add_f32 v[8:9], v[8:9], v[10:11]
	ds_bpermute_b32 v10, v1, v8
	ds_bpermute_b32 v11, v1, v9
	s_waitcnt lgkmcnt(0)
	v_pk_add_f32 v[8:9], v[8:9], v[10:11]
	;; [unrolled: 4-line block ×6, first 2 shown]
	scratch_store_dwordx2 off, v[8:9], off offset:32
	s_and_saveexec_b64 s[4:5], s[0:1]
	s_cbranch_execz .LBB141_59
; %bb.58:
	scratch_load_dword v7, v5, off offset:32
	v_lshl_or_b32 v8, s10, 2, v12
	v_mov_b32_e32 v9, 0
	v_lshl_add_u64 v[8:9], v[8:9], 2, s[2:3]
	s_waitcnt vmcnt(0)
	global_store_dword v[8:9], v7, off
.LBB141_59:
	s_or_b64 exec, exec, s[4:5]
	scratch_load_dwordx2 v[8:9], off, off offset:40
	s_waitcnt vmcnt(0)
	ds_bpermute_b32 v10, v0, v8
	ds_bpermute_b32 v11, v0, v9
	s_waitcnt lgkmcnt(0)
	v_pk_add_f32 v[8:9], v[8:9], v[10:11]
	ds_bpermute_b32 v0, v1, v8
	ds_bpermute_b32 v1, v1, v9
	s_waitcnt lgkmcnt(0)
	v_pk_add_f32 v[0:1], v[8:9], v[0:1]
	;; [unrolled: 4-line block ×6, first 2 shown]
	scratch_store_dwordx2 off, v[0:1], off offset:40
	s_and_b64 exec, exec, s[0:1]
	s_cbranch_execz .LBB141_61
; %bb.60:
	scratch_load_dword v2, v5, off offset:40
	v_mad_u64_u32 v[0:1], s[0:1], s10, 5, v[12:13]
	v_mov_b32_e32 v1, 0
	v_lshl_add_u64 v[0:1], v[0:1], 2, s[2:3]
	s_waitcnt vmcnt(0)
	global_store_dword v[0:1], v2, off
.LBB141_61:
	s_endpgm
	.section	.rodata,"a",@progbits
	.p2align	6, 0x0
	.amdhsa_kernel _ZL13mul_mat_vec_qIL9ggml_type13ELi6ELb0ELb0EEvPKvS2_PKi31ggml_cuda_mm_fusion_args_devicePfj15HIP_vector_typeIjLj3EEjjjS8_jjjS8_jjjj
		.amdhsa_group_segment_fixed_size 0
		.amdhsa_private_segment_fixed_size 64
		.amdhsa_kernarg_size 144
		.amdhsa_user_sgpr_count 2
		.amdhsa_user_sgpr_dispatch_ptr 0
		.amdhsa_user_sgpr_queue_ptr 0
		.amdhsa_user_sgpr_kernarg_segment_ptr 1
		.amdhsa_user_sgpr_dispatch_id 0
		.amdhsa_user_sgpr_kernarg_preload_length 0
		.amdhsa_user_sgpr_kernarg_preload_offset 0
		.amdhsa_user_sgpr_private_segment_size 0
		.amdhsa_uses_dynamic_stack 0
		.amdhsa_enable_private_segment 1
		.amdhsa_system_sgpr_workgroup_id_x 1
		.amdhsa_system_sgpr_workgroup_id_y 1
		.amdhsa_system_sgpr_workgroup_id_z 1
		.amdhsa_system_sgpr_workgroup_info 0
		.amdhsa_system_vgpr_workitem_id 1
		.amdhsa_next_free_vgpr 110
		.amdhsa_next_free_sgpr 36
		.amdhsa_accum_offset 112
		.amdhsa_reserve_vcc 1
		.amdhsa_float_round_mode_32 0
		.amdhsa_float_round_mode_16_64 0
		.amdhsa_float_denorm_mode_32 3
		.amdhsa_float_denorm_mode_16_64 3
		.amdhsa_dx10_clamp 1
		.amdhsa_ieee_mode 1
		.amdhsa_fp16_overflow 0
		.amdhsa_tg_split 0
		.amdhsa_exception_fp_ieee_invalid_op 0
		.amdhsa_exception_fp_denorm_src 0
		.amdhsa_exception_fp_ieee_div_zero 0
		.amdhsa_exception_fp_ieee_overflow 0
		.amdhsa_exception_fp_ieee_underflow 0
		.amdhsa_exception_fp_ieee_inexact 0
		.amdhsa_exception_int_div_zero 0
	.end_amdhsa_kernel
	.section	.text._ZL13mul_mat_vec_qIL9ggml_type13ELi6ELb0ELb0EEvPKvS2_PKi31ggml_cuda_mm_fusion_args_devicePfj15HIP_vector_typeIjLj3EEjjjS8_jjjS8_jjjj,"axG",@progbits,_ZL13mul_mat_vec_qIL9ggml_type13ELi6ELb0ELb0EEvPKvS2_PKi31ggml_cuda_mm_fusion_args_devicePfj15HIP_vector_typeIjLj3EEjjjS8_jjjS8_jjjj,comdat
.Lfunc_end141:
	.size	_ZL13mul_mat_vec_qIL9ggml_type13ELi6ELb0ELb0EEvPKvS2_PKi31ggml_cuda_mm_fusion_args_devicePfj15HIP_vector_typeIjLj3EEjjjS8_jjjS8_jjjj, .Lfunc_end141-_ZL13mul_mat_vec_qIL9ggml_type13ELi6ELb0ELb0EEvPKvS2_PKi31ggml_cuda_mm_fusion_args_devicePfj15HIP_vector_typeIjLj3EEjjjS8_jjjS8_jjjj
                                        ; -- End function
	.section	.AMDGPU.csdata,"",@progbits
; Kernel info:
; codeLenInByte = 6200
; NumSgprs: 42
; NumVgprs: 110
; NumAgprs: 0
; TotalNumVgprs: 110
; ScratchSize: 64
; MemoryBound: 0
; FloatMode: 240
; IeeeMode: 1
; LDSByteSize: 0 bytes/workgroup (compile time only)
; SGPRBlocks: 5
; VGPRBlocks: 13
; NumSGPRsForWavesPerEU: 42
; NumVGPRsForWavesPerEU: 110
; AccumOffset: 112
; Occupancy: 4
; WaveLimiterHint : 0
; COMPUTE_PGM_RSRC2:SCRATCH_EN: 1
; COMPUTE_PGM_RSRC2:USER_SGPR: 2
; COMPUTE_PGM_RSRC2:TRAP_HANDLER: 0
; COMPUTE_PGM_RSRC2:TGID_X_EN: 1
; COMPUTE_PGM_RSRC2:TGID_Y_EN: 1
; COMPUTE_PGM_RSRC2:TGID_Z_EN: 1
; COMPUTE_PGM_RSRC2:TIDIG_COMP_CNT: 1
; COMPUTE_PGM_RSRC3_GFX90A:ACCUM_OFFSET: 27
; COMPUTE_PGM_RSRC3_GFX90A:TG_SPLIT: 0
	.section	.text._ZL13mul_mat_vec_qIL9ggml_type13ELi7ELb0ELb0EEvPKvS2_PKi31ggml_cuda_mm_fusion_args_devicePfj15HIP_vector_typeIjLj3EEjjjS8_jjjS8_jjjj,"axG",@progbits,_ZL13mul_mat_vec_qIL9ggml_type13ELi7ELb0ELb0EEvPKvS2_PKi31ggml_cuda_mm_fusion_args_devicePfj15HIP_vector_typeIjLj3EEjjjS8_jjjS8_jjjj,comdat
	.globl	_ZL13mul_mat_vec_qIL9ggml_type13ELi7ELb0ELb0EEvPKvS2_PKi31ggml_cuda_mm_fusion_args_devicePfj15HIP_vector_typeIjLj3EEjjjS8_jjjS8_jjjj ; -- Begin function _ZL13mul_mat_vec_qIL9ggml_type13ELi7ELb0ELb0EEvPKvS2_PKi31ggml_cuda_mm_fusion_args_devicePfj15HIP_vector_typeIjLj3EEjjjS8_jjjS8_jjjj
	.p2align	8
	.type	_ZL13mul_mat_vec_qIL9ggml_type13ELi7ELb0ELb0EEvPKvS2_PKi31ggml_cuda_mm_fusion_args_devicePfj15HIP_vector_typeIjLj3EEjjjS8_jjjS8_jjjj,@function
_ZL13mul_mat_vec_qIL9ggml_type13ELi7ELb0ELb0EEvPKvS2_PKi31ggml_cuda_mm_fusion_args_devicePfj15HIP_vector_typeIjLj3EEjjjS8_jjjS8_jjjj: ; @_ZL13mul_mat_vec_qIL9ggml_type13ELi7ELb0ELb0EEvPKvS2_PKi31ggml_cuda_mm_fusion_args_devicePfj15HIP_vector_typeIjLj3EEjjjS8_jjjS8_jjjj
; %bb.0:
	v_bfe_u32 v13, v0, 10, 10
	v_and_b32_e32 v12, 0x3ff, v0
	s_mov_b32 s20, 0
	s_load_dword s5, s[0:1], 0x40
	s_load_dwordx4 s[8:11], s[0:1], 0x50
	s_load_dword s7, s[0:1], 0x60
	s_load_dwordx4 s[12:15], s[0:1], 0x68
	s_load_dword s6, s[0:1], 0x78
	s_load_dwordx4 s[16:19], s[0:1], 0x80
	v_lshl_or_b32 v4, v13, 6, v12
	s_mov_b32 s21, s20
	s_waitcnt lgkmcnt(0)
	s_lshr_b32 s5, s5, 8
	v_mov_b32_e32 v15, 0
	s_mov_b32 s22, s20
	s_mov_b32 s23, s20
	v_mov_b64_e32 v[0:1], s[20:21]
	v_lshrrev_b32_e32 v19, 4, v4
	s_lshl_b32 s2, s2, 1
	v_mov_b32_e32 v14, v15
	v_mov_b64_e32 v[2:3], s[22:23]
	v_cmp_gt_u32_e32 vcc, s5, v19
	scratch_store_dwordx2 off, v[14:15], off offset:48
	scratch_store_dwordx4 off, v[0:3], off offset:32
	scratch_store_dwordx4 off, v[0:3], off offset:16
	scratch_store_dwordx4 off, v[0:3], off
	s_and_saveexec_b64 s[24:25], vcc
	s_cbranch_execz .LBB142_56
; %bb.1:
	s_mul_hi_u32 s11, s11, s3
	s_add_i32 s11, s3, s11
	s_lshr_b32 s7, s11, s7
	s_load_dwordx4 s[20:23], s[0:1], 0x0
	s_mul_i32 s11, s7, s12
	s_mul_hi_u32 s7, s15, s4
	s_add_i32 s7, s4, s7
	s_lshr_b32 s6, s7, s6
	s_mul_i32 s15, s6, s16
	s_mul_i32 s6, s4, s17
	s_mul_hi_u32 s7, s6, 36
	s_mul_i32 s6, s6, 36
	s_waitcnt lgkmcnt(0)
	s_add_u32 s6, s22, s6
	s_mul_i32 s12, s3, s13
	s_addc_u32 s7, s23, s7
	s_mul_hi_u32 s13, s12, 36
	s_mul_i32 s12, s12, 36
	v_lshlrev_b32_e32 v0, 1, v12
	s_add_u32 s6, s6, s12
	v_and_b32_e32 v1, 30, v0
	v_bfe_u32 v0, v0, 3, 2
	s_addc_u32 s7, s7, s13
	v_lshlrev_b32_e32 v36, 1, v0
	v_cmp_lt_u32_e32 vcc, 15, v1
	v_mad_u64_u32 v[22:23], s[12:13], v36, 36, s[6:7]
	v_lshl_add_u32 v1, v13, 6, v12
	v_bfe_u32 v2, v12, 2, 2
	v_lshrrev_b32_e32 v1, 4, v1
	v_mul_hi_u32_u24_e32 v3, 0x48, v2
	v_mul_u32_u24_e32 v2, 0x48, v2
	s_movk_i32 s12, 0x120
	v_mad_u64_u32 v[2:3], s[12:13], v1, s12, v[2:3]
	v_lshl_add_u64 v[2:3], s[6:7], 0, v[2:3]
	s_add_i32 s7, s2, 1
	v_and_b32_e32 v18, 3, v12
	s_mul_i32 s16, s2, s8
	s_add_i32 s6, s15, s11
	s_mul_i32 s7, s8, s7
	v_lshlrev_b32_e32 v16, 5, v0
	v_mov_b32_e32 v17, v15
	v_lshlrev_b32_e32 v20, 2, v18
	v_mov_b32_e32 v21, v15
	v_lshl_add_u64 v[24:25], v[2:3], 0, 36
	s_add_i32 s11, s6, s16
	s_lshl_b32 s15, s9, 1
	v_lshlrev_b32_e32 v37, 3, v19
	s_mul_i32 s19, s9, 3
	s_lshl_b32 s22, s9, 2
	s_mul_i32 s23, s9, 5
	s_mul_i32 s26, s9, 6
	s_add_i32 s8, s6, s7
	s_mov_b64 s[12:13], 0
	s_movk_i32 s27, 0xb0
	v_mov_b64_e32 v[28:29], s[20:21]
	v_lshlrev_b32_e32 v14, 1, v0
	s_mov_b32 s28, 0x5040100
	s_mov_b32 s29, 0x20004
	;; [unrolled: 1-line block ×3, first 2 shown]
	s_movk_i32 s31, 0xf0f
	s_movk_i32 s33, 0x3f3f
	s_mov_b32 s34, 0x30303030
	s_mov_b32 s35, 0x10101010
	;; [unrolled: 1-line block ×3, first 2 shown]
	s_mov_b64 s[16:17], 0x480
	v_mov_b32_e32 v2, v15
	v_mov_b32_e32 v27, v15
	;; [unrolled: 1-line block ×14, first 2 shown]
	s_branch .LBB142_3
.LBB142_2:                              ;   in Loop: Header=BB142_3 Depth=1
	s_or_b64 exec, exec, s[6:7]
	s_waitcnt vmcnt(42)
	v_ashrrev_i32_e32 v35, v36, v72
	v_ashrrev_i32_e32 v71, v36, v71
	v_and_b32_e32 v95, 0xf0f0f0f, v66
	v_lshlrev_b32_e32 v97, 4, v35
	v_and_b32_e32 v72, 0xf0f0f0f, v67
	v_lshlrev_b32_e32 v96, 4, v71
	v_and_or_b32 v95, v97, s35, v95
	v_mov_b32_e32 v97, v15
	v_and_or_b32 v72, v96, s35, v72
	v_lshrrev_b32_e32 v66, 4, v66
	s_waitcnt vmcnt(4)
	v_dot4c_i32_i8_e32 v97, v95, v87
	v_mov_b32_e32 v33, v15
	v_lshrrev_b32_e32 v67, 4, v67
	v_and_b32_e32 v66, 0xf0f0f0f, v66
	v_lshlrev_b32_e32 v35, 3, v35
	v_lshrrev_b16_e32 v96, 8, v91
	s_waitcnt vmcnt(1)
	v_dot4c_i32_i8_e32 v97, v72, v88
	v_and_b32_sdwa v91, s36, v91 dst_sel:DWORD dst_unused:UNUSED_PAD src0_sel:DWORD src1_sel:BYTE_0
	v_dot4c_i32_i8_e32 v33, 0x1010101, v87
	v_mov_b32_e32 v84, v15
	v_and_b32_e32 v67, 0xf0f0f0f, v67
	v_lshlrev_b32_e32 v71, 3, v71
	v_and_or_b32 v66, v35, s35, v66
	v_mul_lo_u32 v91, v97, v91
	v_mov_b32_e32 v97, v15
	v_dot4c_i32_i8_e32 v33, 0x1010101, v88
	v_dot4c_i32_i8_e32 v84, 0x1010101, v86
	v_and_or_b32 v67, v71, s35, v67
	v_lshrrev_b16_e32 v35, 8, v92
	v_and_b32_sdwa v92, s36, v92 dst_sel:DWORD dst_unused:UNUSED_PAD src0_sel:DWORD src1_sel:BYTE_0
	v_dot4c_i32_i8_e32 v97, v66, v86
	v_dot4c_i32_i8_e32 v84, 0x1010101, v85
	v_mul_lo_u32 v92, v33, v92
	v_dot4c_i32_i8_e32 v97, v67, v85
	v_cvt_f32_i32_e32 v91, v91
	v_cvt_f32_i32_e32 v92, v92
	v_mul_lo_u32 v35, v84, v35
	v_mul_lo_u32 v96, v97, v96
	v_cvt_f32_i32_e32 v96, v96
	v_cvt_f32_i32_e32 v35, v35
	v_cvt_f32_f16_sdwa v71, v44 dst_sel:DWORD dst_unused:UNUSED_PAD src0_sel:WORD_1
	v_fma_mix_f32 v91, v107, v91, 0 op_sel_hi:[1,0,0]
	v_fma_mix_f32 v92, v107, v92, 0 op_sel_hi:[1,0,0]
	s_waitcnt vmcnt(0)
	v_cvt_f32_f16_e32 v30, v34
	v_fma_mix_f32 v91, v34, v96, v91 op_sel_hi:[1,0,0]
	v_fma_mix_f32 v34, v34, v35, v92 op_sel_hi:[1,0,0]
	v_ashrrev_i32_e32 v35, v36, v74
	v_mul_f32_e32 v34, v34, v71
	v_fma_mix_f32 v34, v91, v44, -v34 op_sel_hi:[0,1,0]
	v_add_f32_e32 v26, v26, v34
	v_ashrrev_i32_e32 v34, v36, v75
	v_and_b32_e32 v75, 0xf0f0f0f, v69
	v_lshlrev_b32_e32 v97, 4, v34
	v_mov_b32_e32 v91, v15
	v_and_b32_e32 v74, 0xf0f0f0f, v73
	v_lshlrev_b32_e32 v96, 4, v35
	v_and_or_b32 v75, v97, s35, v75
	v_mov_b32_e32 v99, v15
	v_dot4c_i32_i8_e32 v91, 0x1010101, v114
	v_mov_b32_e32 v92, v15
	v_and_or_b32 v74, v96, s35, v74
	v_lshrrev_b32_e32 v69, 4, v69
	v_dot4c_i32_i8_e32 v99, v75, v114
	v_dot4c_i32_i8_e32 v91, 0x1010101, v115
	v_dot4c_i32_i8_e32 v92, 0x1010101, v113
	v_lshrrev_b32_e32 v73, 4, v73
	v_and_b32_e32 v69, 0xf0f0f0f, v69
	v_lshlrev_b32_e32 v34, 3, v34
	v_lshrrev_b16_e32 v96, 8, v90
	v_lshrrev_b16_e32 v97, 8, v89
	v_dot4c_i32_i8_e32 v99, v74, v115
	v_and_b32_sdwa v89, s36, v89 dst_sel:DWORD dst_unused:UNUSED_PAD src0_sel:DWORD src1_sel:BYTE_0
	v_and_b32_sdwa v90, s36, v90 dst_sel:DWORD dst_unused:UNUSED_PAD src0_sel:DWORD src1_sel:BYTE_0
	v_dot4c_i32_i8_e32 v92, 0x1010101, v112
	v_and_b32_e32 v73, 0xf0f0f0f, v73
	v_lshlrev_b32_e32 v35, 3, v35
	v_and_or_b32 v69, v34, s35, v69
	v_mul_lo_u32 v89, v99, v89
	v_mul_lo_u32 v90, v91, v90
	v_mov_b32_e32 v99, v15
	v_and_or_b32 v73, v35, s35, v73
	v_cvt_f32_i32_e32 v90, v90
	v_dot4c_i32_i8_e32 v99, v69, v113
	v_mul_lo_u32 v96, v92, v96
	v_dot4c_i32_i8_e32 v99, v73, v112
	v_cvt_f32_i32_e32 v96, v96
	v_cvt_f32_i32_e32 v89, v89
	v_cvt_f32_f16_sdwa v35, v47 dst_sel:DWORD dst_unused:UNUSED_PAD src0_sel:WORD_1
	v_mul_lo_u32 v97, v99, v97
	v_cvt_f32_i32_e32 v97, v97
	v_fma_mix_f32 v90, v110, v90, 0 op_sel_hi:[1,0,0]
	v_fma_mix_f32 v89, v110, v89, 0 op_sel_hi:[1,0,0]
	;; [unrolled: 1-line block ×3, first 2 shown]
	v_mov_b32_e32 v96, v15
	v_dot4c_i32_i8_e32 v96, v95, v114
	v_fma_mix_f32 v89, v111, v97, v89 op_sel_hi:[1,0,0]
	v_dot4c_i32_i8_e32 v96, v72, v115
	v_and_b32_sdwa v97, s36, v117 dst_sel:DWORD dst_unused:UNUSED_PAD src0_sel:DWORD src1_sel:BYTE_0
	v_mul_f32_e32 v90, v90, v35
	v_fma_mix_f32 v89, v89, v47, -v90 op_sel_hi:[0,1,0]
	v_mul_lo_u32 v96, v96, v97
	v_and_b32_sdwa v97, s36, v116 dst_sel:DWORD dst_unused:UNUSED_PAD src0_sel:DWORD src1_sel:BYTE_0
	v_mul_lo_u32 v91, v91, v97
	v_mov_b32_e32 v97, v15
	v_add_f32_e32 v3, v3, v89
	v_lshrrev_b16_e32 v89, 8, v116
	v_dot4c_i32_i8_e32 v97, v66, v113
	v_lshrrev_b16_e32 v90, 8, v117
	v_cvt_f32_i32_e32 v91, v91
	v_dot4c_i32_i8_e32 v97, v67, v112
	v_mul_lo_u32 v89, v92, v89
	v_cvt_f32_i32_e32 v96, v96
	v_cvt_f32_i32_e32 v89, v89
	v_mul_lo_u32 v90, v97, v90
	v_cvt_f32_i32_e32 v90, v90
	v_fma_mix_f32 v91, v110, v91, 0 op_sel_hi:[1,0,0]
	v_fma_mix_f32 v92, v110, v96, 0 op_sel_hi:[1,0,0]
	;; [unrolled: 1-line block ×4, first 2 shown]
	v_mul_f32_e32 v89, v89, v71
	v_mov_b32_e32 v96, v15
	v_fma_mix_f32 v89, v90, v44, -v89 op_sel_hi:[0,1,0]
	v_dot4c_i32_i8_e32 v96, v75, v103
	v_mov_b32_e32 v99, v15
	v_add_f32_e32 v2, v2, v89
	v_mov_b32_e32 v89, v15
	v_dot4c_i32_i8_e32 v96, v74, v104
	v_and_b32_sdwa v97, s36, v109 dst_sel:DWORD dst_unused:UNUSED_PAD src0_sel:DWORD src1_sel:BYTE_0
	v_dot4c_i32_i8_e32 v99, v69, v102
	v_dot4c_i32_i8_e32 v89, 0x1010101, v103
	v_mov_b32_e32 v90, v15
	v_lshrrev_b16_e32 v92, 8, v109
	v_mul_lo_u32 v96, v96, v97
	v_dot4c_i32_i8_e32 v99, v73, v101
	v_dot4c_i32_i8_e32 v89, 0x1010101, v104
	;; [unrolled: 1-line block ×3, first 2 shown]
	v_cvt_f32_i32_e32 v96, v96
	v_and_b32_sdwa v97, s36, v108 dst_sel:DWORD dst_unused:UNUSED_PAD src0_sel:DWORD src1_sel:BYTE_0
	v_mul_lo_u32 v92, v99, v92
	v_dot4c_i32_i8_e32 v90, 0x1010101, v101
	v_lshrrev_b16_e32 v91, 8, v108
	v_mul_lo_u32 v97, v89, v97
	v_cvt_f32_i32_e32 v92, v92
	v_cvt_f32_i32_e32 v97, v97
	v_mul_lo_u32 v91, v90, v91
	v_cvt_f32_i32_e32 v91, v91
	v_fma_mix_f32 v96, v98, v96, 0 op_sel_hi:[1,0,0]
	v_fma_mix_f32 v97, v98, v97, 0 op_sel_hi:[1,0,0]
	;; [unrolled: 1-line block ×3, first 2 shown]
	v_mov_b32_e32 v96, v15
	v_dot4c_i32_i8_e32 v96, v95, v103
	v_fma_mix_f32 v91, v100, v91, v97 op_sel_hi:[1,0,0]
	v_dot4c_i32_i8_e32 v96, v72, v104
	v_and_b32_sdwa v97, s36, v106 dst_sel:DWORD dst_unused:UNUSED_PAD src0_sel:DWORD src1_sel:BYTE_0
	v_mul_f32_e32 v91, v91, v35
	v_fma_mix_f32 v91, v92, v47, -v91 op_sel_hi:[0,1,0]
	v_mul_lo_u32 v96, v96, v97
	v_and_b32_sdwa v97, s36, v105 dst_sel:DWORD dst_unused:UNUSED_PAD src0_sel:DWORD src1_sel:BYTE_0
	v_mul_lo_u32 v89, v89, v97
	v_mov_b32_e32 v97, v15
	v_add_f32_e32 v1, v1, v91
	v_lshrrev_b16_e32 v91, 8, v105
	v_dot4c_i32_i8_e32 v97, v66, v102
	v_lshrrev_b16_e32 v92, 8, v106
	v_cvt_f32_i32_e32 v89, v89
	v_dot4c_i32_i8_e32 v97, v67, v101
	v_mul_lo_u32 v90, v90, v91
	v_cvt_f32_i32_e32 v96, v96
	v_cvt_f32_i32_e32 v90, v90
	v_mul_lo_u32 v92, v97, v92
	v_cvt_f32_i32_e32 v92, v92
	v_fma_mix_f32 v89, v98, v89, 0 op_sel_hi:[1,0,0]
	v_fma_mix_f32 v91, v98, v96, 0 op_sel_hi:[1,0,0]
	v_fma_mix_f32 v89, v100, v90, v89 op_sel_hi:[1,0,0]
	v_fma_mix_f32 v91, v100, v92, v91 op_sel_hi:[1,0,0]
	v_mul_f32_e32 v89, v89, v71
	v_fma_mix_f32 v89, v91, v44, -v89 op_sel_hi:[0,1,0]
	v_mov_b32_e32 v96, v15
	v_add_f32_e32 v0, v0, v89
	v_mov_b32_e32 v89, v15
	v_dot4c_i32_i8_e32 v96, v75, v80
	v_dot4c_i32_i8_e32 v89, 0x1010101, v80
	v_mov_b32_e32 v90, v15
	v_lshrrev_b16_e32 v92, 8, v94
	v_dot4c_i32_i8_e32 v96, v74, v81
	v_and_b32_sdwa v94, s36, v94 dst_sel:DWORD dst_unused:UNUSED_PAD src0_sel:DWORD src1_sel:BYTE_0
	v_dot4c_i32_i8_e32 v89, 0x1010101, v81
	v_dot4c_i32_i8_e32 v90, 0x1010101, v79
	v_lshrrev_b16_e32 v91, 8, v93
	v_mul_lo_u32 v94, v96, v94
	v_and_b32_sdwa v93, s36, v93 dst_sel:DWORD dst_unused:UNUSED_PAD src0_sel:DWORD src1_sel:BYTE_0
	v_mov_b32_e32 v96, v15
	v_dot4c_i32_i8_e32 v90, 0x1010101, v78
	v_mul_lo_u32 v93, v89, v93
	v_dot4c_i32_i8_e32 v96, v69, v79
	v_cvt_f32_i32_e32 v93, v93
	v_dot4c_i32_i8_e32 v96, v73, v78
	v_mul_lo_u32 v91, v90, v91
	v_cvt_f32_i32_e32 v94, v94
	v_cvt_f32_i32_e32 v91, v91
	v_mul_lo_u32 v92, v96, v92
	v_cvt_f32_i32_e32 v92, v92
	v_fma_mix_f32 v93, v76, v93, 0 op_sel_hi:[1,0,0]
	v_fma_mix_f32 v94, v76, v94, 0 op_sel_hi:[1,0,0]
	;; [unrolled: 1-line block ×4, first 2 shown]
	v_mul_f32_e32 v91, v91, v35
	v_mov_b32_e32 v93, v15
	v_fma_mix_f32 v91, v92, v47, -v91 op_sel_hi:[0,1,0]
	v_dot4c_i32_i8_e32 v93, v95, v80
	v_add_f32_e32 v7, v7, v91
	v_lshrrev_b16_e32 v91, 8, v82
	v_dot4c_i32_i8_e32 v93, v72, v81
	v_and_b32_sdwa v80, s36, v83 dst_sel:DWORD dst_unused:UNUSED_PAD src0_sel:DWORD src1_sel:BYTE_0
	v_and_b32_sdwa v81, s36, v82 dst_sel:DWORD dst_unused:UNUSED_PAD src0_sel:DWORD src1_sel:BYTE_0
	v_mov_b32_e32 v82, v15
	v_mul_lo_u32 v80, v93, v80
	v_mul_lo_u32 v81, v89, v81
	v_dot4c_i32_i8_e32 v82, v66, v79
	v_lshrrev_b16_e32 v92, 8, v83
	v_cvt_f32_i32_e32 v80, v80
	v_cvt_f32_i32_e32 v81, v81
	v_dot4c_i32_i8_e32 v82, v67, v78
	v_mul_lo_u32 v79, v90, v91
	v_cvt_f32_i32_e32 v79, v79
	v_fma_mix_f32 v80, v76, v80, 0 op_sel_hi:[1,0,0]
	v_mul_lo_u32 v78, v82, v92
	v_cvt_f32_i32_e32 v78, v78
	v_fma_mix_f32 v76, v76, v81, 0 op_sel_hi:[1,0,0]
	v_cvt_f32_f16_e32 v34, v47
	v_fma_mix_f32 v76, v77, v79, v76 op_sel_hi:[1,0,0]
	v_fma_mix_f32 v78, v77, v78, v80 op_sel_hi:[1,0,0]
	v_mul_f32_e32 v76, v76, v71
	v_fma_mix_f32 v76, v78, v44, -v76 op_sel_hi:[0,1,0]
	v_mov_b32_e32 v80, v15
	v_add_f32_e32 v6, v6, v76
	v_mov_b32_e32 v76, v15
	v_dot4c_i32_i8_e32 v80, v75, v62
	v_dot4c_i32_i8_e32 v76, 0x1010101, v62
	v_mov_b32_e32 v77, v15
	v_lshrrev_b16_e32 v79, 8, v70
	v_dot4c_i32_i8_e32 v80, v74, v63
	v_and_b32_sdwa v70, s36, v70 dst_sel:DWORD dst_unused:UNUSED_PAD src0_sel:DWORD src1_sel:BYTE_0
	v_dot4c_i32_i8_e32 v76, 0x1010101, v63
	v_dot4c_i32_i8_e32 v77, 0x1010101, v61
	v_lshrrev_b16_e32 v78, 8, v68
	v_mul_lo_u32 v70, v80, v70
	v_and_b32_sdwa v68, s36, v68 dst_sel:DWORD dst_unused:UNUSED_PAD src0_sel:DWORD src1_sel:BYTE_0
	v_mov_b32_e32 v80, v15
	v_dot4c_i32_i8_e32 v77, 0x1010101, v60
	v_mul_lo_u32 v68, v76, v68
	v_dot4c_i32_i8_e32 v80, v69, v61
	v_cvt_f32_i32_e32 v68, v68
	v_dot4c_i32_i8_e32 v80, v73, v60
	v_mul_lo_u32 v78, v77, v78
	v_cvt_f32_i32_e32 v70, v70
	v_cvt_f32_i32_e32 v78, v78
	v_mul_lo_u32 v79, v80, v79
	v_cvt_f32_i32_e32 v79, v79
	v_fma_mix_f32 v68, v58, v68, 0 op_sel_hi:[1,0,0]
	v_fma_mix_f32 v70, v58, v70, 0 op_sel_hi:[1,0,0]
	;; [unrolled: 1-line block ×4, first 2 shown]
	v_mul_f32_e32 v68, v68, v35
	v_mov_b32_e32 v78, v15
	v_fma_mix_f32 v68, v70, v47, -v68 op_sel_hi:[0,1,0]
	v_dot4c_i32_i8_e32 v78, v95, v62
	v_add_f32_e32 v5, v5, v68
	v_lshrrev_b16_e32 v68, 8, v64
	v_dot4c_i32_i8_e32 v78, v72, v63
	v_and_b32_sdwa v62, s36, v65 dst_sel:DWORD dst_unused:UNUSED_PAD src0_sel:DWORD src1_sel:BYTE_0
	v_and_b32_sdwa v63, s36, v64 dst_sel:DWORD dst_unused:UNUSED_PAD src0_sel:DWORD src1_sel:BYTE_0
	v_mov_b32_e32 v64, v15
	v_mul_lo_u32 v62, v78, v62
	v_mul_lo_u32 v63, v76, v63
	v_dot4c_i32_i8_e32 v64, v66, v61
	v_lshrrev_b16_e32 v70, 8, v65
	v_cvt_f32_i32_e32 v62, v62
	v_cvt_f32_i32_e32 v63, v63
	v_dot4c_i32_i8_e32 v64, v67, v60
	v_mul_lo_u32 v61, v77, v68
	v_cvt_f32_i32_e32 v61, v61
	v_fma_mix_f32 v62, v58, v62, 0 op_sel_hi:[1,0,0]
	v_mul_lo_u32 v60, v64, v70
	v_cvt_f32_i32_e32 v60, v60
	v_fma_mix_f32 v58, v58, v63, 0 op_sel_hi:[1,0,0]
	v_cvt_f32_f16_e32 v32, v107
	v_fma_mix_f32 v58, v59, v61, v58 op_sel_hi:[1,0,0]
	v_fma_mix_f32 v60, v59, v60, v62 op_sel_hi:[1,0,0]
	v_mul_f32_e32 v58, v58, v71
	v_fma_mix_f32 v58, v60, v44, -v58 op_sel_hi:[0,1,0]
	v_mov_b32_e32 v62, v15
	v_add_f32_e32 v4, v4, v58
	v_mov_b32_e32 v58, v15
	v_dot4c_i32_i8_e32 v62, v75, v52
	v_dot4c_i32_i8_e32 v58, 0x1010101, v52
	v_mov_b32_e32 v59, v15
	v_lshrrev_b16_e32 v61, 8, v57
	v_dot4c_i32_i8_e32 v62, v74, v53
	v_and_b32_sdwa v57, s36, v57 dst_sel:DWORD dst_unused:UNUSED_PAD src0_sel:DWORD src1_sel:BYTE_0
	v_dot4c_i32_i8_e32 v58, 0x1010101, v53
	v_dot4c_i32_i8_e32 v59, 0x1010101, v51
	v_lshrrev_b16_e32 v60, 8, v56
	v_mul_lo_u32 v57, v62, v57
	v_and_b32_sdwa v56, s36, v56 dst_sel:DWORD dst_unused:UNUSED_PAD src0_sel:DWORD src1_sel:BYTE_0
	v_mov_b32_e32 v62, v15
	v_dot4c_i32_i8_e32 v59, 0x1010101, v50
	v_mul_lo_u32 v56, v58, v56
	v_dot4c_i32_i8_e32 v62, v69, v51
	v_cvt_f32_i32_e32 v56, v56
	v_dot4c_i32_i8_e32 v62, v73, v50
	v_mul_lo_u32 v60, v59, v60
	v_cvt_f32_i32_e32 v57, v57
	v_cvt_f32_i32_e32 v60, v60
	v_mul_lo_u32 v61, v62, v61
	v_cvt_f32_i32_e32 v61, v61
	v_fma_mix_f32 v56, v48, v56, 0 op_sel_hi:[1,0,0]
	v_fma_mix_f32 v57, v48, v57, 0 op_sel_hi:[1,0,0]
	v_fma_mix_f32 v56, v49, v60, v56 op_sel_hi:[1,0,0]
	v_fma_mix_f32 v57, v49, v61, v57 op_sel_hi:[1,0,0]
	v_mul_f32_e32 v56, v56, v35
	v_mov_b32_e32 v60, v15
	v_fma_mix_f32 v56, v57, v47, -v56 op_sel_hi:[0,1,0]
	v_dot4c_i32_i8_e32 v60, v95, v52
	v_add_f32_e32 v11, v11, v56
	v_lshrrev_b16_e32 v56, 8, v54
	v_dot4c_i32_i8_e32 v60, v72, v53
	v_and_b32_sdwa v52, s36, v55 dst_sel:DWORD dst_unused:UNUSED_PAD src0_sel:DWORD src1_sel:BYTE_0
	v_and_b32_sdwa v53, s36, v54 dst_sel:DWORD dst_unused:UNUSED_PAD src0_sel:DWORD src1_sel:BYTE_0
	v_mov_b32_e32 v54, v15
	v_mul_lo_u32 v52, v60, v52
	v_mul_lo_u32 v53, v58, v53
	v_dot4c_i32_i8_e32 v54, v66, v51
	v_lshrrev_b16_e32 v57, 8, v55
	v_cvt_f32_i32_e32 v52, v52
	v_cvt_f32_i32_e32 v53, v53
	v_dot4c_i32_i8_e32 v54, v67, v50
	v_mul_lo_u32 v51, v59, v56
	v_cvt_f32_i32_e32 v51, v51
	v_fma_mix_f32 v52, v48, v52, 0 op_sel_hi:[1,0,0]
	v_mul_lo_u32 v50, v54, v57
	v_cvt_f32_i32_e32 v50, v50
	v_fma_mix_f32 v48, v48, v53, 0 op_sel_hi:[1,0,0]
	v_bfe_u32 v53, v46, 16, 8
	v_fma_mix_f32 v48, v49, v51, v48 op_sel_hi:[1,0,0]
	v_fma_mix_f32 v50, v49, v50, v52 op_sel_hi:[1,0,0]
	v_mul_f32_e32 v48, v48, v71
	v_fma_mix_f32 v48, v50, v44, -v48 op_sel_hi:[0,1,0]
	v_mov_b32_e32 v52, v15
	v_add_f32_e32 v10, v10, v48
	v_mov_b32_e32 v48, v15
	v_dot4c_i32_i8_e32 v52, v75, v43
	v_dot4c_i32_i8_e32 v48, 0x1010101, v43
	v_mov_b32_e32 v49, v15
	v_dot4c_i32_i8_e32 v52, v74, v42
	v_dot4c_i32_i8_e32 v48, 0x1010101, v42
	;; [unrolled: 1-line block ×3, first 2 shown]
	v_lshrrev_b16_e32 v50, 8, v46
	v_lshrrev_b32_e32 v51, 24, v46
	v_mul_lo_u32 v52, v52, v53
	v_and_b32_e32 v46, 0xff, v46
	v_mov_b32_e32 v53, v15
	v_dot4c_i32_i8_e32 v49, 0x1010101, v40
	v_mul_lo_u32 v46, v48, v46
	v_dot4c_i32_i8_e32 v53, v69, v41
	v_cvt_f32_i32_e32 v46, v46
	v_dot4c_i32_i8_e32 v53, v73, v40
	v_mul_lo_u32 v50, v49, v50
	v_cvt_f32_i32_e32 v52, v52
	v_cvt_f32_i32_e32 v50, v50
	v_mul_lo_u32 v51, v53, v51
	v_cvt_f32_i32_e32 v51, v51
	v_fma_mix_f32 v46, v38, v46, 0 op_sel_hi:[1,0,0]
	v_fma_mix_f32 v52, v38, v52, 0 op_sel_hi:[1,0,0]
	;; [unrolled: 1-line block ×4, first 2 shown]
	v_mul_f32_e32 v46, v46, v35
	v_mov_b32_e32 v50, v15
	v_fma_mix_f32 v46, v51, v47, -v46 op_sel_hi:[0,1,0]
	v_dot4c_i32_i8_e32 v50, v95, v43
	v_add_f32_e32 v9, v9, v46
	v_lshrrev_b16_e32 v46, 8, v45
	v_lshrrev_b32_e32 v47, 24, v45
	v_dot4c_i32_i8_e32 v50, v72, v42
	v_bfe_u32 v42, v45, 16, 8
	v_and_b32_e32 v43, 0xff, v45
	v_mov_b32_e32 v45, v15
	v_dot4c_i32_i8_e32 v45, v66, v41
	v_mul_lo_u32 v42, v50, v42
	v_mul_lo_u32 v43, v48, v43
	v_dot4c_i32_i8_e32 v45, v67, v40
	v_cvt_f32_i32_e32 v42, v42
	v_cvt_f32_i32_e32 v43, v43
	v_mul_lo_u32 v41, v49, v46
	v_mul_lo_u32 v40, v45, v47
	v_cvt_f32_i32_e32 v40, v40
	v_cvt_f32_i32_e32 v41, v41
	v_fma_mix_f32 v42, v38, v42, 0 op_sel_hi:[1,0,0]
	v_fma_mix_f32 v38, v38, v43, 0 op_sel_hi:[1,0,0]
	;; [unrolled: 1-line block ×4, first 2 shown]
	v_mov_b32_e32 v39, v15
	v_mul_f32_e32 v43, v38, v71
	v_pk_lshrrev_b16 v38, 8, v31 op_sel_hi:[0,1]
	v_dot4c_i32_i8_e32 v39, v75, v87
	v_and_b32_e32 v31, 0xff00ff, v31
	v_mov_b32_e32 v40, v15
	v_dot4c_i32_i8_e32 v39, v74, v88
	v_dot4c_i32_i8_e32 v40, v69, v86
	v_lshrrev_b32_e32 v41, 16, v38
	v_and_b32_e32 v45, 0xff, v38
	v_lshrrev_b32_e32 v38, 16, v31
	v_and_b32_e32 v31, 0xff, v31
	v_dot4c_i32_i8_e32 v40, v73, v85
	v_mul_lo_u32 v31, v39, v31
	v_mul_lo_u32 v33, v33, v38
	v_cvt_f32_i32_e32 v38, v31
	v_cvt_f32_i32_e32 v39, v33
	v_mul_lo_u32 v31, v40, v45
	v_mul_lo_u32 v33, v84, v41
	v_cvt_f32_i32_e32 v40, v31
	v_cvt_f32_i32_e32 v41, v33
	v_fma_mix_f32 v31, v42, v44, -v43 op_sel_hi:[0,1,0]
	v_pk_fma_f32 v[32:33], v[32:33], v[38:39], 0 op_sel_hi:[0,1,0]
	v_add_f32_e32 v8, v8, v31
	v_pk_fma_f32 v[30:31], v[30:31], v[40:41], v[32:33] op_sel_hi:[0,1,1]
	v_pk_mul_f32 v[30:31], v[30:31], v[34:35]
	v_add_u32_e32 v19, 4, v19
	v_sub_f32_e32 v30, v30, v31
	v_cmp_le_u32_e64 s[6:7], s5, v19
	v_add_f32_e32 v27, v27, v30
	v_lshl_add_u64 v[24:25], v[24:25], 0, s[16:17]
	s_or_b64 s[12:13], s[6:7], s[12:13]
	v_add_u32_e32 v37, 32, v37
	s_andn2_b64 exec, exec, s[12:13]
	s_cbranch_execz .LBB142_55
.LBB142_3:                              ; =>This Inner Loop Header: Depth=1
	v_lshl_add_u64 v[30:31], v[24:25], 0, v[20:21]
	global_load_dword v38, v[24:25], off offset:-36
	global_load_dword v39, v[24:25], off
	global_load_dword v42, v[30:31], off offset:-32
	global_load_dword v43, v[30:31], off offset:-16
	global_load_dword v40, v[30:31], off offset:4
	global_load_dword v41, v[30:31], off offset:20
	v_add_u32_e32 v30, s11, v19
	v_mad_i64_i32 v[32:33], s[6:7], v30, s27, v[28:29]
	v_lshl_add_u64 v[30:31], v[32:33], 0, v[20:21]
	v_lshl_add_u64 v[34:35], v[30:31], 0, v[16:17]
	global_load_dword v66, v[34:35], off offset:64
	global_load_dword v71, v[30:31], off offset:16
	;; [unrolled: 1-line block ×4, first 2 shown]
	v_lshl_add_u64 v[30:31], v[32:33], 0, v[14:15]
                                        ; implicit-def: $vgpr45
                                        ; implicit-def: $vgpr85
                                        ; implicit-def: $vgpr86
	s_and_saveexec_b64 s[6:7], vcc
	s_xor_b64 s[6:7], exec, s[6:7]
	s_cbranch_execz .LBB142_5
; %bb.4:                                ;   in Loop: Header=BB142_3 Depth=1
	global_load_ushort v85, v[30:31], off offset:8
	global_load_ushort v86, v[30:31], off offset:4
	global_load_ushort v34, v[30:31], off
	s_waitcnt vmcnt(1)
	v_lshrrev_b16_e32 v35, 2, v86
	s_waitcnt vmcnt(0)
	v_perm_b32 v34, v34, v85, s28
	v_perm_b32 v35, v85, v35, s28
	v_pk_lshrrev_b16 v34, s29, v34
	v_and_b32_e32 v35, 0xf0f3030, v35
	v_and_or_b32 v45, v34, s30, v35
.LBB142_5:                              ;   in Loop: Header=BB142_3 Depth=1
	s_andn2_saveexec_b64 s[6:7], s[6:7]
	s_cbranch_execz .LBB142_7
; %bb.6:                                ;   in Loop: Header=BB142_3 Depth=1
	global_load_ushort v86, v[30:31], off offset:4
	global_load_ushort v85, v[30:31], off offset:8
	s_waitcnt vmcnt(0)
	v_perm_b32 v34, v86, v85, s28
	v_and_b32_e32 v45, 0x3f3f3f3f, v34
.LBB142_7:                              ;   in Loop: Header=BB142_3 Depth=1
	s_or_b64 exec, exec, s[6:7]
	v_add_u32_e32 v44, s8, v19
	v_mov_b64_e32 v[34:35], s[20:21]
	v_mad_i64_i32 v[34:35], s[6:7], v44, s27, v[34:35]
	v_lshl_add_u64 v[46:47], v[34:35], 0, v[20:21]
	v_lshl_add_u64 v[48:49], v[46:47], 0, v[16:17]
	global_load_dword v69, v[48:49], off offset:64
	global_load_dword v44, v[32:33], off
	global_load_dword v74, v[46:47], off offset:16
	global_load_dword v73, v[48:49], off offset:48
	;; [unrolled: 1-line block ×3, first 2 shown]
	v_lshl_add_u64 v[32:33], v[34:35], 0, v[14:15]
                                        ; implicit-def: $vgpr84
                                        ; implicit-def: $vgpr46
	s_and_saveexec_b64 s[6:7], vcc
	s_xor_b64 s[6:7], exec, s[6:7]
	s_cbranch_execz .LBB142_9
; %bb.8:                                ;   in Loop: Header=BB142_3 Depth=1
	global_load_ushort v47, v[32:33], off offset:8
	global_load_ushort v48, v[32:33], off offset:4
	global_load_ushort v46, v[32:33], off
	s_waitcnt vmcnt(1)
	v_lshrrev_b16_e32 v49, 2, v48
	s_waitcnt vmcnt(0)
	v_perm_b32 v46, v46, v47, s28
	v_perm_b32 v49, v47, v49, s28
	v_pk_lshrrev_b16 v46, s29, v46
	v_and_b32_e32 v49, 0xf0f3030, v49
	v_and_or_b32 v46, v46, s30, v49
	v_perm_b32 v84, v47, v48, s28
.LBB142_9:                              ;   in Loop: Header=BB142_3 Depth=1
	s_andn2_saveexec_b64 s[6:7], s[6:7]
	s_cbranch_execz .LBB142_11
; %bb.10:                               ;   in Loop: Header=BB142_3 Depth=1
	global_load_ushort v47, v[32:33], off offset:4
	global_load_ushort v48, v[32:33], off offset:8
	s_waitcnt vmcnt(0)
	v_perm_b32 v46, v47, v48, s28
	v_and_b32_e32 v46, 0x3f3f3f3f, v46
	v_perm_b32 v84, v48, v47, s28
.LBB142_11:                             ;   in Loop: Header=BB142_3 Depth=1
	s_or_b64 exec, exec, s[6:7]
	global_load_dword v47, v[34:35], off
	v_add_u32_e32 v34, s9, v37
	v_mad_u64_u32 v[54:55], s[6:7], v34, 36, v[22:23]
	v_lshlrev_b32_e32 v34, 2, v18
	v_mov_b32_e32 v35, v15
	v_lshl_add_u64 v[56:57], v[54:55], 0, v[34:35]
	global_load_dword v48, v[54:55], off
	global_load_dword v52, v[56:57], off offset:20
	global_load_dword v50, v[56:57], off offset:40
	;; [unrolled: 1-line block ×5, first 2 shown]
	v_lshrrev_b16_e32 v35, 4, v85
	v_lshrrev_b16_e32 v54, 2, v86
	v_and_b32_e32 v95, 0xf0f, v85
	v_and_b32_e32 v96, 0xf0f, v35
	;; [unrolled: 1-line block ×3, first 2 shown]
                                        ; implicit-def: $vgpr55
                                        ; implicit-def: $vgpr54
	s_and_saveexec_b64 s[6:7], vcc
	s_xor_b64 s[6:7], exec, s[6:7]
	s_cbranch_execz .LBB142_13
; %bb.12:                               ;   in Loop: Header=BB142_3 Depth=1
	global_load_ushort v35, v[30:31], off
	v_or_b32_e32 v54, v97, v96
	s_waitcnt vmcnt(0)
	v_lshrrev_b16_e32 v35, 2, v35
	v_and_b32_e32 v35, 0x3030, v35
	v_or_b32_e32 v55, v35, v95
.LBB142_13:                             ;   in Loop: Header=BB142_3 Depth=1
	s_or_saveexec_b64 s[6:7], s[6:7]
	v_and_b32_e32 v91, 0x3f3f, v86
	v_and_b32_e32 v92, 0x3f3f, v85
	s_xor_b64 exec, exec, s[6:7]
; %bb.14:                               ;   in Loop: Header=BB142_3 Depth=1
	v_and_b32_e32 v55, 0x3f3f, v86
	v_and_b32_e32 v54, 0x3f3f, v85
; %bb.15:                               ;   in Loop: Header=BB142_3 Depth=1
	s_or_b64 exec, exec, s[6:7]
	v_lshrrev_b32_e32 v99, 20, v84
	v_and_b32_sdwa v87, v84, s31 dst_sel:DWORD dst_unused:UNUSED_PAD src0_sel:WORD_1 src1_sel:DWORD
	v_and_b32_e32 v88, 0xf0f, v99
	v_lshrrev_b16_e32 v107, 2, v84
                                        ; implicit-def: $vgpr57
                                        ; implicit-def: $vgpr56
	s_and_saveexec_b64 s[6:7], vcc
	s_xor_b64 s[6:7], exec, s[6:7]
	s_cbranch_execz .LBB142_17
; %bb.16:                               ;   in Loop: Header=BB142_3 Depth=1
	global_load_ushort v35, v[32:33], off
	v_and_b32_e32 v56, 0x3030, v107
	v_or_b32_e32 v56, v56, v88
	s_waitcnt vmcnt(0)
	v_lshrrev_b16_e32 v35, 2, v35
	v_and_b32_e32 v35, 0x3030, v35
	v_or_b32_e32 v57, v35, v87
.LBB142_17:                             ;   in Loop: Header=BB142_3 Depth=1
	s_or_saveexec_b64 s[6:7], s[6:7]
	v_and_b32_e32 v89, 0x3f3f, v84
	v_and_b32_sdwa v90, v84, s33 dst_sel:DWORD dst_unused:UNUSED_PAD src0_sel:WORD_1 src1_sel:DWORD
	s_xor_b64 exec, exec, s[6:7]
; %bb.18:                               ;   in Loop: Header=BB142_3 Depth=1
	v_and_b32_e32 v57, 0x3f3f, v84
	v_and_b32_sdwa v56, v84, s33 dst_sel:DWORD dst_unused:UNUSED_PAD src0_sel:WORD_1 src1_sel:DWORD
; %bb.19:                               ;   in Loop: Header=BB142_3 Depth=1
	s_or_b64 exec, exec, s[6:7]
	v_add_u32_e32 v35, s15, v37
	v_mad_u64_u32 v[64:65], s[6:7], v35, 36, v[22:23]
	v_mov_b32_e32 v35, v15
	v_lshl_add_u64 v[76:77], v[64:65], 0, v[34:35]
	global_load_dword v58, v[64:65], off
	global_load_dword v62, v[76:77], off offset:20
	global_load_dword v60, v[76:77], off offset:40
	;; [unrolled: 1-line block ×5, first 2 shown]
                                        ; implicit-def: $vgpr65
                                        ; implicit-def: $vgpr64
	s_and_saveexec_b64 s[6:7], vcc
	s_xor_b64 s[6:7], exec, s[6:7]
	s_cbranch_execz .LBB142_21
; %bb.20:                               ;   in Loop: Header=BB142_3 Depth=1
	global_load_ushort v35, v[30:31], off
	v_or_b32_e32 v64, v97, v96
	s_waitcnt vmcnt(0)
	v_lshrrev_b16_e32 v35, 2, v35
	v_and_b32_e32 v35, 0x3030, v35
	v_or_b32_e32 v65, v35, v95
	s_andn2_saveexec_b64 s[6:7], s[6:7]
	s_branch .LBB142_22
.LBB142_21:                             ;   in Loop: Header=BB142_3 Depth=1
	s_andn2_saveexec_b64 s[6:7], s[6:7]
.LBB142_22:                             ;   in Loop: Header=BB142_3 Depth=1
	v_and_b32_e32 v65, 0x3f3f, v86
	v_and_b32_e32 v64, 0x3f3f, v85
; %bb.23:                               ;   in Loop: Header=BB142_3 Depth=1
	s_or_b64 exec, exec, s[6:7]
                                        ; implicit-def: $vgpr70
                                        ; implicit-def: $vgpr68
	s_and_saveexec_b64 s[6:7], vcc
	s_xor_b64 s[6:7], exec, s[6:7]
	s_cbranch_execz .LBB142_25
; %bb.24:                               ;   in Loop: Header=BB142_3 Depth=1
	global_load_ushort v35, v[32:33], off
	v_and_b32_e32 v68, 0x3030, v107
	v_or_b32_e32 v68, v68, v88
	s_waitcnt vmcnt(0)
	v_lshrrev_b16_e32 v35, 2, v35
	v_and_b32_e32 v35, 0x3030, v35
	v_or_b32_e32 v70, v35, v87
	s_andn2_saveexec_b64 s[6:7], s[6:7]
	s_cbranch_execnz .LBB142_26
	s_branch .LBB142_27
.LBB142_25:                             ;   in Loop: Header=BB142_3 Depth=1
	s_andn2_saveexec_b64 s[6:7], s[6:7]
.LBB142_26:                             ;   in Loop: Header=BB142_3 Depth=1
	v_and_b32_e32 v70, 0x3f3f, v84
	v_and_b32_sdwa v68, v84, s33 dst_sel:DWORD dst_unused:UNUSED_PAD src0_sel:WORD_1 src1_sel:DWORD
.LBB142_27:                             ;   in Loop: Header=BB142_3 Depth=1
	s_or_b64 exec, exec, s[6:7]
	v_add_u32_e32 v35, s19, v37
	v_mad_u64_u32 v[82:83], s[6:7], v35, 36, v[22:23]
	v_mov_b32_e32 v35, v15
	v_lshl_add_u64 v[100:101], v[82:83], 0, v[34:35]
	global_load_dword v76, v[82:83], off
	global_load_dword v80, v[100:101], off offset:20
	global_load_dword v78, v[100:101], off offset:40
	;; [unrolled: 1-line block ×5, first 2 shown]
                                        ; implicit-def: $vgpr83
                                        ; implicit-def: $vgpr82
	s_and_saveexec_b64 s[6:7], vcc
	s_xor_b64 s[6:7], exec, s[6:7]
	s_cbranch_execz .LBB142_29
; %bb.28:                               ;   in Loop: Header=BB142_3 Depth=1
	global_load_ushort v35, v[30:31], off
	v_or_b32_e32 v82, v97, v96
	s_waitcnt vmcnt(0)
	v_lshrrev_b16_e32 v35, 2, v35
	v_and_b32_e32 v35, 0x3030, v35
	v_or_b32_e32 v83, v35, v95
	s_andn2_saveexec_b64 s[6:7], s[6:7]
	s_branch .LBB142_30
.LBB142_29:                             ;   in Loop: Header=BB142_3 Depth=1
	s_andn2_saveexec_b64 s[6:7], s[6:7]
.LBB142_30:                             ;   in Loop: Header=BB142_3 Depth=1
	v_and_b32_e32 v83, 0x3f3f, v86
	v_and_b32_e32 v82, 0x3f3f, v85
; %bb.31:                               ;   in Loop: Header=BB142_3 Depth=1
	s_or_b64 exec, exec, s[6:7]
                                        ; implicit-def: $vgpr94
                                        ; implicit-def: $vgpr93
	s_and_saveexec_b64 s[6:7], vcc
	s_xor_b64 s[6:7], exec, s[6:7]
	s_cbranch_execz .LBB142_33
; %bb.32:                               ;   in Loop: Header=BB142_3 Depth=1
	global_load_ushort v35, v[32:33], off
	v_and_b32_e32 v93, 0x3030, v107
	v_or_b32_e32 v93, v93, v88
	s_waitcnt vmcnt(0)
	v_lshrrev_b16_e32 v35, 2, v35
	v_and_b32_e32 v35, 0x3030, v35
	v_or_b32_e32 v94, v35, v87
	s_andn2_saveexec_b64 s[6:7], s[6:7]
	s_cbranch_execnz .LBB142_34
	s_branch .LBB142_35
.LBB142_33:                             ;   in Loop: Header=BB142_3 Depth=1
	s_andn2_saveexec_b64 s[6:7], s[6:7]
.LBB142_34:                             ;   in Loop: Header=BB142_3 Depth=1
	v_and_b32_e32 v94, 0x3f3f, v84
	v_and_b32_sdwa v93, v84, s33 dst_sel:DWORD dst_unused:UNUSED_PAD src0_sel:WORD_1 src1_sel:DWORD
.LBB142_35:                             ;   in Loop: Header=BB142_3 Depth=1
	s_or_b64 exec, exec, s[6:7]
	v_add_u32_e32 v35, s22, v37
	v_mad_u64_u32 v[108:109], s[6:7], v35, 36, v[22:23]
	v_mov_b32_e32 v35, v15
	v_lshl_add_u64 v[110:111], v[108:109], 0, v[34:35]
	global_load_dword v98, v[108:109], off
	global_load_dword v103, v[110:111], off offset:20
	global_load_dword v101, v[110:111], off offset:40
	;; [unrolled: 1-line block ×5, first 2 shown]
                                        ; implicit-def: $vgpr106
                                        ; implicit-def: $vgpr105
	s_and_saveexec_b64 s[6:7], vcc
	s_xor_b64 s[6:7], exec, s[6:7]
	s_cbranch_execz .LBB142_37
; %bb.36:                               ;   in Loop: Header=BB142_3 Depth=1
	global_load_ushort v35, v[30:31], off
	v_or_b32_e32 v105, v97, v96
	s_waitcnt vmcnt(0)
	v_lshrrev_b16_e32 v35, 2, v35
	v_and_b32_e32 v35, 0x3030, v35
	v_or_b32_e32 v106, v35, v95
	s_andn2_saveexec_b64 s[6:7], s[6:7]
	s_branch .LBB142_38
.LBB142_37:                             ;   in Loop: Header=BB142_3 Depth=1
	s_andn2_saveexec_b64 s[6:7], s[6:7]
.LBB142_38:                             ;   in Loop: Header=BB142_3 Depth=1
	v_and_b32_e32 v106, 0x3f3f, v86
	v_and_b32_e32 v105, 0x3f3f, v85
; %bb.39:                               ;   in Loop: Header=BB142_3 Depth=1
	s_or_b64 exec, exec, s[6:7]
                                        ; implicit-def: $vgpr109
                                        ; implicit-def: $vgpr108
	s_and_saveexec_b64 s[6:7], vcc
	s_xor_b64 s[6:7], exec, s[6:7]
	s_cbranch_execz .LBB142_41
; %bb.40:                               ;   in Loop: Header=BB142_3 Depth=1
	global_load_ushort v35, v[32:33], off
	v_and_b32_e32 v108, 0x3030, v107
	v_or_b32_e32 v108, v108, v88
	s_waitcnt vmcnt(0)
	v_lshrrev_b16_e32 v35, 2, v35
	v_and_b32_e32 v35, 0x3030, v35
	v_or_b32_e32 v109, v35, v87
	s_andn2_saveexec_b64 s[6:7], s[6:7]
	s_cbranch_execnz .LBB142_42
	s_branch .LBB142_43
.LBB142_41:                             ;   in Loop: Header=BB142_3 Depth=1
	s_andn2_saveexec_b64 s[6:7], s[6:7]
.LBB142_42:                             ;   in Loop: Header=BB142_3 Depth=1
	v_and_b32_e32 v109, 0x3f3f, v84
	v_and_b32_sdwa v108, v84, s33 dst_sel:DWORD dst_unused:UNUSED_PAD src0_sel:WORD_1 src1_sel:DWORD
.LBB142_43:                             ;   in Loop: Header=BB142_3 Depth=1
	s_or_b64 exec, exec, s[6:7]
	v_add_u32_e32 v35, s23, v37
	v_mad_u64_u32 v[116:117], s[6:7], v35, 36, v[22:23]
	v_mov_b32_e32 v35, v15
	v_lshl_add_u64 v[118:119], v[116:117], 0, v[34:35]
	global_load_dword v110, v[116:117], off
	global_load_dword v114, v[118:119], off offset:20
	global_load_dword v112, v[118:119], off offset:40
	;; [unrolled: 1-line block ×5, first 2 shown]
                                        ; implicit-def: $vgpr117
                                        ; implicit-def: $vgpr116
	s_and_saveexec_b64 s[6:7], vcc
	s_xor_b64 s[6:7], exec, s[6:7]
	s_cbranch_execz .LBB142_53
; %bb.44:                               ;   in Loop: Header=BB142_3 Depth=1
	global_load_ushort v35, v[30:31], off
	v_or_b32_e32 v116, v97, v96
                                        ; implicit-def: $vgpr86
                                        ; implicit-def: $vgpr85
	s_waitcnt vmcnt(0)
	v_lshrrev_b16_e32 v35, 2, v35
	v_and_b32_e32 v35, 0x3030, v35
	v_or_b32_e32 v117, v35, v95
	s_andn2_saveexec_b64 s[6:7], s[6:7]
	s_cbranch_execnz .LBB142_54
.LBB142_45:                             ;   in Loop: Header=BB142_3 Depth=1
	s_or_b64 exec, exec, s[6:7]
	s_and_saveexec_b64 s[6:7], vcc
	s_xor_b64 s[6:7], exec, s[6:7]
	s_cbranch_execz .LBB142_47
.LBB142_46:                             ;   in Loop: Header=BB142_3 Depth=1
	global_load_ushort v35, v[32:33], off
	v_and_b32_e32 v85, 0x3030, v107
	v_or_b32_e32 v90, v85, v88
	s_waitcnt vmcnt(0)
	v_lshrrev_b16_e32 v35, 2, v35
	v_and_b32_e32 v35, 0x3030, v35
	v_or_b32_e32 v89, v35, v87
.LBB142_47:                             ;   in Loop: Header=BB142_3 Depth=1
	s_andn2_saveexec_b64 s[6:7], s[6:7]
	s_or_b64 exec, exec, s[6:7]
	v_add_u32_e32 v35, s26, v37
	v_mad_u64_u32 v[118:119], s[6:7], v35, 36, v[22:23]
	v_mov_b32_e32 v35, v15
	v_lshl_add_u64 v[120:121], v[118:119], 0, v[34:35]
	global_load_dword v107, v[118:119], off
	global_load_dword v87, v[120:121], off offset:20
	global_load_dword v85, v[120:121], off offset:40
	;; [unrolled: 1-line block ×5, first 2 shown]
	s_and_saveexec_b64 s[6:7], vcc
	s_xor_b64 s[6:7], exec, s[6:7]
	s_cbranch_execz .LBB142_49
; %bb.48:                               ;   in Loop: Header=BB142_3 Depth=1
	global_load_ushort v30, v[30:31], off
	v_or_b32_e32 v92, v97, v96
	s_waitcnt vmcnt(0)
	v_lshrrev_b16_e32 v30, 2, v30
	v_and_b32_e32 v30, 0x3030, v30
	v_or_b32_e32 v91, v30, v95
.LBB142_49:                             ;   in Loop: Header=BB142_3 Depth=1
	s_andn2_saveexec_b64 s[6:7], s[6:7]
	s_or_b64 exec, exec, s[6:7]
                                        ; implicit-def: $vgpr31
	s_and_saveexec_b64 s[6:7], vcc
	s_xor_b64 s[6:7], exec, s[6:7]
	s_cbranch_execz .LBB142_51
; %bb.50:                               ;   in Loop: Header=BB142_3 Depth=1
	global_load_ushort v30, v[32:33], off
	v_alignbit_b32 v31, v99, v84, 16
	v_and_b32_e32 v31, 0xf0f0f0f, v31
	s_waitcnt vmcnt(0)
	v_perm_b32 v30, v84, v30, s28
	v_pk_lshrrev_b16 v30, 2, v30 op_sel_hi:[0,1]
	v_and_or_b32 v31, v30, s34, v31
                                        ; implicit-def: $vgpr84
.LBB142_51:                             ;   in Loop: Header=BB142_3 Depth=1
	s_andn2_saveexec_b64 s[6:7], s[6:7]
	s_cbranch_execz .LBB142_2
; %bb.52:                               ;   in Loop: Header=BB142_3 Depth=1
	v_and_b32_e32 v31, 0x3f3f3f3f, v84
	s_branch .LBB142_2
.LBB142_53:                             ;   in Loop: Header=BB142_3 Depth=1
	s_andn2_saveexec_b64 s[6:7], s[6:7]
	s_cbranch_execz .LBB142_45
.LBB142_54:                             ;   in Loop: Header=BB142_3 Depth=1
	v_and_b32_e32 v117, 0x3f3f, v86
	v_and_b32_e32 v116, 0x3f3f, v85
	s_or_b64 exec, exec, s[6:7]
	s_and_saveexec_b64 s[6:7], vcc
	s_xor_b64 s[6:7], exec, s[6:7]
	s_cbranch_execnz .LBB142_46
	s_branch .LBB142_47
.LBB142_55:
	s_or_b64 exec, exec, s[12:13]
	scratch_store_dwordx4 off, v[8:11], off
	scratch_store_dwordx4 off, v[4:7], off offset:16
	scratch_store_dwordx4 off, v[0:3], off offset:32
	scratch_store_dwordx2 off, v[26:27], off offset:48
.LBB142_56:
	s_or_b64 exec, exec, s[24:25]
	s_mov_b32 s5, 0
	v_cmp_eq_u32_e32 vcc, 0, v13
	s_waitcnt lgkmcnt(0)
	; wave barrier
	s_and_saveexec_b64 s[6:7], vcc
	s_cbranch_execz .LBB142_71
; %bb.57:
	scratch_load_dwordx2 v[2:3], off, off
	v_mbcnt_lo_u32_b32 v0, -1, 0
	v_mbcnt_hi_u32_b32 v13, -1, v0
	s_load_dwordx2 s[6:7], s[0:1], 0x38
	s_mul_i32 s0, s3, s14
	v_or_b32_e32 v1, s2, v12
	v_and_b32_e32 v0, 64, v13
	s_mul_i32 s4, s4, s18
	s_add_i32 s2, s0, s2
	v_cmp_gt_u32_e64 s[0:1], s10, v1
	v_xor_b32_e32 v1, 32, v13
	v_add_u32_e32 v14, 64, v0
	s_add_i32 s4, s2, s4
	v_cmp_lt_i32_e64 s[2:3], v1, v14
	v_cmp_gt_u32_e32 vcc, 2, v12
	s_nop 0
	v_cndmask_b32_e64 v0, v13, v1, s[2:3]
	v_lshlrev_b32_e32 v0, 2, v0
	v_xor_b32_e32 v1, 16, v13
	v_cmp_lt_i32_e64 s[2:3], v1, v14
	s_waitcnt vmcnt(0)
	ds_bpermute_b32 v4, v0, v2
	ds_bpermute_b32 v5, v0, v3
	v_cndmask_b32_e64 v1, v13, v1, s[2:3]
	v_lshlrev_b32_e32 v1, 2, v1
	s_waitcnt lgkmcnt(0)
	v_pk_add_f32 v[4:5], v[2:3], v[4:5]
	ds_bpermute_b32 v6, v1, v4
	ds_bpermute_b32 v7, v1, v5
	v_xor_b32_e32 v2, 8, v13
	v_cmp_lt_i32_e64 s[2:3], v2, v14
	v_xor_b32_e32 v3, 4, v13
	s_waitcnt lgkmcnt(0)
	v_pk_add_f32 v[4:5], v[4:5], v[6:7]
	v_cndmask_b32_e64 v2, v13, v2, s[2:3]
	v_lshlrev_b32_e32 v2, 2, v2
	ds_bpermute_b32 v6, v2, v4
	ds_bpermute_b32 v7, v2, v5
	v_cmp_lt_i32_e64 s[2:3], v3, v14
	s_waitcnt lgkmcnt(0)
	v_pk_add_f32 v[6:7], v[4:5], v[6:7]
	v_cndmask_b32_e64 v3, v13, v3, s[2:3]
	v_lshlrev_b32_e32 v3, 2, v3
	ds_bpermute_b32 v8, v3, v6
	ds_bpermute_b32 v9, v3, v7
	v_xor_b32_e32 v4, 2, v13
	v_cmp_lt_i32_e64 s[2:3], v4, v14
	v_xor_b32_e32 v5, 1, v13
	s_waitcnt lgkmcnt(0)
	v_pk_add_f32 v[8:9], v[6:7], v[8:9]
	v_cndmask_b32_e64 v4, v13, v4, s[2:3]
	v_lshlrev_b32_e32 v4, 2, v4
	ds_bpermute_b32 v10, v4, v8
	ds_bpermute_b32 v11, v4, v9
	v_cmp_lt_i32_e64 s[2:3], v5, v14
	s_waitcnt lgkmcnt(0)
	v_pk_add_f32 v[8:9], v[8:9], v[10:11]
	v_cndmask_b32_e64 v5, v13, v5, s[2:3]
	v_lshlrev_b32_e32 v6, 2, v5
	ds_bpermute_b32 v10, v6, v8
	ds_bpermute_b32 v11, v6, v9
	s_lshl_b64 s[2:3], s[4:5], 2
	s_add_u32 s2, s6, s2
	s_addc_u32 s3, s7, s3
	s_and_b64 s[0:1], vcc, s[0:1]
	s_waitcnt lgkmcnt(0)
	v_pk_add_f32 v[8:9], v[8:9], v[10:11]
	v_lshlrev_b32_e32 v5, 2, v12
	scratch_store_dwordx2 off, v[8:9], off
	s_and_saveexec_b64 s[4:5], s[0:1]
	s_cbranch_execz .LBB142_59
; %bb.58:
	scratch_load_dword v7, v5, off
	s_waitcnt vmcnt(0)
	global_store_dword v5, v7, s[2:3]
.LBB142_59:
	s_or_b64 exec, exec, s[4:5]
	scratch_load_dwordx2 v[8:9], off, off offset:8
	s_waitcnt vmcnt(0)
	ds_bpermute_b32 v10, v0, v8
	ds_bpermute_b32 v11, v0, v9
	s_waitcnt lgkmcnt(0)
	v_pk_add_f32 v[8:9], v[8:9], v[10:11]
	ds_bpermute_b32 v10, v1, v8
	ds_bpermute_b32 v11, v1, v9
	s_waitcnt lgkmcnt(0)
	v_pk_add_f32 v[8:9], v[8:9], v[10:11]
	;; [unrolled: 4-line block ×6, first 2 shown]
	scratch_store_dwordx2 off, v[8:9], off offset:8
	s_and_saveexec_b64 s[4:5], s[0:1]
	s_cbranch_execz .LBB142_61
; %bb.60:
	scratch_load_dword v7, v5, off offset:8
	v_add_u32_e32 v8, s10, v12
	v_mov_b32_e32 v9, 0
	v_lshl_add_u64 v[8:9], v[8:9], 2, s[2:3]
	s_waitcnt vmcnt(0)
	global_store_dword v[8:9], v7, off
.LBB142_61:
	s_or_b64 exec, exec, s[4:5]
	scratch_load_dwordx2 v[8:9], off, off offset:16
	s_waitcnt vmcnt(0)
	ds_bpermute_b32 v10, v0, v8
	ds_bpermute_b32 v11, v0, v9
	s_waitcnt lgkmcnt(0)
	v_pk_add_f32 v[8:9], v[8:9], v[10:11]
	ds_bpermute_b32 v10, v1, v8
	ds_bpermute_b32 v11, v1, v9
	s_waitcnt lgkmcnt(0)
	v_pk_add_f32 v[8:9], v[8:9], v[10:11]
	;; [unrolled: 4-line block ×6, first 2 shown]
	scratch_store_dwordx2 off, v[8:9], off offset:16
	s_and_saveexec_b64 s[4:5], s[0:1]
	s_cbranch_execz .LBB142_63
; %bb.62:
	scratch_load_dword v7, v5, off offset:16
	v_lshl_or_b32 v8, s10, 1, v12
	v_mov_b32_e32 v9, 0
	v_lshl_add_u64 v[8:9], v[8:9], 2, s[2:3]
	s_waitcnt vmcnt(0)
	global_store_dword v[8:9], v7, off
.LBB142_63:
	s_or_b64 exec, exec, s[4:5]
	scratch_load_dwordx2 v[8:9], off, off offset:24
	s_waitcnt vmcnt(0)
	ds_bpermute_b32 v10, v0, v8
	ds_bpermute_b32 v11, v0, v9
	s_waitcnt lgkmcnt(0)
	v_pk_add_f32 v[8:9], v[8:9], v[10:11]
	ds_bpermute_b32 v10, v1, v8
	ds_bpermute_b32 v11, v1, v9
	s_waitcnt lgkmcnt(0)
	v_pk_add_f32 v[8:9], v[8:9], v[10:11]
	;; [unrolled: 4-line block ×6, first 2 shown]
	scratch_store_dwordx2 off, v[8:9], off offset:24
	s_and_saveexec_b64 s[4:5], s[0:1]
	s_cbranch_execz .LBB142_65
; %bb.64:
	scratch_load_dword v7, v5, off offset:24
	v_mad_u64_u32 v[8:9], s[6:7], s10, 3, v[12:13]
	v_mov_b32_e32 v9, 0
	v_lshl_add_u64 v[8:9], v[8:9], 2, s[2:3]
	s_waitcnt vmcnt(0)
	global_store_dword v[8:9], v7, off
.LBB142_65:
	s_or_b64 exec, exec, s[4:5]
	scratch_load_dwordx2 v[8:9], off, off offset:32
	s_waitcnt vmcnt(0)
	ds_bpermute_b32 v10, v0, v8
	ds_bpermute_b32 v11, v0, v9
	s_waitcnt lgkmcnt(0)
	v_pk_add_f32 v[8:9], v[8:9], v[10:11]
	ds_bpermute_b32 v10, v1, v8
	ds_bpermute_b32 v11, v1, v9
	s_waitcnt lgkmcnt(0)
	v_pk_add_f32 v[8:9], v[8:9], v[10:11]
	;; [unrolled: 4-line block ×6, first 2 shown]
	scratch_store_dwordx2 off, v[8:9], off offset:32
	s_and_saveexec_b64 s[4:5], s[0:1]
	s_cbranch_execz .LBB142_67
; %bb.66:
	scratch_load_dword v7, v5, off offset:32
	v_lshl_or_b32 v8, s10, 2, v12
	v_mov_b32_e32 v9, 0
	v_lshl_add_u64 v[8:9], v[8:9], 2, s[2:3]
	s_waitcnt vmcnt(0)
	global_store_dword v[8:9], v7, off
.LBB142_67:
	s_or_b64 exec, exec, s[4:5]
	scratch_load_dwordx2 v[8:9], off, off offset:40
	s_waitcnt vmcnt(0)
	ds_bpermute_b32 v10, v0, v8
	ds_bpermute_b32 v11, v0, v9
	s_waitcnt lgkmcnt(0)
	v_pk_add_f32 v[8:9], v[8:9], v[10:11]
	ds_bpermute_b32 v10, v1, v8
	ds_bpermute_b32 v11, v1, v9
	s_waitcnt lgkmcnt(0)
	v_pk_add_f32 v[8:9], v[8:9], v[10:11]
	;; [unrolled: 4-line block ×6, first 2 shown]
	scratch_store_dwordx2 off, v[8:9], off offset:40
	s_and_saveexec_b64 s[4:5], s[0:1]
	s_cbranch_execz .LBB142_69
; %bb.68:
	scratch_load_dword v7, v5, off offset:40
	v_mad_u64_u32 v[8:9], s[6:7], s10, 5, v[12:13]
	v_mov_b32_e32 v9, 0
	v_lshl_add_u64 v[8:9], v[8:9], 2, s[2:3]
	s_waitcnt vmcnt(0)
	global_store_dword v[8:9], v7, off
.LBB142_69:
	s_or_b64 exec, exec, s[4:5]
	scratch_load_dwordx2 v[8:9], off, off offset:48
	s_waitcnt vmcnt(0)
	ds_bpermute_b32 v10, v0, v8
	ds_bpermute_b32 v11, v0, v9
	s_waitcnt lgkmcnt(0)
	v_pk_add_f32 v[8:9], v[8:9], v[10:11]
	ds_bpermute_b32 v0, v1, v8
	ds_bpermute_b32 v1, v1, v9
	s_waitcnt lgkmcnt(0)
	v_pk_add_f32 v[0:1], v[8:9], v[0:1]
	;; [unrolled: 4-line block ×6, first 2 shown]
	scratch_store_dwordx2 off, v[0:1], off offset:48
	s_and_b64 exec, exec, s[0:1]
	s_cbranch_execz .LBB142_71
; %bb.70:
	scratch_load_dword v2, v5, off offset:48
	s_mul_i32 s0, s10, 6
	v_or_b32_e32 v0, s0, v12
	v_mov_b32_e32 v1, 0
	v_lshl_add_u64 v[0:1], v[0:1], 2, s[2:3]
	s_waitcnt vmcnt(0)
	global_store_dword v[0:1], v2, off
.LBB142_71:
	s_endpgm
	.section	.rodata,"a",@progbits
	.p2align	6, 0x0
	.amdhsa_kernel _ZL13mul_mat_vec_qIL9ggml_type13ELi7ELb0ELb0EEvPKvS2_PKi31ggml_cuda_mm_fusion_args_devicePfj15HIP_vector_typeIjLj3EEjjjS8_jjjS8_jjjj
		.amdhsa_group_segment_fixed_size 0
		.amdhsa_private_segment_fixed_size 64
		.amdhsa_kernarg_size 144
		.amdhsa_user_sgpr_count 2
		.amdhsa_user_sgpr_dispatch_ptr 0
		.amdhsa_user_sgpr_queue_ptr 0
		.amdhsa_user_sgpr_kernarg_segment_ptr 1
		.amdhsa_user_sgpr_dispatch_id 0
		.amdhsa_user_sgpr_kernarg_preload_length 0
		.amdhsa_user_sgpr_kernarg_preload_offset 0
		.amdhsa_user_sgpr_private_segment_size 0
		.amdhsa_uses_dynamic_stack 0
		.amdhsa_enable_private_segment 1
		.amdhsa_system_sgpr_workgroup_id_x 1
		.amdhsa_system_sgpr_workgroup_id_y 1
		.amdhsa_system_sgpr_workgroup_id_z 1
		.amdhsa_system_sgpr_workgroup_info 0
		.amdhsa_system_vgpr_workitem_id 1
		.amdhsa_next_free_vgpr 122
		.amdhsa_next_free_sgpr 37
		.amdhsa_accum_offset 124
		.amdhsa_reserve_vcc 1
		.amdhsa_float_round_mode_32 0
		.amdhsa_float_round_mode_16_64 0
		.amdhsa_float_denorm_mode_32 3
		.amdhsa_float_denorm_mode_16_64 3
		.amdhsa_dx10_clamp 1
		.amdhsa_ieee_mode 1
		.amdhsa_fp16_overflow 0
		.amdhsa_tg_split 0
		.amdhsa_exception_fp_ieee_invalid_op 0
		.amdhsa_exception_fp_denorm_src 0
		.amdhsa_exception_fp_ieee_div_zero 0
		.amdhsa_exception_fp_ieee_overflow 0
		.amdhsa_exception_fp_ieee_underflow 0
		.amdhsa_exception_fp_ieee_inexact 0
		.amdhsa_exception_int_div_zero 0
	.end_amdhsa_kernel
	.section	.text._ZL13mul_mat_vec_qIL9ggml_type13ELi7ELb0ELb0EEvPKvS2_PKi31ggml_cuda_mm_fusion_args_devicePfj15HIP_vector_typeIjLj3EEjjjS8_jjjS8_jjjj,"axG",@progbits,_ZL13mul_mat_vec_qIL9ggml_type13ELi7ELb0ELb0EEvPKvS2_PKi31ggml_cuda_mm_fusion_args_devicePfj15HIP_vector_typeIjLj3EEjjjS8_jjjS8_jjjj,comdat
.Lfunc_end142:
	.size	_ZL13mul_mat_vec_qIL9ggml_type13ELi7ELb0ELb0EEvPKvS2_PKi31ggml_cuda_mm_fusion_args_devicePfj15HIP_vector_typeIjLj3EEjjjS8_jjjS8_jjjj, .Lfunc_end142-_ZL13mul_mat_vec_qIL9ggml_type13ELi7ELb0ELb0EEvPKvS2_PKi31ggml_cuda_mm_fusion_args_devicePfj15HIP_vector_typeIjLj3EEjjjS8_jjjS8_jjjj
                                        ; -- End function
	.section	.AMDGPU.csdata,"",@progbits
; Kernel info:
; codeLenInByte = 7036
; NumSgprs: 43
; NumVgprs: 122
; NumAgprs: 0
; TotalNumVgprs: 122
; ScratchSize: 64
; MemoryBound: 0
; FloatMode: 240
; IeeeMode: 1
; LDSByteSize: 0 bytes/workgroup (compile time only)
; SGPRBlocks: 5
; VGPRBlocks: 15
; NumSGPRsForWavesPerEU: 43
; NumVGPRsForWavesPerEU: 122
; AccumOffset: 124
; Occupancy: 4
; WaveLimiterHint : 0
; COMPUTE_PGM_RSRC2:SCRATCH_EN: 1
; COMPUTE_PGM_RSRC2:USER_SGPR: 2
; COMPUTE_PGM_RSRC2:TRAP_HANDLER: 0
; COMPUTE_PGM_RSRC2:TGID_X_EN: 1
; COMPUTE_PGM_RSRC2:TGID_Y_EN: 1
; COMPUTE_PGM_RSRC2:TGID_Z_EN: 1
; COMPUTE_PGM_RSRC2:TIDIG_COMP_CNT: 1
; COMPUTE_PGM_RSRC3_GFX90A:ACCUM_OFFSET: 30
; COMPUTE_PGM_RSRC3_GFX90A:TG_SPLIT: 0
	.section	.text._ZL13mul_mat_vec_qIL9ggml_type13ELi8ELb0ELb0EEvPKvS2_PKi31ggml_cuda_mm_fusion_args_devicePfj15HIP_vector_typeIjLj3EEjjjS8_jjjS8_jjjj,"axG",@progbits,_ZL13mul_mat_vec_qIL9ggml_type13ELi8ELb0ELb0EEvPKvS2_PKi31ggml_cuda_mm_fusion_args_devicePfj15HIP_vector_typeIjLj3EEjjjS8_jjjS8_jjjj,comdat
	.globl	_ZL13mul_mat_vec_qIL9ggml_type13ELi8ELb0ELb0EEvPKvS2_PKi31ggml_cuda_mm_fusion_args_devicePfj15HIP_vector_typeIjLj3EEjjjS8_jjjS8_jjjj ; -- Begin function _ZL13mul_mat_vec_qIL9ggml_type13ELi8ELb0ELb0EEvPKvS2_PKi31ggml_cuda_mm_fusion_args_devicePfj15HIP_vector_typeIjLj3EEjjjS8_jjjS8_jjjj
	.p2align	8
	.type	_ZL13mul_mat_vec_qIL9ggml_type13ELi8ELb0ELb0EEvPKvS2_PKi31ggml_cuda_mm_fusion_args_devicePfj15HIP_vector_typeIjLj3EEjjjS8_jjjS8_jjjj,@function
_ZL13mul_mat_vec_qIL9ggml_type13ELi8ELb0ELb0EEvPKvS2_PKi31ggml_cuda_mm_fusion_args_devicePfj15HIP_vector_typeIjLj3EEjjjS8_jjjS8_jjjj: ; @_ZL13mul_mat_vec_qIL9ggml_type13ELi8ELb0ELb0EEvPKvS2_PKi31ggml_cuda_mm_fusion_args_devicePfj15HIP_vector_typeIjLj3EEjjjS8_jjjS8_jjjj
; %bb.0:
	v_bfe_u32 v17, v0, 10, 10
	v_and_b32_e32 v16, 0x3ff, v0
	s_mov_b32 s20, 0
	s_load_dword s5, s[0:1], 0x40
	s_load_dwordx4 s[8:11], s[0:1], 0x50
	s_load_dword s7, s[0:1], 0x60
	s_load_dwordx4 s[12:15], s[0:1], 0x68
	;; [unrolled: 2-line block ×3, first 2 shown]
	v_lshl_or_b32 v4, v17, 6, v16
	s_mov_b32 s21, s20
	s_waitcnt lgkmcnt(0)
	s_lshr_b32 s5, s5, 8
	s_mov_b32 s22, s20
	s_mov_b32 s23, s20
	v_mov_b64_e32 v[0:1], s[20:21]
	v_lshrrev_b32_e32 v23, 4, v4
	s_lshl_b32 s2, s2, 1
	v_mov_b64_e32 v[2:3], s[22:23]
	v_cmp_gt_u32_e32 vcc, s5, v23
	scratch_store_dwordx4 off, v[0:3], off offset:48
	scratch_store_dwordx4 off, v[0:3], off offset:32
	;; [unrolled: 1-line block ×3, first 2 shown]
	scratch_store_dwordx4 off, v[0:3], off
	s_and_saveexec_b64 s[24:25], vcc
	s_cbranch_execz .LBB143_64
; %bb.1:
	s_mul_hi_u32 s11, s11, s3
	s_add_i32 s11, s3, s11
	s_lshr_b32 s7, s11, s7
	s_load_dwordx4 s[20:23], s[0:1], 0x0
	s_mul_i32 s11, s7, s12
	s_mul_hi_u32 s7, s15, s4
	s_add_i32 s7, s4, s7
	s_lshr_b32 s6, s7, s6
	s_mul_i32 s15, s6, s16
	s_mul_i32 s6, s4, s17
	s_mul_hi_u32 s7, s6, 36
	s_mul_i32 s6, s6, 36
	s_waitcnt lgkmcnt(0)
	s_add_u32 s6, s22, s6
	s_mul_i32 s12, s3, s13
	s_addc_u32 s7, s23, s7
	s_mul_hi_u32 s13, s12, 36
	s_mul_i32 s12, s12, 36
	v_lshlrev_b32_e32 v0, 1, v16
	s_add_u32 s6, s6, s12
	v_and_b32_e32 v1, 30, v0
	v_bfe_u32 v0, v0, 3, 2
	s_addc_u32 s7, s7, s13
	v_lshlrev_b32_e32 v38, 1, v0
	v_cmp_lt_u32_e32 vcc, 15, v1
	v_mad_u64_u32 v[26:27], s[12:13], v38, 36, s[6:7]
	v_lshl_add_u32 v1, v17, 6, v16
	v_bfe_u32 v2, v16, 2, 2
	v_lshrrev_b32_e32 v1, 4, v1
	v_mul_hi_u32_u24_e32 v3, 0x48, v2
	v_mul_u32_u24_e32 v2, 0x48, v2
	s_movk_i32 s12, 0x120
	v_mad_u64_u32 v[2:3], s[12:13], v1, s12, v[2:3]
	v_lshl_add_u64 v[2:3], s[6:7], 0, v[2:3]
	s_add_i32 s7, s2, 1
	v_mov_b32_e32 v21, 0
	v_and_b32_e32 v22, 3, v16
	s_mul_i32 s16, s2, s8
	s_add_i32 s6, s15, s11
	s_mul_i32 s7, s8, s7
	v_lshlrev_b32_e32 v18, 5, v0
	v_mov_b32_e32 v19, v21
	v_lshlrev_b32_e32 v24, 2, v22
	v_mov_b32_e32 v25, v21
	v_lshl_add_u64 v[28:29], v[2:3], 0, 36
	s_add_i32 s11, s6, s16
	s_lshl_b32 s15, s9, 1
	v_lshlrev_b32_e32 v39, 3, v23
	s_mul_i32 s19, s9, 3
	s_lshl_b32 s22, s9, 2
	s_mul_i32 s23, s9, 5
	s_mul_i32 s26, s9, 6
	;; [unrolled: 1-line block ×3, first 2 shown]
	s_add_i32 s8, s6, s7
	s_mov_b64 s[12:13], 0
	s_movk_i32 s28, 0xb0
	v_mov_b64_e32 v[30:31], s[20:21]
	v_lshlrev_b32_e32 v20, 1, v0
	s_mov_b32 s29, 0x5040100
	s_mov_b32 s30, 0x20004
	;; [unrolled: 1-line block ×3, first 2 shown]
	s_movk_i32 s33, 0xf0f
	s_movk_i32 s34, 0x3f3f
	s_mov_b32 s35, 0x30303030
	s_mov_b32 s36, 0x10101010
	;; [unrolled: 1-line block ×3, first 2 shown]
	s_mov_b64 s[16:17], 0x480
	v_mov_b32_e32 v0, v21
	v_mov_b32_e32 v3, v21
	;; [unrolled: 1-line block ×16, first 2 shown]
	s_branch .LBB143_3
.LBB143_2:                              ;   in Loop: Header=BB143_3 Depth=1
	s_or_b64 exec, exec, s[6:7]
	s_waitcnt vmcnt(48)
	v_ashrrev_i32_e32 v37, v38, v78
	v_ashrrev_i32_e32 v76, v38, v76
	v_and_b32_e32 v105, 0xf0f0f0f, v71
	v_lshlrev_b32_e32 v107, 4, v37
	v_and_b32_e32 v78, 0xf0f0f0f, v73
	v_lshlrev_b32_e32 v106, 4, v76
	v_and_or_b32 v105, v107, s36, v105
	v_mov_b32_e32 v107, v21
	v_and_or_b32 v78, v106, s36, v78
	v_lshrrev_b32_e32 v73, 4, v73
	v_lshrrev_b32_e32 v71, 4, v71
	s_waitcnt vmcnt(4)
	v_dot4c_i32_i8_e32 v107, v105, v94
	v_mov_b32_e32 v88, v21
	v_and_b32_e32 v73, 0xf0f0f0f, v73
	v_and_b32_e32 v71, 0xf0f0f0f, v71
	v_lshlrev_b32_e32 v76, 3, v76
	v_lshlrev_b32_e32 v37, 3, v37
	v_lshrrev_b16_e32 v106, 8, v96
	s_waitcnt vmcnt(1)
	v_dot4c_i32_i8_e32 v107, v78, v95
	v_and_b32_sdwa v96, s37, v96 dst_sel:DWORD dst_unused:UNUSED_PAD src0_sel:DWORD src1_sel:BYTE_0
	v_dot4c_i32_i8_e32 v88, 0x1010101, v94
	v_mov_b32_e32 v35, v21
	v_and_or_b32 v73, v76, s36, v73
	v_and_or_b32 v76, v37, s36, v71
	v_mul_lo_u32 v96, v107, v96
	v_mov_b32_e32 v107, v21
	v_dot4c_i32_i8_e32 v88, 0x1010101, v95
	v_dot4c_i32_i8_e32 v35, 0x1010101, v92
	v_lshrrev_b16_e32 v37, 8, v97
	v_and_b32_sdwa v97, s37, v97 dst_sel:DWORD dst_unused:UNUSED_PAD src0_sel:DWORD src1_sel:BYTE_0
	v_dot4c_i32_i8_e32 v107, v76, v92
	v_dot4c_i32_i8_e32 v35, 0x1010101, v90
	v_mul_lo_u32 v97, v88, v97
	v_dot4c_i32_i8_e32 v107, v73, v90
	v_cvt_f32_i32_e32 v96, v96
	v_cvt_f32_i32_e32 v97, v97
	v_mul_lo_u32 v37, v35, v37
	v_mul_lo_u32 v106, v107, v106
	v_cvt_f32_i32_e32 v106, v106
	v_cvt_f32_i32_e32 v37, v37
	v_cvt_f32_f16_sdwa v71, v46 dst_sel:DWORD dst_unused:UNUSED_PAD src0_sel:WORD_1
	v_fma_mix_f32 v96, v112, v96, 0 op_sel_hi:[1,0,0]
	v_fma_mix_f32 v97, v112, v97, 0 op_sel_hi:[1,0,0]
	s_waitcnt vmcnt(0)
	v_cvt_f32_f16_e32 v32, v36
	v_fma_mix_f32 v96, v36, v106, v96 op_sel_hi:[1,0,0]
	v_fma_mix_f32 v36, v36, v37, v97 op_sel_hi:[1,0,0]
	v_ashrrev_i32_e32 v37, v38, v81
	v_mul_f32_e32 v36, v36, v71
	v_fma_mix_f32 v36, v96, v46, -v36 op_sel_hi:[0,1,0]
	v_add_f32_e32 v2, v2, v36
	v_ashrrev_i32_e32 v36, v38, v83
	v_and_b32_e32 v83, 0xf0f0f0f, v75
	v_lshlrev_b32_e32 v107, 4, v36
	v_mov_b32_e32 v96, v21
	v_and_b32_e32 v81, 0xf0f0f0f, v79
	v_lshlrev_b32_e32 v106, 4, v37
	v_and_or_b32 v83, v107, s36, v83
	v_mov_b32_e32 v108, v21
	v_dot4c_i32_i8_e32 v96, 0x1010101, v126
	v_mov_b32_e32 v97, v21
	v_and_or_b32 v81, v106, s36, v81
	v_lshrrev_b32_e32 v75, 4, v75
	v_dot4c_i32_i8_e32 v108, v83, v126
	v_dot4c_i32_i8_e32 v96, 0x1010101, v127
	;; [unrolled: 1-line block ×3, first 2 shown]
	v_lshrrev_b32_e32 v79, 4, v79
	v_and_b32_e32 v75, 0xf0f0f0f, v75
	v_lshlrev_b32_e32 v36, 3, v36
	v_lshrrev_b16_e32 v106, 8, v91
	v_lshrrev_b16_e32 v107, 8, v89
	v_dot4c_i32_i8_e32 v108, v81, v127
	v_and_b32_sdwa v89, s37, v89 dst_sel:DWORD dst_unused:UNUSED_PAD src0_sel:DWORD src1_sel:BYTE_0
	v_and_b32_sdwa v91, s37, v91 dst_sel:DWORD dst_unused:UNUSED_PAD src0_sel:DWORD src1_sel:BYTE_0
	v_dot4c_i32_i8_e32 v97, 0x1010101, v124
	v_and_b32_e32 v79, 0xf0f0f0f, v79
	v_lshlrev_b32_e32 v37, 3, v37
	v_and_or_b32 v75, v36, s36, v75
	v_mul_lo_u32 v89, v108, v89
	v_mul_lo_u32 v91, v96, v91
	v_mov_b32_e32 v108, v21
	v_and_or_b32 v79, v37, s36, v79
	v_cvt_f32_i32_e32 v91, v91
	v_dot4c_i32_i8_e32 v108, v75, v125
	v_mul_lo_u32 v106, v97, v106
	v_dot4c_i32_i8_e32 v108, v79, v124
	v_cvt_f32_i32_e32 v106, v106
	v_cvt_f32_i32_e32 v89, v89
	v_cvt_f32_f16_sdwa v37, v49 dst_sel:DWORD dst_unused:UNUSED_PAD src0_sel:WORD_1
	v_mul_lo_u32 v107, v108, v107
	v_cvt_f32_i32_e32 v107, v107
	v_fma_mix_f32 v91, v122, v91, 0 op_sel_hi:[1,0,0]
	v_fma_mix_f32 v89, v122, v89, 0 op_sel_hi:[1,0,0]
	;; [unrolled: 1-line block ×3, first 2 shown]
	v_mov_b32_e32 v106, v21
	v_dot4c_i32_i8_e32 v106, v105, v126
	v_fma_mix_f32 v89, v123, v107, v89 op_sel_hi:[1,0,0]
	v_dot4c_i32_i8_e32 v106, v78, v127
	v_and_b32_sdwa v107, s37, v129 dst_sel:DWORD dst_unused:UNUSED_PAD src0_sel:DWORD src1_sel:BYTE_0
	v_mul_f32_e32 v91, v91, v37
	v_fma_mix_f32 v89, v89, v49, -v91 op_sel_hi:[0,1,0]
	v_mul_lo_u32 v106, v106, v107
	v_and_b32_sdwa v107, s37, v128 dst_sel:DWORD dst_unused:UNUSED_PAD src0_sel:DWORD src1_sel:BYTE_0
	v_mul_lo_u32 v96, v96, v107
	v_mov_b32_e32 v107, v21
	v_add_f32_e32 v1, v1, v89
	v_lshrrev_b16_e32 v89, 8, v128
	v_dot4c_i32_i8_e32 v107, v76, v125
	v_lshrrev_b16_e32 v91, 8, v129
	v_cvt_f32_i32_e32 v96, v96
	v_dot4c_i32_i8_e32 v107, v73, v124
	v_mul_lo_u32 v89, v97, v89
	v_cvt_f32_i32_e32 v106, v106
	v_cvt_f32_i32_e32 v89, v89
	v_mul_lo_u32 v91, v107, v91
	v_cvt_f32_i32_e32 v91, v91
	v_fma_mix_f32 v96, v122, v96, 0 op_sel_hi:[1,0,0]
	v_fma_mix_f32 v97, v122, v106, 0 op_sel_hi:[1,0,0]
	;; [unrolled: 1-line block ×4, first 2 shown]
	v_mul_f32_e32 v89, v89, v71
	v_mov_b32_e32 v106, v21
	v_fma_mix_f32 v89, v91, v46, -v89 op_sel_hi:[0,1,0]
	v_dot4c_i32_i8_e32 v106, v83, v116
	v_mov_b32_e32 v108, v21
	v_add_f32_e32 v0, v0, v89
	v_mov_b32_e32 v89, v21
	v_dot4c_i32_i8_e32 v106, v81, v117
	v_and_b32_sdwa v107, s37, v121 dst_sel:DWORD dst_unused:UNUSED_PAD src0_sel:DWORD src1_sel:BYTE_0
	v_dot4c_i32_i8_e32 v108, v75, v115
	v_dot4c_i32_i8_e32 v89, 0x1010101, v116
	v_mov_b32_e32 v91, v21
	v_lshrrev_b16_e32 v97, 8, v121
	v_mul_lo_u32 v106, v106, v107
	v_dot4c_i32_i8_e32 v108, v79, v114
	v_dot4c_i32_i8_e32 v89, 0x1010101, v117
	;; [unrolled: 1-line block ×3, first 2 shown]
	v_cvt_f32_i32_e32 v106, v106
	v_and_b32_sdwa v107, s37, v120 dst_sel:DWORD dst_unused:UNUSED_PAD src0_sel:DWORD src1_sel:BYTE_0
	v_mul_lo_u32 v97, v108, v97
	v_dot4c_i32_i8_e32 v91, 0x1010101, v114
	v_lshrrev_b16_e32 v96, 8, v120
	v_mul_lo_u32 v107, v89, v107
	v_cvt_f32_i32_e32 v97, v97
	v_cvt_f32_i32_e32 v107, v107
	v_mul_lo_u32 v96, v91, v96
	v_cvt_f32_i32_e32 v96, v96
	v_fma_mix_f32 v106, v111, v106, 0 op_sel_hi:[1,0,0]
	v_fma_mix_f32 v107, v111, v107, 0 op_sel_hi:[1,0,0]
	;; [unrolled: 1-line block ×3, first 2 shown]
	v_mov_b32_e32 v106, v21
	v_dot4c_i32_i8_e32 v106, v105, v116
	v_fma_mix_f32 v96, v113, v96, v107 op_sel_hi:[1,0,0]
	v_dot4c_i32_i8_e32 v106, v78, v117
	v_and_b32_sdwa v107, s37, v119 dst_sel:DWORD dst_unused:UNUSED_PAD src0_sel:DWORD src1_sel:BYTE_0
	v_mul_f32_e32 v96, v96, v37
	v_fma_mix_f32 v96, v97, v49, -v96 op_sel_hi:[0,1,0]
	v_mul_lo_u32 v106, v106, v107
	v_and_b32_sdwa v107, s37, v118 dst_sel:DWORD dst_unused:UNUSED_PAD src0_sel:DWORD src1_sel:BYTE_0
	v_mul_lo_u32 v89, v89, v107
	v_mov_b32_e32 v107, v21
	v_add_f32_e32 v7, v7, v96
	v_lshrrev_b16_e32 v96, 8, v118
	v_dot4c_i32_i8_e32 v107, v76, v115
	v_lshrrev_b16_e32 v97, 8, v119
	v_cvt_f32_i32_e32 v89, v89
	v_dot4c_i32_i8_e32 v107, v73, v114
	v_mul_lo_u32 v91, v91, v96
	v_cvt_f32_i32_e32 v106, v106
	v_cvt_f32_i32_e32 v91, v91
	v_mul_lo_u32 v97, v107, v97
	v_cvt_f32_i32_e32 v97, v97
	v_fma_mix_f32 v89, v111, v89, 0 op_sel_hi:[1,0,0]
	v_fma_mix_f32 v96, v111, v106, 0 op_sel_hi:[1,0,0]
	;; [unrolled: 1-line block ×4, first 2 shown]
	v_mul_f32_e32 v89, v89, v71
	v_fma_mix_f32 v89, v96, v46, -v89 op_sel_hi:[0,1,0]
	v_mov_b32_e32 v106, v21
	v_add_f32_e32 v6, v6, v89
	v_mov_b32_e32 v89, v21
	v_dot4c_i32_i8_e32 v106, v83, v101
	v_mov_b32_e32 v108, v21
	v_dot4c_i32_i8_e32 v89, 0x1010101, v101
	;; [unrolled: 2-line block ×3, first 2 shown]
	v_and_b32_sdwa v107, s37, v110 dst_sel:DWORD dst_unused:UNUSED_PAD src0_sel:DWORD src1_sel:BYTE_0
	v_dot4c_i32_i8_e32 v108, v75, v100
	v_dot4c_i32_i8_e32 v89, 0x1010101, v102
	;; [unrolled: 1-line block ×3, first 2 shown]
	v_lshrrev_b16_e32 v97, 8, v110
	v_mul_lo_u32 v106, v106, v107
	v_and_b32_sdwa v107, s37, v109 dst_sel:DWORD dst_unused:UNUSED_PAD src0_sel:DWORD src1_sel:BYTE_0
	v_dot4c_i32_i8_e32 v108, v79, v99
	v_dot4c_i32_i8_e32 v91, 0x1010101, v99
	v_lshrrev_b16_e32 v96, 8, v109
	v_cvt_f32_i32_e32 v106, v106
	v_mul_lo_u32 v107, v89, v107
	v_mul_lo_u32 v97, v108, v97
	v_cvt_f32_i32_e32 v107, v107
	v_cvt_f32_i32_e32 v97, v97
	v_mul_lo_u32 v96, v91, v96
	v_cvt_f32_i32_e32 v96, v96
	v_fma_mix_f32 v106, v93, v106, 0 op_sel_hi:[1,0,0]
	v_fma_mix_f32 v107, v93, v107, 0 op_sel_hi:[1,0,0]
	;; [unrolled: 1-line block ×3, first 2 shown]
	v_mov_b32_e32 v106, v21
	v_fma_mix_f32 v96, v98, v96, v107 op_sel_hi:[1,0,0]
	v_dot4c_i32_i8_e32 v106, v105, v101
	v_mul_f32_e32 v96, v96, v37
	v_dot4c_i32_i8_e32 v106, v78, v102
	v_and_b32_sdwa v102, s37, v103 dst_sel:DWORD dst_unused:UNUSED_PAD src0_sel:DWORD src1_sel:BYTE_0
	v_fma_mix_f32 v96, v97, v49, -v96 op_sel_hi:[0,1,0]
	v_mul_lo_u32 v89, v89, v102
	v_mov_b32_e32 v102, v21
	v_add_f32_e32 v5, v5, v96
	v_lshrrev_b16_e32 v96, 8, v103
	v_and_b32_sdwa v101, s37, v104 dst_sel:DWORD dst_unused:UNUSED_PAD src0_sel:DWORD src1_sel:BYTE_0
	v_dot4c_i32_i8_e32 v102, v76, v100
	v_lshrrev_b16_e32 v97, 8, v104
	v_mul_lo_u32 v101, v106, v101
	v_cvt_f32_i32_e32 v89, v89
	v_dot4c_i32_i8_e32 v102, v73, v99
	v_mul_lo_u32 v91, v91, v96
	v_cvt_f32_i32_e32 v101, v101
	v_cvt_f32_i32_e32 v91, v91
	v_mul_lo_u32 v97, v102, v97
	v_cvt_f32_i32_e32 v97, v97
	v_fma_mix_f32 v89, v93, v89, 0 op_sel_hi:[1,0,0]
	v_fma_mix_f32 v96, v93, v101, 0 op_sel_hi:[1,0,0]
	;; [unrolled: 1-line block ×4, first 2 shown]
	v_mul_f32_e32 v89, v89, v71
	v_fma_mix_f32 v89, v93, v46, -v89 op_sel_hi:[0,1,0]
	v_mov_b32_e32 v97, v21
	v_add_f32_e32 v4, v4, v89
	v_mov_b32_e32 v89, v21
	v_dot4c_i32_i8_e32 v97, v83, v80
	v_dot4c_i32_i8_e32 v89, 0x1010101, v80
	v_mov_b32_e32 v91, v21
	v_lshrrev_b16_e32 v96, 8, v87
	v_dot4c_i32_i8_e32 v97, v81, v82
	v_and_b32_sdwa v87, s37, v87 dst_sel:DWORD dst_unused:UNUSED_PAD src0_sel:DWORD src1_sel:BYTE_0
	v_dot4c_i32_i8_e32 v89, 0x1010101, v82
	v_dot4c_i32_i8_e32 v91, 0x1010101, v77
	v_lshrrev_b16_e32 v93, 8, v86
	v_mul_lo_u32 v87, v97, v87
	v_and_b32_sdwa v86, s37, v86 dst_sel:DWORD dst_unused:UNUSED_PAD src0_sel:DWORD src1_sel:BYTE_0
	v_mov_b32_e32 v97, v21
	v_dot4c_i32_i8_e32 v91, 0x1010101, v74
	v_mul_lo_u32 v86, v89, v86
	v_dot4c_i32_i8_e32 v97, v75, v77
	v_cvt_f32_i32_e32 v86, v86
	v_dot4c_i32_i8_e32 v97, v79, v74
	v_mul_lo_u32 v93, v91, v93
	v_cvt_f32_i32_e32 v87, v87
	v_cvt_f32_i32_e32 v93, v93
	v_mul_lo_u32 v96, v97, v96
	v_cvt_f32_i32_e32 v96, v96
	v_fma_mix_f32 v86, v70, v86, 0 op_sel_hi:[1,0,0]
	v_fma_mix_f32 v87, v70, v87, 0 op_sel_hi:[1,0,0]
	;; [unrolled: 1-line block ×4, first 2 shown]
	v_mul_f32_e32 v86, v86, v37
	v_mov_b32_e32 v93, v21
	v_fma_mix_f32 v86, v87, v49, -v86 op_sel_hi:[0,1,0]
	v_dot4c_i32_i8_e32 v93, v105, v80
	v_add_f32_e32 v11, v11, v86
	v_lshrrev_b16_e32 v86, 8, v84
	v_dot4c_i32_i8_e32 v93, v78, v82
	v_and_b32_sdwa v80, s37, v85 dst_sel:DWORD dst_unused:UNUSED_PAD src0_sel:DWORD src1_sel:BYTE_0
	v_and_b32_sdwa v82, s37, v84 dst_sel:DWORD dst_unused:UNUSED_PAD src0_sel:DWORD src1_sel:BYTE_0
	v_mov_b32_e32 v84, v21
	v_mul_lo_u32 v80, v93, v80
	v_mul_lo_u32 v82, v89, v82
	v_dot4c_i32_i8_e32 v84, v76, v77
	v_lshrrev_b16_e32 v87, 8, v85
	v_cvt_f32_i32_e32 v80, v80
	v_cvt_f32_i32_e32 v82, v82
	v_dot4c_i32_i8_e32 v84, v73, v74
	v_mul_lo_u32 v77, v91, v86
	v_cvt_f32_i32_e32 v77, v77
	v_fma_mix_f32 v80, v70, v80, 0 op_sel_hi:[1,0,0]
	v_mul_lo_u32 v74, v84, v87
	v_cvt_f32_i32_e32 v74, v74
	v_fma_mix_f32 v70, v70, v82, 0 op_sel_hi:[1,0,0]
	v_cvt_f32_f16_e32 v36, v49
	v_fma_mix_f32 v70, v72, v77, v70 op_sel_hi:[1,0,0]
	v_fma_mix_f32 v74, v72, v74, v80 op_sel_hi:[1,0,0]
	v_mul_f32_e32 v70, v70, v71
	v_fma_mix_f32 v70, v74, v46, -v70 op_sel_hi:[0,1,0]
	v_mov_b32_e32 v80, v21
	v_add_f32_e32 v10, v10, v70
	v_mov_b32_e32 v70, v21
	v_dot4c_i32_i8_e32 v80, v83, v64
	v_dot4c_i32_i8_e32 v70, 0x1010101, v64
	v_mov_b32_e32 v72, v21
	v_lshrrev_b16_e32 v77, 8, v69
	v_dot4c_i32_i8_e32 v80, v81, v65
	v_and_b32_sdwa v69, s37, v69 dst_sel:DWORD dst_unused:UNUSED_PAD src0_sel:DWORD src1_sel:BYTE_0
	v_dot4c_i32_i8_e32 v70, 0x1010101, v65
	v_dot4c_i32_i8_e32 v72, 0x1010101, v63
	v_lshrrev_b16_e32 v74, 8, v68
	v_mul_lo_u32 v69, v80, v69
	v_and_b32_sdwa v68, s37, v68 dst_sel:DWORD dst_unused:UNUSED_PAD src0_sel:DWORD src1_sel:BYTE_0
	v_mov_b32_e32 v80, v21
	v_dot4c_i32_i8_e32 v72, 0x1010101, v62
	v_mul_lo_u32 v68, v70, v68
	v_dot4c_i32_i8_e32 v80, v75, v63
	v_cvt_f32_i32_e32 v68, v68
	v_dot4c_i32_i8_e32 v80, v79, v62
	v_mul_lo_u32 v74, v72, v74
	v_cvt_f32_i32_e32 v69, v69
	v_cvt_f32_i32_e32 v74, v74
	v_mul_lo_u32 v77, v80, v77
	v_cvt_f32_i32_e32 v77, v77
	v_fma_mix_f32 v68, v60, v68, 0 op_sel_hi:[1,0,0]
	v_fma_mix_f32 v69, v60, v69, 0 op_sel_hi:[1,0,0]
	;; [unrolled: 1-line block ×4, first 2 shown]
	v_mul_f32_e32 v68, v68, v37
	v_mov_b32_e32 v74, v21
	v_fma_mix_f32 v68, v69, v49, -v68 op_sel_hi:[0,1,0]
	v_dot4c_i32_i8_e32 v74, v105, v64
	v_add_f32_e32 v9, v9, v68
	v_lshrrev_b16_e32 v68, 8, v66
	v_dot4c_i32_i8_e32 v74, v78, v65
	v_and_b32_sdwa v64, s37, v67 dst_sel:DWORD dst_unused:UNUSED_PAD src0_sel:DWORD src1_sel:BYTE_0
	v_and_b32_sdwa v65, s37, v66 dst_sel:DWORD dst_unused:UNUSED_PAD src0_sel:DWORD src1_sel:BYTE_0
	v_mov_b32_e32 v66, v21
	v_mul_lo_u32 v64, v74, v64
	v_mul_lo_u32 v65, v70, v65
	v_dot4c_i32_i8_e32 v66, v76, v63
	v_lshrrev_b16_e32 v69, 8, v67
	v_cvt_f32_i32_e32 v64, v64
	v_cvt_f32_i32_e32 v65, v65
	v_dot4c_i32_i8_e32 v66, v73, v62
	v_mul_lo_u32 v63, v72, v68
	v_cvt_f32_i32_e32 v63, v63
	v_fma_mix_f32 v64, v60, v64, 0 op_sel_hi:[1,0,0]
	v_mul_lo_u32 v62, v66, v69
	v_cvt_f32_i32_e32 v62, v62
	v_fma_mix_f32 v60, v60, v65, 0 op_sel_hi:[1,0,0]
	v_cvt_f32_f16_e32 v34, v112
	v_fma_mix_f32 v60, v61, v63, v60 op_sel_hi:[1,0,0]
	v_fma_mix_f32 v62, v61, v62, v64 op_sel_hi:[1,0,0]
	v_mul_f32_e32 v60, v60, v71
	v_fma_mix_f32 v60, v62, v46, -v60 op_sel_hi:[0,1,0]
	v_mov_b32_e32 v64, v21
	v_add_f32_e32 v8, v8, v60
	v_mov_b32_e32 v60, v21
	v_dot4c_i32_i8_e32 v64, v83, v54
	v_dot4c_i32_i8_e32 v60, 0x1010101, v54
	v_mov_b32_e32 v61, v21
	v_lshrrev_b16_e32 v63, 8, v59
	v_dot4c_i32_i8_e32 v64, v81, v55
	v_and_b32_sdwa v59, s37, v59 dst_sel:DWORD dst_unused:UNUSED_PAD src0_sel:DWORD src1_sel:BYTE_0
	v_dot4c_i32_i8_e32 v60, 0x1010101, v55
	v_dot4c_i32_i8_e32 v61, 0x1010101, v53
	v_lshrrev_b16_e32 v62, 8, v58
	v_mul_lo_u32 v59, v64, v59
	v_and_b32_sdwa v58, s37, v58 dst_sel:DWORD dst_unused:UNUSED_PAD src0_sel:DWORD src1_sel:BYTE_0
	v_mov_b32_e32 v64, v21
	v_dot4c_i32_i8_e32 v61, 0x1010101, v52
	v_mul_lo_u32 v58, v60, v58
	v_dot4c_i32_i8_e32 v64, v75, v53
	v_cvt_f32_i32_e32 v58, v58
	v_dot4c_i32_i8_e32 v64, v79, v52
	v_mul_lo_u32 v62, v61, v62
	v_cvt_f32_i32_e32 v59, v59
	v_cvt_f32_i32_e32 v62, v62
	v_mul_lo_u32 v63, v64, v63
	v_cvt_f32_i32_e32 v63, v63
	v_fma_mix_f32 v58, v50, v58, 0 op_sel_hi:[1,0,0]
	v_fma_mix_f32 v59, v50, v59, 0 op_sel_hi:[1,0,0]
	;; [unrolled: 1-line block ×4, first 2 shown]
	v_mul_f32_e32 v58, v58, v37
	v_mov_b32_e32 v62, v21
	v_fma_mix_f32 v58, v59, v49, -v58 op_sel_hi:[0,1,0]
	v_dot4c_i32_i8_e32 v62, v105, v54
	v_add_f32_e32 v15, v15, v58
	v_lshrrev_b16_e32 v58, 8, v56
	v_dot4c_i32_i8_e32 v62, v78, v55
	v_and_b32_sdwa v54, s37, v57 dst_sel:DWORD dst_unused:UNUSED_PAD src0_sel:DWORD src1_sel:BYTE_0
	v_and_b32_sdwa v55, s37, v56 dst_sel:DWORD dst_unused:UNUSED_PAD src0_sel:DWORD src1_sel:BYTE_0
	v_mov_b32_e32 v56, v21
	v_mul_lo_u32 v54, v62, v54
	v_mul_lo_u32 v55, v60, v55
	v_dot4c_i32_i8_e32 v56, v76, v53
	v_lshrrev_b16_e32 v59, 8, v57
	v_cvt_f32_i32_e32 v54, v54
	v_cvt_f32_i32_e32 v55, v55
	v_dot4c_i32_i8_e32 v56, v73, v52
	v_mul_lo_u32 v53, v61, v58
	v_cvt_f32_i32_e32 v53, v53
	v_fma_mix_f32 v54, v50, v54, 0 op_sel_hi:[1,0,0]
	v_mul_lo_u32 v52, v56, v59
	v_cvt_f32_i32_e32 v52, v52
	v_fma_mix_f32 v50, v50, v55, 0 op_sel_hi:[1,0,0]
	v_bfe_u32 v55, v48, 16, 8
	v_fma_mix_f32 v50, v51, v53, v50 op_sel_hi:[1,0,0]
	v_fma_mix_f32 v52, v51, v52, v54 op_sel_hi:[1,0,0]
	v_mul_f32_e32 v50, v50, v71
	v_fma_mix_f32 v50, v52, v46, -v50 op_sel_hi:[0,1,0]
	v_mov_b32_e32 v54, v21
	v_add_f32_e32 v14, v14, v50
	v_mov_b32_e32 v50, v21
	v_dot4c_i32_i8_e32 v54, v83, v45
	v_dot4c_i32_i8_e32 v50, 0x1010101, v45
	v_mov_b32_e32 v51, v21
	v_dot4c_i32_i8_e32 v54, v81, v44
	v_dot4c_i32_i8_e32 v50, 0x1010101, v44
	;; [unrolled: 1-line block ×3, first 2 shown]
	v_lshrrev_b16_e32 v52, 8, v48
	v_lshrrev_b32_e32 v53, 24, v48
	v_mul_lo_u32 v54, v54, v55
	v_and_b32_e32 v48, 0xff, v48
	v_mov_b32_e32 v55, v21
	v_dot4c_i32_i8_e32 v51, 0x1010101, v42
	v_mul_lo_u32 v48, v50, v48
	v_dot4c_i32_i8_e32 v55, v75, v43
	v_cvt_f32_i32_e32 v48, v48
	v_dot4c_i32_i8_e32 v55, v79, v42
	v_mul_lo_u32 v52, v51, v52
	v_cvt_f32_i32_e32 v54, v54
	v_cvt_f32_i32_e32 v52, v52
	v_mul_lo_u32 v53, v55, v53
	v_cvt_f32_i32_e32 v53, v53
	v_fma_mix_f32 v48, v40, v48, 0 op_sel_hi:[1,0,0]
	v_fma_mix_f32 v54, v40, v54, 0 op_sel_hi:[1,0,0]
	;; [unrolled: 1-line block ×4, first 2 shown]
	v_mul_f32_e32 v48, v48, v37
	v_mov_b32_e32 v52, v21
	v_fma_mix_f32 v48, v53, v49, -v48 op_sel_hi:[0,1,0]
	v_dot4c_i32_i8_e32 v52, v105, v45
	v_add_f32_e32 v13, v13, v48
	v_lshrrev_b16_e32 v48, 8, v47
	v_lshrrev_b32_e32 v49, 24, v47
	v_dot4c_i32_i8_e32 v52, v78, v44
	v_bfe_u32 v44, v47, 16, 8
	v_and_b32_e32 v45, 0xff, v47
	v_mov_b32_e32 v47, v21
	v_dot4c_i32_i8_e32 v47, v76, v43
	v_mul_lo_u32 v44, v52, v44
	v_mul_lo_u32 v45, v50, v45
	v_dot4c_i32_i8_e32 v47, v73, v42
	v_cvt_f32_i32_e32 v44, v44
	v_cvt_f32_i32_e32 v45, v45
	v_mul_lo_u32 v43, v51, v48
	v_mul_lo_u32 v42, v47, v49
	v_cvt_f32_i32_e32 v42, v42
	v_cvt_f32_i32_e32 v43, v43
	v_fma_mix_f32 v44, v40, v44, 0 op_sel_hi:[1,0,0]
	v_fma_mix_f32 v40, v40, v45, 0 op_sel_hi:[1,0,0]
	;; [unrolled: 1-line block ×4, first 2 shown]
	v_mov_b32_e32 v41, v21
	v_mul_f32_e32 v45, v40, v71
	v_pk_lshrrev_b16 v40, 8, v33 op_sel_hi:[0,1]
	v_dot4c_i32_i8_e32 v41, v83, v94
	v_and_b32_e32 v33, 0xff00ff, v33
	v_mov_b32_e32 v42, v21
	v_dot4c_i32_i8_e32 v41, v81, v95
	v_dot4c_i32_i8_e32 v42, v75, v92
	v_lshrrev_b32_e32 v43, 16, v40
	v_and_b32_e32 v47, 0xff, v40
	v_lshrrev_b32_e32 v40, 16, v33
	v_and_b32_e32 v33, 0xff, v33
	v_dot4c_i32_i8_e32 v42, v79, v90
	v_mul_lo_u32 v33, v41, v33
	v_mul_lo_u32 v41, v88, v40
	v_cvt_f32_i32_e32 v40, v33
	v_cvt_f32_i32_e32 v41, v41
	v_mul_lo_u32 v33, v42, v47
	v_mul_lo_u32 v35, v35, v43
	v_cvt_f32_i32_e32 v42, v33
	v_cvt_f32_i32_e32 v43, v35
	v_fma_mix_f32 v33, v44, v46, -v45 op_sel_hi:[0,1,0]
	v_pk_fma_f32 v[34:35], v[34:35], v[40:41], 0 op_sel_hi:[0,1,0]
	v_add_f32_e32 v12, v12, v33
	v_pk_fma_f32 v[32:33], v[32:33], v[42:43], v[34:35] op_sel_hi:[0,1,1]
	v_pk_mul_f32 v[32:33], v[32:33], v[36:37]
	v_add_u32_e32 v23, 4, v23
	v_sub_f32_e32 v32, v32, v33
	v_cmp_le_u32_e64 s[6:7], s5, v23
	v_add_f32_e32 v3, v3, v32
	v_lshl_add_u64 v[28:29], v[28:29], 0, s[16:17]
	s_or_b64 s[12:13], s[6:7], s[12:13]
	v_add_u32_e32 v39, 32, v39
	s_andn2_b64 exec, exec, s[12:13]
	s_cbranch_execz .LBB143_63
.LBB143_3:                              ; =>This Inner Loop Header: Depth=1
	v_lshl_add_u64 v[32:33], v[28:29], 0, v[24:25]
	global_load_dword v40, v[28:29], off offset:-36
	global_load_dword v41, v[28:29], off
	global_load_dword v44, v[32:33], off offset:-32
	global_load_dword v45, v[32:33], off offset:-16
	global_load_dword v42, v[32:33], off offset:4
	global_load_dword v43, v[32:33], off offset:20
	v_add_u32_e32 v32, s11, v23
	v_mad_i64_i32 v[34:35], s[6:7], v32, s28, v[30:31]
	v_lshl_add_u64 v[32:33], v[34:35], 0, v[24:25]
	v_lshl_add_u64 v[36:37], v[32:33], 0, v[18:19]
	global_load_dword v71, v[36:37], off offset:64
	global_load_dword v76, v[32:33], off offset:16
	;; [unrolled: 1-line block ×4, first 2 shown]
	v_lshl_add_u64 v[32:33], v[34:35], 0, v[20:21]
                                        ; implicit-def: $vgpr47
                                        ; implicit-def: $vgpr90
                                        ; implicit-def: $vgpr92
	s_and_saveexec_b64 s[6:7], vcc
	s_xor_b64 s[6:7], exec, s[6:7]
	s_cbranch_execz .LBB143_5
; %bb.4:                                ;   in Loop: Header=BB143_3 Depth=1
	global_load_ushort v90, v[32:33], off offset:8
	global_load_ushort v92, v[32:33], off offset:4
	global_load_ushort v36, v[32:33], off
	s_waitcnt vmcnt(1)
	v_lshrrev_b16_e32 v37, 2, v92
	s_waitcnt vmcnt(0)
	v_perm_b32 v36, v36, v90, s29
	v_perm_b32 v37, v90, v37, s29
	v_pk_lshrrev_b16 v36, s30, v36
	v_and_b32_e32 v37, 0xf0f3030, v37
	v_and_or_b32 v47, v36, s31, v37
.LBB143_5:                              ;   in Loop: Header=BB143_3 Depth=1
	s_andn2_saveexec_b64 s[6:7], s[6:7]
	s_cbranch_execz .LBB143_7
; %bb.6:                                ;   in Loop: Header=BB143_3 Depth=1
	global_load_ushort v92, v[32:33], off offset:4
	global_load_ushort v90, v[32:33], off offset:8
	s_waitcnt vmcnt(0)
	v_perm_b32 v36, v92, v90, s29
	v_and_b32_e32 v47, 0x3f3f3f3f, v36
.LBB143_7:                              ;   in Loop: Header=BB143_3 Depth=1
	s_or_b64 exec, exec, s[6:7]
	v_add_u32_e32 v46, s8, v23
	v_mov_b64_e32 v[36:37], s[20:21]
	v_mad_i64_i32 v[36:37], s[6:7], v46, s28, v[36:37]
	v_lshl_add_u64 v[48:49], v[36:37], 0, v[24:25]
	v_lshl_add_u64 v[50:51], v[48:49], 0, v[18:19]
	global_load_dword v75, v[50:51], off offset:64
	global_load_dword v46, v[34:35], off
	global_load_dword v81, v[48:49], off offset:16
	global_load_dword v79, v[50:51], off offset:48
	;; [unrolled: 1-line block ×3, first 2 shown]
	v_lshl_add_u64 v[34:35], v[36:37], 0, v[20:21]
                                        ; implicit-def: $vgpr88
                                        ; implicit-def: $vgpr48
	s_and_saveexec_b64 s[6:7], vcc
	s_xor_b64 s[6:7], exec, s[6:7]
	s_cbranch_execz .LBB143_9
; %bb.8:                                ;   in Loop: Header=BB143_3 Depth=1
	global_load_ushort v49, v[34:35], off offset:8
	global_load_ushort v50, v[34:35], off offset:4
	global_load_ushort v48, v[34:35], off
	s_waitcnt vmcnt(1)
	v_lshrrev_b16_e32 v51, 2, v50
	s_waitcnt vmcnt(0)
	v_perm_b32 v48, v48, v49, s29
	v_perm_b32 v51, v49, v51, s29
	v_pk_lshrrev_b16 v48, s30, v48
	v_and_b32_e32 v51, 0xf0f3030, v51
	v_and_or_b32 v48, v48, s31, v51
	v_perm_b32 v88, v49, v50, s29
.LBB143_9:                              ;   in Loop: Header=BB143_3 Depth=1
	s_andn2_saveexec_b64 s[6:7], s[6:7]
	s_cbranch_execz .LBB143_11
; %bb.10:                               ;   in Loop: Header=BB143_3 Depth=1
	global_load_ushort v49, v[34:35], off offset:4
	global_load_ushort v50, v[34:35], off offset:8
	s_waitcnt vmcnt(0)
	v_perm_b32 v48, v49, v50, s29
	v_and_b32_e32 v48, 0x3f3f3f3f, v48
	v_perm_b32 v88, v50, v49, s29
.LBB143_11:                             ;   in Loop: Header=BB143_3 Depth=1
	s_or_b64 exec, exec, s[6:7]
	global_load_dword v49, v[36:37], off
	v_add_u32_e32 v36, s9, v39
	v_mad_u64_u32 v[56:57], s[6:7], v36, 36, v[26:27]
	v_lshlrev_b32_e32 v36, 2, v22
	v_mov_b32_e32 v37, v21
	v_lshl_add_u64 v[58:59], v[56:57], 0, v[36:37]
	global_load_dword v50, v[56:57], off
	global_load_dword v54, v[58:59], off offset:20
	global_load_dword v52, v[58:59], off offset:40
	;; [unrolled: 1-line block ×5, first 2 shown]
	v_lshrrev_b16_e32 v37, 4, v90
	v_lshrrev_b16_e32 v56, 2, v92
	v_and_b32_e32 v105, 0xf0f, v90
	v_and_b32_e32 v106, 0xf0f, v37
	;; [unrolled: 1-line block ×3, first 2 shown]
                                        ; implicit-def: $vgpr57
                                        ; implicit-def: $vgpr56
	s_and_saveexec_b64 s[6:7], vcc
	s_xor_b64 s[6:7], exec, s[6:7]
	s_cbranch_execz .LBB143_13
; %bb.12:                               ;   in Loop: Header=BB143_3 Depth=1
	global_load_ushort v37, v[32:33], off
	v_or_b32_e32 v56, v107, v106
	s_waitcnt vmcnt(0)
	v_lshrrev_b16_e32 v37, 2, v37
	v_and_b32_e32 v37, 0x3030, v37
	v_or_b32_e32 v57, v37, v105
.LBB143_13:                             ;   in Loop: Header=BB143_3 Depth=1
	s_or_saveexec_b64 s[6:7], s[6:7]
	v_and_b32_e32 v96, 0x3f3f, v92
	v_and_b32_e32 v97, 0x3f3f, v90
	s_xor_b64 exec, exec, s[6:7]
; %bb.14:                               ;   in Loop: Header=BB143_3 Depth=1
	v_and_b32_e32 v57, 0x3f3f, v92
	v_and_b32_e32 v56, 0x3f3f, v90
; %bb.15:                               ;   in Loop: Header=BB143_3 Depth=1
	s_or_b64 exec, exec, s[6:7]
	v_lshrrev_b32_e32 v108, 20, v88
	v_and_b32_sdwa v94, v88, s33 dst_sel:DWORD dst_unused:UNUSED_PAD src0_sel:WORD_1 src1_sel:DWORD
	v_and_b32_e32 v95, 0xf0f, v108
	v_lshrrev_b16_e32 v112, 2, v88
                                        ; implicit-def: $vgpr59
                                        ; implicit-def: $vgpr58
	s_and_saveexec_b64 s[6:7], vcc
	s_xor_b64 s[6:7], exec, s[6:7]
	s_cbranch_execz .LBB143_17
; %bb.16:                               ;   in Loop: Header=BB143_3 Depth=1
	global_load_ushort v37, v[34:35], off
	v_and_b32_e32 v58, 0x3030, v112
	v_or_b32_e32 v58, v58, v95
	s_waitcnt vmcnt(0)
	v_lshrrev_b16_e32 v37, 2, v37
	v_and_b32_e32 v37, 0x3030, v37
	v_or_b32_e32 v59, v37, v94
.LBB143_17:                             ;   in Loop: Header=BB143_3 Depth=1
	s_or_saveexec_b64 s[6:7], s[6:7]
	v_and_b32_e32 v89, 0x3f3f, v88
	v_and_b32_sdwa v91, v88, s34 dst_sel:DWORD dst_unused:UNUSED_PAD src0_sel:WORD_1 src1_sel:DWORD
	s_xor_b64 exec, exec, s[6:7]
; %bb.18:                               ;   in Loop: Header=BB143_3 Depth=1
	v_and_b32_e32 v59, 0x3f3f, v88
	v_and_b32_sdwa v58, v88, s34 dst_sel:DWORD dst_unused:UNUSED_PAD src0_sel:WORD_1 src1_sel:DWORD
; %bb.19:                               ;   in Loop: Header=BB143_3 Depth=1
	s_or_b64 exec, exec, s[6:7]
	v_add_u32_e32 v37, s15, v39
	v_mad_u64_u32 v[66:67], s[6:7], v37, 36, v[26:27]
	v_mov_b32_e32 v37, v21
	v_lshl_add_u64 v[68:69], v[66:67], 0, v[36:37]
	global_load_dword v60, v[66:67], off
	global_load_dword v64, v[68:69], off offset:20
	global_load_dword v62, v[68:69], off offset:40
	;; [unrolled: 1-line block ×5, first 2 shown]
                                        ; implicit-def: $vgpr67
                                        ; implicit-def: $vgpr66
	s_and_saveexec_b64 s[6:7], vcc
	s_xor_b64 s[6:7], exec, s[6:7]
	s_cbranch_execz .LBB143_21
; %bb.20:                               ;   in Loop: Header=BB143_3 Depth=1
	global_load_ushort v37, v[32:33], off
	v_or_b32_e32 v66, v107, v106
	s_waitcnt vmcnt(0)
	v_lshrrev_b16_e32 v37, 2, v37
	v_and_b32_e32 v37, 0x3030, v37
	v_or_b32_e32 v67, v37, v105
	s_andn2_saveexec_b64 s[6:7], s[6:7]
	s_branch .LBB143_22
.LBB143_21:                             ;   in Loop: Header=BB143_3 Depth=1
	s_andn2_saveexec_b64 s[6:7], s[6:7]
.LBB143_22:                             ;   in Loop: Header=BB143_3 Depth=1
	v_and_b32_e32 v67, 0x3f3f, v92
	v_and_b32_e32 v66, 0x3f3f, v90
; %bb.23:                               ;   in Loop: Header=BB143_3 Depth=1
	s_or_b64 exec, exec, s[6:7]
                                        ; implicit-def: $vgpr69
                                        ; implicit-def: $vgpr68
	s_and_saveexec_b64 s[6:7], vcc
	s_xor_b64 s[6:7], exec, s[6:7]
	s_cbranch_execz .LBB143_25
; %bb.24:                               ;   in Loop: Header=BB143_3 Depth=1
	global_load_ushort v37, v[34:35], off
	v_and_b32_e32 v68, 0x3030, v112
	v_or_b32_e32 v68, v68, v95
	s_waitcnt vmcnt(0)
	v_lshrrev_b16_e32 v37, 2, v37
	v_and_b32_e32 v37, 0x3030, v37
	v_or_b32_e32 v69, v37, v94
	s_andn2_saveexec_b64 s[6:7], s[6:7]
	s_cbranch_execnz .LBB143_26
	s_branch .LBB143_27
.LBB143_25:                             ;   in Loop: Header=BB143_3 Depth=1
	s_andn2_saveexec_b64 s[6:7], s[6:7]
.LBB143_26:                             ;   in Loop: Header=BB143_3 Depth=1
	v_and_b32_e32 v69, 0x3f3f, v88
	v_and_b32_sdwa v68, v88, s34 dst_sel:DWORD dst_unused:UNUSED_PAD src0_sel:WORD_1 src1_sel:DWORD
.LBB143_27:                             ;   in Loop: Header=BB143_3 Depth=1
	s_or_b64 exec, exec, s[6:7]
	v_add_u32_e32 v37, s19, v39
	v_mad_u64_u32 v[84:85], s[6:7], v37, 36, v[26:27]
	v_mov_b32_e32 v37, v21
	v_lshl_add_u64 v[86:87], v[84:85], 0, v[36:37]
	global_load_dword v70, v[84:85], off
	global_load_dword v80, v[86:87], off offset:20
	global_load_dword v74, v[86:87], off offset:40
	;; [unrolled: 1-line block ×5, first 2 shown]
                                        ; implicit-def: $vgpr85
                                        ; implicit-def: $vgpr84
	s_and_saveexec_b64 s[6:7], vcc
	s_xor_b64 s[6:7], exec, s[6:7]
	s_cbranch_execz .LBB143_29
; %bb.28:                               ;   in Loop: Header=BB143_3 Depth=1
	global_load_ushort v37, v[32:33], off
	v_or_b32_e32 v84, v107, v106
	s_waitcnt vmcnt(0)
	v_lshrrev_b16_e32 v37, 2, v37
	v_and_b32_e32 v37, 0x3030, v37
	v_or_b32_e32 v85, v37, v105
	s_andn2_saveexec_b64 s[6:7], s[6:7]
	s_branch .LBB143_30
.LBB143_29:                             ;   in Loop: Header=BB143_3 Depth=1
	s_andn2_saveexec_b64 s[6:7], s[6:7]
.LBB143_30:                             ;   in Loop: Header=BB143_3 Depth=1
	v_and_b32_e32 v85, 0x3f3f, v92
	v_and_b32_e32 v84, 0x3f3f, v90
; %bb.31:                               ;   in Loop: Header=BB143_3 Depth=1
	s_or_b64 exec, exec, s[6:7]
                                        ; implicit-def: $vgpr87
                                        ; implicit-def: $vgpr86
	s_and_saveexec_b64 s[6:7], vcc
	s_xor_b64 s[6:7], exec, s[6:7]
	s_cbranch_execz .LBB143_33
; %bb.32:                               ;   in Loop: Header=BB143_3 Depth=1
	global_load_ushort v37, v[34:35], off
	v_and_b32_e32 v86, 0x3030, v112
	v_or_b32_e32 v86, v86, v95
	s_waitcnt vmcnt(0)
	v_lshrrev_b16_e32 v37, 2, v37
	v_and_b32_e32 v37, 0x3030, v37
	v_or_b32_e32 v87, v37, v94
	s_andn2_saveexec_b64 s[6:7], s[6:7]
	s_cbranch_execnz .LBB143_34
	s_branch .LBB143_35
.LBB143_33:                             ;   in Loop: Header=BB143_3 Depth=1
	s_andn2_saveexec_b64 s[6:7], s[6:7]
.LBB143_34:                             ;   in Loop: Header=BB143_3 Depth=1
	v_and_b32_e32 v87, 0x3f3f, v88
	v_and_b32_sdwa v86, v88, s34 dst_sel:DWORD dst_unused:UNUSED_PAD src0_sel:WORD_1 src1_sel:DWORD
.LBB143_35:                             ;   in Loop: Header=BB143_3 Depth=1
	s_or_b64 exec, exec, s[6:7]
	v_add_u32_e32 v37, s22, v39
	v_mad_u64_u32 v[110:111], s[6:7], v37, 36, v[26:27]
	v_mov_b32_e32 v37, v21
	v_lshl_add_u64 v[114:115], v[110:111], 0, v[36:37]
	global_load_dword v93, v[110:111], off
	global_load_dword v101, v[114:115], off offset:20
	global_load_dword v99, v[114:115], off offset:40
	;; [unrolled: 1-line block ×5, first 2 shown]
                                        ; implicit-def: $vgpr104
                                        ; implicit-def: $vgpr103
	s_and_saveexec_b64 s[6:7], vcc
	s_xor_b64 s[6:7], exec, s[6:7]
	s_cbranch_execz .LBB143_37
; %bb.36:                               ;   in Loop: Header=BB143_3 Depth=1
	global_load_ushort v37, v[32:33], off
	v_or_b32_e32 v103, v107, v106
	s_waitcnt vmcnt(0)
	v_lshrrev_b16_e32 v37, 2, v37
	v_and_b32_e32 v37, 0x3030, v37
	v_or_b32_e32 v104, v37, v105
	s_andn2_saveexec_b64 s[6:7], s[6:7]
	s_branch .LBB143_38
.LBB143_37:                             ;   in Loop: Header=BB143_3 Depth=1
	s_andn2_saveexec_b64 s[6:7], s[6:7]
.LBB143_38:                             ;   in Loop: Header=BB143_3 Depth=1
	v_and_b32_e32 v104, 0x3f3f, v92
	v_and_b32_e32 v103, 0x3f3f, v90
; %bb.39:                               ;   in Loop: Header=BB143_3 Depth=1
	s_or_b64 exec, exec, s[6:7]
                                        ; implicit-def: $vgpr110
                                        ; implicit-def: $vgpr109
	s_and_saveexec_b64 s[6:7], vcc
	s_xor_b64 s[6:7], exec, s[6:7]
	s_cbranch_execz .LBB143_41
; %bb.40:                               ;   in Loop: Header=BB143_3 Depth=1
	global_load_ushort v37, v[34:35], off
	v_and_b32_e32 v109, 0x3030, v112
	v_or_b32_e32 v109, v109, v95
	s_waitcnt vmcnt(0)
	v_lshrrev_b16_e32 v37, 2, v37
	v_and_b32_e32 v37, 0x3030, v37
	v_or_b32_e32 v110, v37, v94
	s_andn2_saveexec_b64 s[6:7], s[6:7]
	s_cbranch_execnz .LBB143_42
	s_branch .LBB143_43
.LBB143_41:                             ;   in Loop: Header=BB143_3 Depth=1
	s_andn2_saveexec_b64 s[6:7], s[6:7]
.LBB143_42:                             ;   in Loop: Header=BB143_3 Depth=1
	v_and_b32_e32 v110, 0x3f3f, v88
	v_and_b32_sdwa v109, v88, s34 dst_sel:DWORD dst_unused:UNUSED_PAD src0_sel:WORD_1 src1_sel:DWORD
.LBB143_43:                             ;   in Loop: Header=BB143_3 Depth=1
	s_or_b64 exec, exec, s[6:7]
	v_add_u32_e32 v37, s23, v39
	v_mad_u64_u32 v[118:119], s[6:7], v37, 36, v[26:27]
	v_mov_b32_e32 v37, v21
	v_lshl_add_u64 v[120:121], v[118:119], 0, v[36:37]
	global_load_dword v111, v[118:119], off
	global_load_dword v116, v[120:121], off offset:20
	global_load_dword v114, v[120:121], off offset:40
	;; [unrolled: 1-line block ×5, first 2 shown]
                                        ; implicit-def: $vgpr119
                                        ; implicit-def: $vgpr118
	s_and_saveexec_b64 s[6:7], vcc
	s_xor_b64 s[6:7], exec, s[6:7]
	s_cbranch_execz .LBB143_45
; %bb.44:                               ;   in Loop: Header=BB143_3 Depth=1
	global_load_ushort v37, v[32:33], off
	v_or_b32_e32 v118, v107, v106
	s_waitcnt vmcnt(0)
	v_lshrrev_b16_e32 v37, 2, v37
	v_and_b32_e32 v37, 0x3030, v37
	v_or_b32_e32 v119, v37, v105
	s_andn2_saveexec_b64 s[6:7], s[6:7]
	s_branch .LBB143_46
.LBB143_45:                             ;   in Loop: Header=BB143_3 Depth=1
	s_andn2_saveexec_b64 s[6:7], s[6:7]
.LBB143_46:                             ;   in Loop: Header=BB143_3 Depth=1
	v_and_b32_e32 v119, 0x3f3f, v92
	v_and_b32_e32 v118, 0x3f3f, v90
; %bb.47:                               ;   in Loop: Header=BB143_3 Depth=1
	s_or_b64 exec, exec, s[6:7]
                                        ; implicit-def: $vgpr121
                                        ; implicit-def: $vgpr120
	s_and_saveexec_b64 s[6:7], vcc
	s_xor_b64 s[6:7], exec, s[6:7]
	s_cbranch_execz .LBB143_49
; %bb.48:                               ;   in Loop: Header=BB143_3 Depth=1
	global_load_ushort v37, v[34:35], off
	v_and_b32_e32 v120, 0x3030, v112
	v_or_b32_e32 v120, v120, v95
	s_waitcnt vmcnt(0)
	v_lshrrev_b16_e32 v37, 2, v37
	v_and_b32_e32 v37, 0x3030, v37
	v_or_b32_e32 v121, v37, v94
	s_andn2_saveexec_b64 s[6:7], s[6:7]
	s_cbranch_execnz .LBB143_50
	s_branch .LBB143_51
.LBB143_49:                             ;   in Loop: Header=BB143_3 Depth=1
	s_andn2_saveexec_b64 s[6:7], s[6:7]
.LBB143_50:                             ;   in Loop: Header=BB143_3 Depth=1
	v_and_b32_e32 v121, 0x3f3f, v88
	v_and_b32_sdwa v120, v88, s34 dst_sel:DWORD dst_unused:UNUSED_PAD src0_sel:WORD_1 src1_sel:DWORD
.LBB143_51:                             ;   in Loop: Header=BB143_3 Depth=1
	s_or_b64 exec, exec, s[6:7]
	v_add_u32_e32 v37, s26, v39
	v_mad_u64_u32 v[128:129], s[6:7], v37, 36, v[26:27]
	v_mov_b32_e32 v37, v21
	v_lshl_add_u64 v[130:131], v[128:129], 0, v[36:37]
	global_load_dword v122, v[128:129], off
	global_load_dword v126, v[130:131], off offset:20
	global_load_dword v124, v[130:131], off offset:40
	;; [unrolled: 1-line block ×5, first 2 shown]
                                        ; implicit-def: $vgpr129
                                        ; implicit-def: $vgpr128
	s_and_saveexec_b64 s[6:7], vcc
	s_xor_b64 s[6:7], exec, s[6:7]
	s_cbranch_execz .LBB143_61
; %bb.52:                               ;   in Loop: Header=BB143_3 Depth=1
	global_load_ushort v37, v[32:33], off
	v_or_b32_e32 v128, v107, v106
                                        ; implicit-def: $vgpr92
                                        ; implicit-def: $vgpr90
	s_waitcnt vmcnt(0)
	v_lshrrev_b16_e32 v37, 2, v37
	v_and_b32_e32 v37, 0x3030, v37
	v_or_b32_e32 v129, v37, v105
	s_andn2_saveexec_b64 s[6:7], s[6:7]
	s_cbranch_execnz .LBB143_62
.LBB143_53:                             ;   in Loop: Header=BB143_3 Depth=1
	s_or_b64 exec, exec, s[6:7]
	s_and_saveexec_b64 s[6:7], vcc
	s_xor_b64 s[6:7], exec, s[6:7]
	s_cbranch_execz .LBB143_55
.LBB143_54:                             ;   in Loop: Header=BB143_3 Depth=1
	global_load_ushort v37, v[34:35], off
	v_and_b32_e32 v90, 0x3030, v112
	v_or_b32_e32 v91, v90, v95
	s_waitcnt vmcnt(0)
	v_lshrrev_b16_e32 v37, 2, v37
	v_and_b32_e32 v37, 0x3030, v37
	v_or_b32_e32 v89, v37, v94
.LBB143_55:                             ;   in Loop: Header=BB143_3 Depth=1
	s_andn2_saveexec_b64 s[6:7], s[6:7]
	s_or_b64 exec, exec, s[6:7]
	v_add_u32_e32 v37, s27, v39
	v_mad_u64_u32 v[130:131], s[6:7], v37, 36, v[26:27]
	v_mov_b32_e32 v37, v21
	v_lshl_add_u64 v[36:37], v[130:131], 0, v[36:37]
	global_load_dword v112, v[130:131], off
	global_load_dword v94, v[36:37], off offset:20
	global_load_dword v90, v[36:37], off offset:40
	;; [unrolled: 1-line block ×4, first 2 shown]
	s_nop 0
	global_load_dword v36, v[130:131], off offset:36
	s_and_saveexec_b64 s[6:7], vcc
	s_xor_b64 s[6:7], exec, s[6:7]
	s_cbranch_execz .LBB143_57
; %bb.56:                               ;   in Loop: Header=BB143_3 Depth=1
	global_load_ushort v32, v[32:33], off
	v_or_b32_e32 v97, v107, v106
	s_waitcnt vmcnt(0)
	v_lshrrev_b16_e32 v32, 2, v32
	v_and_b32_e32 v32, 0x3030, v32
	v_or_b32_e32 v96, v32, v105
.LBB143_57:                             ;   in Loop: Header=BB143_3 Depth=1
	s_andn2_saveexec_b64 s[6:7], s[6:7]
	s_or_b64 exec, exec, s[6:7]
                                        ; implicit-def: $vgpr33
	s_and_saveexec_b64 s[6:7], vcc
	s_xor_b64 s[6:7], exec, s[6:7]
	s_cbranch_execz .LBB143_59
; %bb.58:                               ;   in Loop: Header=BB143_3 Depth=1
	global_load_ushort v32, v[34:35], off
	v_alignbit_b32 v33, v108, v88, 16
	v_and_b32_e32 v33, 0xf0f0f0f, v33
	s_waitcnt vmcnt(0)
	v_perm_b32 v32, v88, v32, s29
	v_pk_lshrrev_b16 v32, 2, v32 op_sel_hi:[0,1]
	v_and_or_b32 v33, v32, s35, v33
                                        ; implicit-def: $vgpr88
.LBB143_59:                             ;   in Loop: Header=BB143_3 Depth=1
	s_andn2_saveexec_b64 s[6:7], s[6:7]
	s_cbranch_execz .LBB143_2
; %bb.60:                               ;   in Loop: Header=BB143_3 Depth=1
	v_and_b32_e32 v33, 0x3f3f3f3f, v88
	s_branch .LBB143_2
.LBB143_61:                             ;   in Loop: Header=BB143_3 Depth=1
	s_andn2_saveexec_b64 s[6:7], s[6:7]
	s_cbranch_execz .LBB143_53
.LBB143_62:                             ;   in Loop: Header=BB143_3 Depth=1
	v_and_b32_e32 v129, 0x3f3f, v92
	v_and_b32_e32 v128, 0x3f3f, v90
	s_or_b64 exec, exec, s[6:7]
	s_and_saveexec_b64 s[6:7], vcc
	s_xor_b64 s[6:7], exec, s[6:7]
	s_cbranch_execnz .LBB143_54
	s_branch .LBB143_55
.LBB143_63:
	s_or_b64 exec, exec, s[12:13]
	scratch_store_dwordx4 off, v[12:15], off
	scratch_store_dwordx4 off, v[8:11], off offset:16
	scratch_store_dwordx4 off, v[4:7], off offset:32
	;; [unrolled: 1-line block ×3, first 2 shown]
.LBB143_64:
	s_or_b64 exec, exec, s[24:25]
	s_mov_b32 s5, 0
	v_cmp_eq_u32_e32 vcc, 0, v17
	s_waitcnt lgkmcnt(0)
	; wave barrier
	s_and_saveexec_b64 s[6:7], vcc
	s_cbranch_execz .LBB143_81
; %bb.65:
	scratch_load_dwordx2 v[2:3], off, off
	v_mbcnt_lo_u32_b32 v0, -1, 0
	v_mbcnt_hi_u32_b32 v12, -1, v0
	s_load_dwordx2 s[6:7], s[0:1], 0x38
	s_mul_i32 s0, s3, s14
	v_or_b32_e32 v1, s2, v16
	v_and_b32_e32 v0, 64, v12
	s_mul_i32 s4, s4, s18
	s_add_i32 s2, s0, s2
	v_cmp_gt_u32_e64 s[0:1], s10, v1
	v_xor_b32_e32 v1, 32, v12
	v_add_u32_e32 v13, 64, v0
	s_add_i32 s4, s2, s4
	v_cmp_lt_i32_e64 s[2:3], v1, v13
	v_cmp_gt_u32_e32 vcc, 2, v16
	s_nop 0
	v_cndmask_b32_e64 v0, v12, v1, s[2:3]
	v_lshlrev_b32_e32 v0, 2, v0
	v_xor_b32_e32 v1, 16, v12
	v_cmp_lt_i32_e64 s[2:3], v1, v13
	s_waitcnt vmcnt(0)
	ds_bpermute_b32 v4, v0, v2
	ds_bpermute_b32 v5, v0, v3
	v_cndmask_b32_e64 v1, v12, v1, s[2:3]
	v_lshlrev_b32_e32 v1, 2, v1
	s_waitcnt lgkmcnt(0)
	v_pk_add_f32 v[4:5], v[2:3], v[4:5]
	ds_bpermute_b32 v6, v1, v4
	ds_bpermute_b32 v7, v1, v5
	v_xor_b32_e32 v2, 8, v12
	v_cmp_lt_i32_e64 s[2:3], v2, v13
	v_xor_b32_e32 v3, 4, v12
	s_waitcnt lgkmcnt(0)
	v_pk_add_f32 v[4:5], v[4:5], v[6:7]
	v_cndmask_b32_e64 v2, v12, v2, s[2:3]
	v_lshlrev_b32_e32 v2, 2, v2
	ds_bpermute_b32 v6, v2, v4
	ds_bpermute_b32 v7, v2, v5
	v_cmp_lt_i32_e64 s[2:3], v3, v13
	s_waitcnt lgkmcnt(0)
	v_pk_add_f32 v[6:7], v[4:5], v[6:7]
	v_cndmask_b32_e64 v3, v12, v3, s[2:3]
	v_lshlrev_b32_e32 v3, 2, v3
	ds_bpermute_b32 v8, v3, v6
	ds_bpermute_b32 v9, v3, v7
	v_xor_b32_e32 v4, 2, v12
	v_cmp_lt_i32_e64 s[2:3], v4, v13
	v_xor_b32_e32 v5, 1, v12
	s_waitcnt lgkmcnt(0)
	v_pk_add_f32 v[8:9], v[6:7], v[8:9]
	v_cndmask_b32_e64 v4, v12, v4, s[2:3]
	v_lshlrev_b32_e32 v4, 2, v4
	ds_bpermute_b32 v10, v4, v8
	ds_bpermute_b32 v11, v4, v9
	v_cmp_lt_i32_e64 s[2:3], v5, v13
	s_waitcnt lgkmcnt(0)
	v_pk_add_f32 v[8:9], v[8:9], v[10:11]
	v_cndmask_b32_e64 v5, v12, v5, s[2:3]
	v_lshlrev_b32_e32 v6, 2, v5
	ds_bpermute_b32 v10, v6, v8
	ds_bpermute_b32 v11, v6, v9
	s_lshl_b64 s[2:3], s[4:5], 2
	s_add_u32 s2, s6, s2
	s_addc_u32 s3, s7, s3
	s_and_b64 s[0:1], vcc, s[0:1]
	s_waitcnt lgkmcnt(0)
	v_pk_add_f32 v[8:9], v[8:9], v[10:11]
	v_lshlrev_b32_e32 v5, 2, v16
	scratch_store_dwordx2 off, v[8:9], off
	s_and_saveexec_b64 s[4:5], s[0:1]
	s_cbranch_execz .LBB143_67
; %bb.66:
	scratch_load_dword v7, v5, off
	s_waitcnt vmcnt(0)
	global_store_dword v5, v7, s[2:3]
.LBB143_67:
	s_or_b64 exec, exec, s[4:5]
	scratch_load_dwordx2 v[8:9], off, off offset:8
	s_waitcnt vmcnt(0)
	ds_bpermute_b32 v10, v0, v8
	ds_bpermute_b32 v11, v0, v9
	s_waitcnt lgkmcnt(0)
	v_pk_add_f32 v[8:9], v[8:9], v[10:11]
	ds_bpermute_b32 v10, v1, v8
	ds_bpermute_b32 v11, v1, v9
	s_waitcnt lgkmcnt(0)
	v_pk_add_f32 v[8:9], v[8:9], v[10:11]
	;; [unrolled: 4-line block ×6, first 2 shown]
	scratch_store_dwordx2 off, v[8:9], off offset:8
	s_and_saveexec_b64 s[4:5], s[0:1]
	s_cbranch_execz .LBB143_69
; %bb.68:
	scratch_load_dword v7, v5, off offset:8
	v_add_u32_e32 v8, s10, v16
	v_mov_b32_e32 v9, 0
	v_lshl_add_u64 v[8:9], v[8:9], 2, s[2:3]
	s_waitcnt vmcnt(0)
	global_store_dword v[8:9], v7, off
.LBB143_69:
	s_or_b64 exec, exec, s[4:5]
	scratch_load_dwordx2 v[8:9], off, off offset:16
	s_waitcnt vmcnt(0)
	ds_bpermute_b32 v10, v0, v8
	ds_bpermute_b32 v11, v0, v9
	s_waitcnt lgkmcnt(0)
	v_pk_add_f32 v[8:9], v[8:9], v[10:11]
	ds_bpermute_b32 v10, v1, v8
	ds_bpermute_b32 v11, v1, v9
	s_waitcnt lgkmcnt(0)
	v_pk_add_f32 v[8:9], v[8:9], v[10:11]
	;; [unrolled: 4-line block ×6, first 2 shown]
	scratch_store_dwordx2 off, v[8:9], off offset:16
	s_and_saveexec_b64 s[4:5], s[0:1]
	s_cbranch_execz .LBB143_71
; %bb.70:
	scratch_load_dword v7, v5, off offset:16
	v_lshl_or_b32 v8, s10, 1, v16
	v_mov_b32_e32 v9, 0
	v_lshl_add_u64 v[8:9], v[8:9], 2, s[2:3]
	s_waitcnt vmcnt(0)
	global_store_dword v[8:9], v7, off
.LBB143_71:
	s_or_b64 exec, exec, s[4:5]
	scratch_load_dwordx2 v[8:9], off, off offset:24
	s_waitcnt vmcnt(0)
	ds_bpermute_b32 v10, v0, v8
	ds_bpermute_b32 v11, v0, v9
	s_waitcnt lgkmcnt(0)
	v_pk_add_f32 v[8:9], v[8:9], v[10:11]
	ds_bpermute_b32 v10, v1, v8
	ds_bpermute_b32 v11, v1, v9
	s_waitcnt lgkmcnt(0)
	v_pk_add_f32 v[8:9], v[8:9], v[10:11]
	;; [unrolled: 4-line block ×6, first 2 shown]
	scratch_store_dwordx2 off, v[8:9], off offset:24
	s_and_saveexec_b64 s[4:5], s[0:1]
	s_cbranch_execz .LBB143_73
; %bb.72:
	scratch_load_dword v7, v5, off offset:24
	v_mad_u64_u32 v[8:9], s[6:7], s10, 3, v[16:17]
	v_mov_b32_e32 v9, 0
	v_lshl_add_u64 v[8:9], v[8:9], 2, s[2:3]
	s_waitcnt vmcnt(0)
	global_store_dword v[8:9], v7, off
.LBB143_73:
	s_or_b64 exec, exec, s[4:5]
	scratch_load_dwordx2 v[8:9], off, off offset:32
	s_waitcnt vmcnt(0)
	ds_bpermute_b32 v10, v0, v8
	ds_bpermute_b32 v11, v0, v9
	s_waitcnt lgkmcnt(0)
	v_pk_add_f32 v[8:9], v[8:9], v[10:11]
	ds_bpermute_b32 v10, v1, v8
	ds_bpermute_b32 v11, v1, v9
	s_waitcnt lgkmcnt(0)
	v_pk_add_f32 v[8:9], v[8:9], v[10:11]
	;; [unrolled: 4-line block ×6, first 2 shown]
	scratch_store_dwordx2 off, v[8:9], off offset:32
	s_and_saveexec_b64 s[4:5], s[0:1]
	s_cbranch_execz .LBB143_75
; %bb.74:
	scratch_load_dword v7, v5, off offset:32
	v_lshl_or_b32 v8, s10, 2, v16
	v_mov_b32_e32 v9, 0
	v_lshl_add_u64 v[8:9], v[8:9], 2, s[2:3]
	s_waitcnt vmcnt(0)
	global_store_dword v[8:9], v7, off
.LBB143_75:
	s_or_b64 exec, exec, s[4:5]
	scratch_load_dwordx2 v[8:9], off, off offset:40
	s_waitcnt vmcnt(0)
	ds_bpermute_b32 v10, v0, v8
	ds_bpermute_b32 v11, v0, v9
	s_waitcnt lgkmcnt(0)
	v_pk_add_f32 v[8:9], v[8:9], v[10:11]
	ds_bpermute_b32 v10, v1, v8
	ds_bpermute_b32 v11, v1, v9
	s_waitcnt lgkmcnt(0)
	v_pk_add_f32 v[8:9], v[8:9], v[10:11]
	;; [unrolled: 4-line block ×6, first 2 shown]
	scratch_store_dwordx2 off, v[8:9], off offset:40
	s_and_saveexec_b64 s[4:5], s[0:1]
	s_cbranch_execz .LBB143_77
; %bb.76:
	scratch_load_dword v7, v5, off offset:40
	v_mad_u64_u32 v[8:9], s[6:7], s10, 5, v[16:17]
	v_mov_b32_e32 v9, 0
	v_lshl_add_u64 v[8:9], v[8:9], 2, s[2:3]
	s_waitcnt vmcnt(0)
	global_store_dword v[8:9], v7, off
.LBB143_77:
	s_or_b64 exec, exec, s[4:5]
	scratch_load_dwordx2 v[8:9], off, off offset:48
	s_waitcnt vmcnt(0)
	ds_bpermute_b32 v10, v0, v8
	ds_bpermute_b32 v11, v0, v9
	s_waitcnt lgkmcnt(0)
	v_pk_add_f32 v[8:9], v[8:9], v[10:11]
	ds_bpermute_b32 v10, v1, v8
	ds_bpermute_b32 v11, v1, v9
	s_waitcnt lgkmcnt(0)
	v_pk_add_f32 v[8:9], v[8:9], v[10:11]
	;; [unrolled: 4-line block ×6, first 2 shown]
	scratch_store_dwordx2 off, v[8:9], off offset:48
	s_and_saveexec_b64 s[4:5], s[0:1]
	s_cbranch_execz .LBB143_79
; %bb.78:
	scratch_load_dword v7, v5, off offset:48
	s_mul_i32 s6, s10, 6
	v_or_b32_e32 v8, s6, v16
	v_mov_b32_e32 v9, 0
	v_lshl_add_u64 v[8:9], v[8:9], 2, s[2:3]
	s_waitcnt vmcnt(0)
	global_store_dword v[8:9], v7, off
.LBB143_79:
	s_or_b64 exec, exec, s[4:5]
	scratch_load_dwordx2 v[8:9], off, off offset:56
	s_waitcnt vmcnt(0)
	ds_bpermute_b32 v10, v0, v8
	ds_bpermute_b32 v11, v0, v9
	s_waitcnt lgkmcnt(0)
	v_pk_add_f32 v[8:9], v[8:9], v[10:11]
	ds_bpermute_b32 v0, v1, v8
	ds_bpermute_b32 v1, v1, v9
	s_waitcnt lgkmcnt(0)
	v_pk_add_f32 v[0:1], v[8:9], v[0:1]
	ds_bpermute_b32 v8, v2, v0
	ds_bpermute_b32 v9, v2, v1
	s_waitcnt lgkmcnt(0)
	v_pk_add_f32 v[0:1], v[0:1], v[8:9]
	ds_bpermute_b32 v2, v3, v0
	ds_bpermute_b32 v3, v3, v1
	s_waitcnt lgkmcnt(0)
	v_pk_add_f32 v[0:1], v[0:1], v[2:3]
	ds_bpermute_b32 v2, v4, v0
	ds_bpermute_b32 v3, v4, v1
	s_waitcnt lgkmcnt(0)
	v_pk_add_f32 v[0:1], v[0:1], v[2:3]
	ds_bpermute_b32 v2, v6, v0
	ds_bpermute_b32 v3, v6, v1
	s_waitcnt lgkmcnt(0)
	v_pk_add_f32 v[0:1], v[0:1], v[2:3]
	scratch_store_dwordx2 off, v[0:1], off offset:56
	s_and_b64 exec, exec, s[0:1]
	s_cbranch_execz .LBB143_81
; %bb.80:
	scratch_load_dword v2, v5, off offset:56
	v_mad_u64_u32 v[0:1], s[0:1], s10, 7, v[16:17]
	v_mov_b32_e32 v1, 0
	v_lshl_add_u64 v[0:1], v[0:1], 2, s[2:3]
	s_waitcnt vmcnt(0)
	global_store_dword v[0:1], v2, off
.LBB143_81:
	s_endpgm
	.section	.rodata,"a",@progbits
	.p2align	6, 0x0
	.amdhsa_kernel _ZL13mul_mat_vec_qIL9ggml_type13ELi8ELb0ELb0EEvPKvS2_PKi31ggml_cuda_mm_fusion_args_devicePfj15HIP_vector_typeIjLj3EEjjjS8_jjjS8_jjjj
		.amdhsa_group_segment_fixed_size 0
		.amdhsa_private_segment_fixed_size 80
		.amdhsa_kernarg_size 144
		.amdhsa_user_sgpr_count 2
		.amdhsa_user_sgpr_dispatch_ptr 0
		.amdhsa_user_sgpr_queue_ptr 0
		.amdhsa_user_sgpr_kernarg_segment_ptr 1
		.amdhsa_user_sgpr_dispatch_id 0
		.amdhsa_user_sgpr_kernarg_preload_length 0
		.amdhsa_user_sgpr_kernarg_preload_offset 0
		.amdhsa_user_sgpr_private_segment_size 0
		.amdhsa_uses_dynamic_stack 0
		.amdhsa_enable_private_segment 1
		.amdhsa_system_sgpr_workgroup_id_x 1
		.amdhsa_system_sgpr_workgroup_id_y 1
		.amdhsa_system_sgpr_workgroup_id_z 1
		.amdhsa_system_sgpr_workgroup_info 0
		.amdhsa_system_vgpr_workitem_id 1
		.amdhsa_next_free_vgpr 132
		.amdhsa_next_free_sgpr 38
		.amdhsa_accum_offset 132
		.amdhsa_reserve_vcc 1
		.amdhsa_float_round_mode_32 0
		.amdhsa_float_round_mode_16_64 0
		.amdhsa_float_denorm_mode_32 3
		.amdhsa_float_denorm_mode_16_64 3
		.amdhsa_dx10_clamp 1
		.amdhsa_ieee_mode 1
		.amdhsa_fp16_overflow 0
		.amdhsa_tg_split 0
		.amdhsa_exception_fp_ieee_invalid_op 0
		.amdhsa_exception_fp_denorm_src 0
		.amdhsa_exception_fp_ieee_div_zero 0
		.amdhsa_exception_fp_ieee_overflow 0
		.amdhsa_exception_fp_ieee_underflow 0
		.amdhsa_exception_fp_ieee_inexact 0
		.amdhsa_exception_int_div_zero 0
	.end_amdhsa_kernel
	.section	.text._ZL13mul_mat_vec_qIL9ggml_type13ELi8ELb0ELb0EEvPKvS2_PKi31ggml_cuda_mm_fusion_args_devicePfj15HIP_vector_typeIjLj3EEjjjS8_jjjS8_jjjj,"axG",@progbits,_ZL13mul_mat_vec_qIL9ggml_type13ELi8ELb0ELb0EEvPKvS2_PKi31ggml_cuda_mm_fusion_args_devicePfj15HIP_vector_typeIjLj3EEjjjS8_jjjS8_jjjj,comdat
.Lfunc_end143:
	.size	_ZL13mul_mat_vec_qIL9ggml_type13ELi8ELb0ELb0EEvPKvS2_PKi31ggml_cuda_mm_fusion_args_devicePfj15HIP_vector_typeIjLj3EEjjjS8_jjjS8_jjjj, .Lfunc_end143-_ZL13mul_mat_vec_qIL9ggml_type13ELi8ELb0ELb0EEvPKvS2_PKi31ggml_cuda_mm_fusion_args_devicePfj15HIP_vector_typeIjLj3EEjjjS8_jjjS8_jjjj
                                        ; -- End function
	.section	.AMDGPU.csdata,"",@progbits
; Kernel info:
; codeLenInByte = 7852
; NumSgprs: 44
; NumVgprs: 132
; NumAgprs: 0
; TotalNumVgprs: 132
; ScratchSize: 80
; MemoryBound: 0
; FloatMode: 240
; IeeeMode: 1
; LDSByteSize: 0 bytes/workgroup (compile time only)
; SGPRBlocks: 5
; VGPRBlocks: 16
; NumSGPRsForWavesPerEU: 44
; NumVGPRsForWavesPerEU: 132
; AccumOffset: 132
; Occupancy: 3
; WaveLimiterHint : 0
; COMPUTE_PGM_RSRC2:SCRATCH_EN: 1
; COMPUTE_PGM_RSRC2:USER_SGPR: 2
; COMPUTE_PGM_RSRC2:TRAP_HANDLER: 0
; COMPUTE_PGM_RSRC2:TGID_X_EN: 1
; COMPUTE_PGM_RSRC2:TGID_Y_EN: 1
; COMPUTE_PGM_RSRC2:TGID_Z_EN: 1
; COMPUTE_PGM_RSRC2:TIDIG_COMP_CNT: 1
; COMPUTE_PGM_RSRC3_GFX90A:ACCUM_OFFSET: 32
; COMPUTE_PGM_RSRC3_GFX90A:TG_SPLIT: 0
	.section	.text._ZL17mul_mat_vec_q_moeIL9ggml_type14ELi2EEvPKvS2_PKiPfj15HIP_vector_typeIjLj3EEjjjjjjjjj,"axG",@progbits,_ZL17mul_mat_vec_q_moeIL9ggml_type14ELi2EEvPKvS2_PKiPfj15HIP_vector_typeIjLj3EEjjjjjjjjj,comdat
	.globl	_ZL17mul_mat_vec_q_moeIL9ggml_type14ELi2EEvPKvS2_PKiPfj15HIP_vector_typeIjLj3EEjjjjjjjjj ; -- Begin function _ZL17mul_mat_vec_q_moeIL9ggml_type14ELi2EEvPKvS2_PKiPfj15HIP_vector_typeIjLj3EEjjjjjjjjj
	.p2align	8
	.type	_ZL17mul_mat_vec_q_moeIL9ggml_type14ELi2EEvPKvS2_PKiPfj15HIP_vector_typeIjLj3EEjjjjjjjjj,@function
_ZL17mul_mat_vec_q_moeIL9ggml_type14ELi2EEvPKvS2_PKiPfj15HIP_vector_typeIjLj3EEjjjjjjjjj: ; @_ZL17mul_mat_vec_q_moeIL9ggml_type14ELi2EEvPKvS2_PKiPfj15HIP_vector_typeIjLj3EEjjjjjjjjj
; %bb.0:
	s_load_dwordx8 s[4:11], s[0:1], 0x30
	v_bfe_u32 v14, v0, 10, 10
	s_waitcnt lgkmcnt(0)
	v_cmp_gt_u32_e32 vcc, s11, v14
	s_and_saveexec_b64 s[12:13], vcc
	s_cbranch_execz .LBB144_7
; %bb.1:
	s_load_dword s11, s[0:1], 0x20
	s_load_dword s20, s[0:1], 0x50
	s_load_dwordx8 s[12:19], s[0:1], 0x0
	v_and_b32_e32 v15, 0x3ff, v0
	v_lshrrev_b32_e32 v16, 5, v15
	s_waitcnt lgkmcnt(0)
	s_lshr_b32 s11, s11, 8
	s_lshl_b32 s2, s2, 1
	v_cmp_gt_u32_e32 vcc, s11, v16
	v_mov_b32_e32 v3, 0
	v_mov_b32_e32 v2, 0
	s_and_saveexec_b64 s[24:25], vcc
	s_cbranch_execz .LBB144_5
; %bb.2:
	v_mul_lo_u32 v0, v14, s20
	v_mov_b32_e32 v2, s16
	v_mov_b32_e32 v3, s17
	v_add_u32_e32 v0, s3, v0
	v_mov_b32_e32 v1, 0
	v_lshl_add_u64 v[2:3], v[0:1], 2, v[2:3]
	global_load_dword v3, v[2:3], off
	s_load_dwordx4 s[20:23], s[0:1], 0x24
	v_mul_lo_u32 v0, v14, s6
	v_bfe_u32 v10, v15, 4, 1
	v_and_b32_e32 v6, 15, v15
	v_lshrrev_b32_e32 v19, 5, v15
	s_waitcnt lgkmcnt(0)
	s_mul_hi_u32 s20, s20, s3
	s_add_i32 s20, s3, s20
	s_lshr_b32 s20, s20, s21
	s_mul_i32 s20, s20, s22
	s_movk_i32 s29, 0x120
	v_mad_u64_u32 v[12:13], s[26:27], v0, 36, 0
	s_sub_i32 s20, s3, s20
	v_and_b32_e32 v18, 7, v15
	v_lshrrev_b16_e32 v20, 3, v6
	v_lshlrev_b32_e32 v21, 3, v10
	v_mad_u64_u32 v[12:13], s[26:27], v19, s29, v[12:13]
	s_mul_i32 s20, s20, s9
	v_and_b32_e32 v2, 31, v15
	s_add_i32 s30, s2, 1
	v_lshl_or_b32 v23, v10, 2, v20
	v_or_b32_e32 v10, v21, v18
	v_mad_u64_u32 v[12:13], s[20:21], s20, 36, v[12:13]
	s_mul_i32 s28, s2, s5
	v_lshlrev_b32_e32 v8, 1, v2
	v_lshrrev_b16_e32 v22, 2, v6
	s_mul_i32 s5, s5, s30
	v_lshlrev_b32_e32 v10, 1, v10
	v_mad_u64_u32 v[12:13], s[20:21], v23, 36, v[12:13]
	s_mov_b64 s[0:1], 0
	s_movk_i32 s6, 0xd2
	v_mov_b64_e32 v[4:5], s[12:13]
	s_mov_b32 s16, 0x30303030
	s_movk_i32 s17, 0x3f00
	s_movk_i32 s23, 0xe000
	s_mov_b64 s[12:13], 0x240
	v_mov_b32_e32 v17, 8
	v_lshlrev_b32_e32 v6, 2, v18
	v_mov_b32_e32 v7, v1
	v_mov_b32_e32 v9, v1
	;; [unrolled: 1-line block ×4, first 2 shown]
	v_lshlrev_b32_e32 v18, 1, v20
	v_or_b32_e32 v0, v21, v22
	v_lshlrev_b32_e32 v8, 1, v8
	v_lshlrev_b32_e32 v10, 1, v10
	v_lshl_add_u64 v[12:13], s[14:15], 0, v[12:13]
	s_waitcnt vmcnt(0)
	v_mul_lo_u32 v3, v3, s8
	v_add_u32_e32 v19, s28, v3
	v_add_u32_e32 v20, s5, v3
	v_mov_b32_e32 v3, v1
.LBB144_3:                              ; =>This Inner Loop Header: Depth=1
	v_add_u32_e32 v24, v19, v16
	v_add_u32_e32 v26, v20, v16
	v_mad_i64_i32 v[24:25], s[8:9], v24, s6, v[4:5]
	v_lshl_add_u64 v[22:23], v[12:13], 0, v[6:7]
	v_mad_i64_i32 v[26:27], s[8:9], v26, s6, v[4:5]
	v_lshl_add_u64 v[32:33], v[24:25], 0, v[0:1]
	global_load_dword v21, v[12:13], off
	global_load_dword v38, v[12:13], off offset:72
	global_load_dword v39, v[22:23], off offset:4
	v_lshl_add_u64 v[28:29], v[24:25], 0, v[8:9]
	v_lshl_add_u64 v[30:31], v[24:25], 0, v[10:11]
	;; [unrolled: 1-line block ×4, first 2 shown]
	global_load_sbyte v40, v[32:33], off offset:192
	global_load_sbyte v41, v[32:33], off offset:196
	global_load_ushort v42, v[26:27], off offset:208
	global_load_dword v43, v[30:31], off offset:128
	global_load_dword v44, v[28:29], off
	global_load_dword v45, v[36:37], off offset:128
	global_load_dword v46, v[34:35], off
	global_load_dword v47, v[22:23], off offset:76
	v_lshl_add_u64 v[22:23], v[26:27], 0, v[0:1]
	global_load_sbyte v26, v[22:23], off offset:192
	global_load_sbyte v27, v[22:23], off offset:196
	v_mov_b32_e32 v22, 0
	global_load_ushort v24, v[24:25], off offset:208
	v_mov_b32_e32 v28, 0
	v_mov_b32_e32 v23, 0
	;; [unrolled: 1-line block ×3, first 2 shown]
	v_add_u32_e32 v16, 2, v16
	v_cmp_le_u32_e32 vcc, s11, v16
	v_lshl_add_u64 v[12:13], v[12:13], 0, s[12:13]
	s_or_b64 s[0:1], vcc, s[0:1]
	s_waitcnt vmcnt(7)
	v_ashrrev_i32_e32 v25, v18, v43
	s_waitcnt vmcnt(6)
	v_lshrrev_b32_e32 v31, 4, v44
	s_waitcnt vmcnt(5)
	v_ashrrev_i32_e32 v32, v18, v45
	v_and_b32_e32 v30, 0xf0f0f0f, v44
	s_waitcnt vmcnt(4)
	v_and_b32_e32 v33, 0xf0f0f0f, v46
	v_lshrrev_b32_e32 v34, 4, v46
	v_lshlrev_b32_e32 v35, 4, v25
	v_and_b32_e32 v31, 0xf0f0f0f, v31
	v_lshlrev_b32_e32 v36, 4, v32
	v_and_b32_e32 v34, 0xf0f0f0f, v34
	v_and_or_b32 v30, v35, s16, v30
	v_and_or_b32 v25, v25, s16, v31
	;; [unrolled: 1-line block ×4, first 2 shown]
	v_and_b32_e32 v33, 0x3f00, v30
	v_lshlrev_b16_e32 v34, 8, v30
	v_and_b32_sdwa v35, v30, s17 dst_sel:DWORD dst_unused:UNUSED_PAD src0_sel:WORD_1 src1_sel:DWORD
	v_lshlrev_b16_sdwa v30, v17, v30 dst_sel:DWORD dst_unused:UNUSED_PAD src0_sel:DWORD src1_sel:WORD_1
	v_and_b32_e32 v44, 0x3f00, v31
	v_lshlrev_b16_e32 v45, 8, v31
	v_and_b32_sdwa v46, v31, s17 dst_sel:DWORD dst_unused:UNUSED_PAD src0_sel:WORD_1 src1_sel:DWORD
	v_lshlrev_b16_sdwa v31, v17, v31 dst_sel:DWORD dst_unused:UNUSED_PAD src0_sel:DWORD src1_sel:WORD_1
	;; [unrolled: 4-line block ×4, first 2 shown]
	v_add_u16_e32 v34, 0xe000, v34
	v_add_u16_e32 v30, 0xe000, v30
	;; [unrolled: 1-line block ×8, first 2 shown]
	v_or_b32_sdwa v33, v33, v34 dst_sel:DWORD dst_unused:UNUSED_PAD src0_sel:DWORD src1_sel:BYTE_1
	v_or_b32_sdwa v30, v35, v30 dst_sel:DWORD dst_unused:UNUSED_PAD src0_sel:DWORD src1_sel:BYTE_1
	;; [unrolled: 1-line block ×8, first 2 shown]
	v_add_u16_e32 v33, 0xe000, v33
	v_add_u16_sdwa v30, v30, s23 dst_sel:WORD_1 dst_unused:UNUSED_PAD src0_sel:DWORD src1_sel:DWORD
	v_add_u16_e32 v35, 0xe000, v35
	v_add_u16_sdwa v31, v31, s23 dst_sel:WORD_1 dst_unused:UNUSED_PAD src0_sel:DWORD src1_sel:DWORD
	v_add_u16_e32 v34, 0xe000, v34
	v_add_u16_sdwa v25, v25, s23 dst_sel:WORD_1 dst_unused:UNUSED_PAD src0_sel:DWORD src1_sel:DWORD
	v_add_u16_e32 v36, 0xe000, v36
	v_add_u16_sdwa v32, v32, s23 dst_sel:WORD_1 dst_unused:UNUSED_PAD src0_sel:DWORD src1_sel:DWORD
	v_or_b32_e32 v30, v33, v30
	v_or_b32_e32 v31, v35, v31
	;; [unrolled: 1-line block ×4, first 2 shown]
	v_dot4c_i32_i8_e32 v22, v30, v39
	v_dot4c_i32_i8_e32 v28, v31, v39
	s_waitcnt vmcnt(3)
	v_dot4c_i32_i8_e32 v23, v25, v47
	v_dot4c_i32_i8_e32 v29, v32, v47
	v_mul_lo_u32 v22, v22, v40
	s_waitcnt vmcnt(2)
	v_mul_lo_u32 v25, v28, v26
	v_mul_lo_u32 v23, v23, v41
	s_waitcnt vmcnt(1)
	v_mul_lo_u32 v26, v29, v27
	v_cvt_f32_i32_e32 v22, v22
	v_cvt_f32_i32_e32 v25, v25
	;; [unrolled: 1-line block ×4, first 2 shown]
	v_fma_mix_f32 v22, v21, v22, 0 op_sel_hi:[1,0,0]
	v_fma_mix_f32 v21, v21, v25, 0 op_sel_hi:[1,0,0]
	;; [unrolled: 1-line block ×4, first 2 shown]
	s_waitcnt vmcnt(0)
	v_fma_mix_f32 v2, v22, v24, v2 op_sel_hi:[0,1,0]
	v_fma_mix_f32 v3, v21, v42, v3 op_sel_hi:[0,1,0]
	s_andn2_b64 exec, exec, s[0:1]
	s_cbranch_execnz .LBB144_3
; %bb.4:
	s_or_b64 exec, exec, s[0:1]
.LBB144_5:
	s_or_b64 exec, exec, s[24:25]
	v_mbcnt_lo_u32_b32 v0, -1, 0
	v_mbcnt_hi_u32_b32 v4, -1, v0
	v_and_b32_e32 v0, 64, v4
	v_add_u32_e32 v5, 64, v0
	v_xor_b32_e32 v0, 32, v4
	v_cmp_lt_i32_e32 vcc, v0, v5
	v_xor_b32_e32 v6, 16, v4
	s_nop 0
	v_cndmask_b32_e32 v0, v4, v0, vcc
	v_lshlrev_b32_e32 v1, 2, v0
	ds_bpermute_b32 v0, v1, v2
	ds_bpermute_b32 v1, v1, v3
	v_cmp_lt_i32_e32 vcc, v6, v5
	s_waitcnt lgkmcnt(0)
	v_pk_add_f32 v[0:1], v[2:3], v[0:1]
	v_cndmask_b32_e32 v6, v4, v6, vcc
	v_lshlrev_b32_e32 v6, 2, v6
	ds_bpermute_b32 v2, v6, v0
	ds_bpermute_b32 v3, v6, v1
	v_xor_b32_e32 v6, 8, v4
	v_cmp_lt_i32_e32 vcc, v6, v5
	s_waitcnt lgkmcnt(0)
	v_pk_add_f32 v[0:1], v[0:1], v[2:3]
	v_cndmask_b32_e32 v6, v4, v6, vcc
	v_lshlrev_b32_e32 v6, 2, v6
	ds_bpermute_b32 v2, v6, v0
	ds_bpermute_b32 v3, v6, v1
	v_xor_b32_e32 v6, 4, v4
	;; [unrolled: 8-line block ×4, first 2 shown]
	v_cmp_lt_i32_e32 vcc, v6, v5
	s_waitcnt lgkmcnt(0)
	v_pk_add_f32 v[0:1], v[0:1], v[2:3]
	v_cndmask_b32_e32 v4, v4, v6, vcc
	v_lshlrev_b32_e32 v4, 2, v4
	ds_bpermute_b32 v2, v4, v0
	ds_bpermute_b32 v3, v4, v1
	v_add_u32_e32 v4, s2, v15
	v_cmp_gt_u32_e32 vcc, 2, v15
	v_cmp_gt_u32_e64 s[0:1], s4, v4
	s_and_b64 s[0:1], vcc, s[0:1]
	s_and_b64 exec, exec, s[0:1]
	s_cbranch_execz .LBB144_7
; %bb.6:
	v_cmp_eq_u32_e32 vcc, 1, v15
	s_mul_i32 s3, s3, s10
	v_mov_b32_e32 v4, s18
	s_waitcnt lgkmcnt(0)
	v_cndmask_b32_e32 v2, v2, v3, vcc
	v_cndmask_b32_e32 v0, v0, v1, vcc
	v_add_f32_e32 v2, v0, v2
	v_mul_lo_u32 v0, v14, s7
	v_or_b32_e32 v1, s2, v15
	v_mov_b32_e32 v5, s19
	v_add3_u32 v0, v1, v0, s3
	v_mov_b32_e32 v1, 0
	v_lshl_add_u64 v[0:1], v[0:1], 2, v[4:5]
	global_store_dword v[0:1], v2, off
.LBB144_7:
	s_endpgm
	.section	.rodata,"a",@progbits
	.p2align	6, 0x0
	.amdhsa_kernel _ZL17mul_mat_vec_q_moeIL9ggml_type14ELi2EEvPKvS2_PKiPfj15HIP_vector_typeIjLj3EEjjjjjjjjj
		.amdhsa_group_segment_fixed_size 0
		.amdhsa_private_segment_fixed_size 0
		.amdhsa_kernarg_size 84
		.amdhsa_user_sgpr_count 2
		.amdhsa_user_sgpr_dispatch_ptr 0
		.amdhsa_user_sgpr_queue_ptr 0
		.amdhsa_user_sgpr_kernarg_segment_ptr 1
		.amdhsa_user_sgpr_dispatch_id 0
		.amdhsa_user_sgpr_kernarg_preload_length 0
		.amdhsa_user_sgpr_kernarg_preload_offset 0
		.amdhsa_user_sgpr_private_segment_size 0
		.amdhsa_uses_dynamic_stack 0
		.amdhsa_enable_private_segment 0
		.amdhsa_system_sgpr_workgroup_id_x 1
		.amdhsa_system_sgpr_workgroup_id_y 1
		.amdhsa_system_sgpr_workgroup_id_z 0
		.amdhsa_system_sgpr_workgroup_info 0
		.amdhsa_system_vgpr_workitem_id 1
		.amdhsa_next_free_vgpr 51
		.amdhsa_next_free_sgpr 31
		.amdhsa_accum_offset 52
		.amdhsa_reserve_vcc 1
		.amdhsa_float_round_mode_32 0
		.amdhsa_float_round_mode_16_64 0
		.amdhsa_float_denorm_mode_32 3
		.amdhsa_float_denorm_mode_16_64 3
		.amdhsa_dx10_clamp 1
		.amdhsa_ieee_mode 1
		.amdhsa_fp16_overflow 0
		.amdhsa_tg_split 0
		.amdhsa_exception_fp_ieee_invalid_op 0
		.amdhsa_exception_fp_denorm_src 0
		.amdhsa_exception_fp_ieee_div_zero 0
		.amdhsa_exception_fp_ieee_overflow 0
		.amdhsa_exception_fp_ieee_underflow 0
		.amdhsa_exception_fp_ieee_inexact 0
		.amdhsa_exception_int_div_zero 0
	.end_amdhsa_kernel
	.section	.text._ZL17mul_mat_vec_q_moeIL9ggml_type14ELi2EEvPKvS2_PKiPfj15HIP_vector_typeIjLj3EEjjjjjjjjj,"axG",@progbits,_ZL17mul_mat_vec_q_moeIL9ggml_type14ELi2EEvPKvS2_PKiPfj15HIP_vector_typeIjLj3EEjjjjjjjjj,comdat
.Lfunc_end144:
	.size	_ZL17mul_mat_vec_q_moeIL9ggml_type14ELi2EEvPKvS2_PKiPfj15HIP_vector_typeIjLj3EEjjjjjjjjj, .Lfunc_end144-_ZL17mul_mat_vec_q_moeIL9ggml_type14ELi2EEvPKvS2_PKiPfj15HIP_vector_typeIjLj3EEjjjjjjjjj
                                        ; -- End function
	.section	.AMDGPU.csdata,"",@progbits
; Kernel info:
; codeLenInByte = 1576
; NumSgprs: 37
; NumVgprs: 51
; NumAgprs: 0
; TotalNumVgprs: 51
; ScratchSize: 0
; MemoryBound: 0
; FloatMode: 240
; IeeeMode: 1
; LDSByteSize: 0 bytes/workgroup (compile time only)
; SGPRBlocks: 4
; VGPRBlocks: 6
; NumSGPRsForWavesPerEU: 37
; NumVGPRsForWavesPerEU: 51
; AccumOffset: 52
; Occupancy: 8
; WaveLimiterHint : 1
; COMPUTE_PGM_RSRC2:SCRATCH_EN: 0
; COMPUTE_PGM_RSRC2:USER_SGPR: 2
; COMPUTE_PGM_RSRC2:TRAP_HANDLER: 0
; COMPUTE_PGM_RSRC2:TGID_X_EN: 1
; COMPUTE_PGM_RSRC2:TGID_Y_EN: 1
; COMPUTE_PGM_RSRC2:TGID_Z_EN: 0
; COMPUTE_PGM_RSRC2:TIDIG_COMP_CNT: 1
; COMPUTE_PGM_RSRC3_GFX90A:ACCUM_OFFSET: 12
; COMPUTE_PGM_RSRC3_GFX90A:TG_SPLIT: 0
	.section	.text._ZL13mul_mat_vec_qIL9ggml_type14ELi1ELb1ELb1EEvPKvS2_PKi31ggml_cuda_mm_fusion_args_devicePfj15HIP_vector_typeIjLj3EEjjjS8_jjjS8_jjjj,"axG",@progbits,_ZL13mul_mat_vec_qIL9ggml_type14ELi1ELb1ELb1EEvPKvS2_PKi31ggml_cuda_mm_fusion_args_devicePfj15HIP_vector_typeIjLj3EEjjjS8_jjjS8_jjjj,comdat
	.globl	_ZL13mul_mat_vec_qIL9ggml_type14ELi1ELb1ELb1EEvPKvS2_PKi31ggml_cuda_mm_fusion_args_devicePfj15HIP_vector_typeIjLj3EEjjjS8_jjjS8_jjjj ; -- Begin function _ZL13mul_mat_vec_qIL9ggml_type14ELi1ELb1ELb1EEvPKvS2_PKi31ggml_cuda_mm_fusion_args_devicePfj15HIP_vector_typeIjLj3EEjjjS8_jjjS8_jjjj
	.p2align	8
	.type	_ZL13mul_mat_vec_qIL9ggml_type14ELi1ELb1ELb1EEvPKvS2_PKi31ggml_cuda_mm_fusion_args_devicePfj15HIP_vector_typeIjLj3EEjjjS8_jjjS8_jjjj,@function
_ZL13mul_mat_vec_qIL9ggml_type14ELi1ELb1ELb1EEvPKvS2_PKi31ggml_cuda_mm_fusion_args_devicePfj15HIP_vector_typeIjLj3EEjjjS8_jjjS8_jjjj: ; @_ZL13mul_mat_vec_qIL9ggml_type14ELi1ELb1ELb1EEvPKvS2_PKi31ggml_cuda_mm_fusion_args_devicePfj15HIP_vector_typeIjLj3EEjjjS8_jjjS8_jjjj
; %bb.0:
	s_load_dwordx8 s[16:23], s[2:3], 0x0
	s_load_dwordx4 s[36:39], s[2:3], 0x20
	s_load_dwordx4 s[40:43], s[2:3], 0x40
	;; [unrolled: 1-line block ×3, first 2 shown]
	s_mov_b32 s14, s5
	s_waitcnt lgkmcnt(0)
	s_cmp_lg_u64 s[20:21], 0
	s_cselect_b64 s[8:9], -1, 0
	s_cmp_eq_u64 s[20:21], 0
	s_mov_b64 s[10:11], 0
	s_cbranch_scc1 .LBB145_5
; %bb.1:
	s_mov_b32 s15, 0
	s_lshl_b64 s[12:13], s[14:15], 2
	s_add_u32 s12, s20, s12
	s_addc_u32 s13, s21, s13
	s_load_dword s44, s[12:13], 0x0
	s_load_dword s33, s[2:3], 0x50
	;; [unrolled: 1-line block ×3, first 2 shown]
	s_andn2_b64 vcc, exec, s[10:11]
	s_cbranch_vccnz .LBB145_3
.LBB145_2:
	s_load_dwordx2 s[10:11], s[2:3], 0x5c
	s_waitcnt lgkmcnt(0)
	s_mul_hi_u32 s5, s10, s14
	s_add_i32 s5, s14, s5
	s_lshr_b32 s44, s5, s11
.LBB145_3:
	s_andn2_b64 vcc, exec, s[8:9]
	s_cbranch_vccnz .LBB145_6
; %bb.4:
	s_mul_hi_u32 s5, s41, s14
	s_add_i32 s5, s14, s5
	s_lshr_b32 s5, s5, s42
	s_mul_i32 s5, s5, s43
	s_sub_i32 s41, s14, s5
	s_waitcnt lgkmcnt(0)
	s_mov_b32 s15, s44
	s_branch .LBB145_7
.LBB145_5:
                                        ; implicit-def: $sgpr44
	s_load_dword s33, s[2:3], 0x50
	s_load_dword s45, s[2:3], 0x78
	s_branch .LBB145_2
.LBB145_6:
	s_mov_b32 s15, s14
	s_mov_b32 s41, s14
.LBB145_7:
	s_load_dword s7, s[2:3], 0x58
	s_load_dwordx4 s[28:31], s[2:3], 0x80
	s_lshl_b32 s20, s4, 1
	s_cmp_eq_u64 s[22:23], 0
	v_and_b32_e32 v14, 0x3ff, v0
	v_bfe_u32 v19, v0, 10, 10
	s_cselect_b64 s[8:9], -1, 0
	s_and_b64 vcc, exec, s[8:9]
	v_mov_b32_e32 v15, 0
	v_cmp_gt_u32_e64 s[4:5], 2, v14
	v_cmp_eq_u32_e64 s[10:11], 0, v19
	v_or_b32_e32 v1, s20, v14
	v_mov_b32_e32 v16, 0
	s_cbranch_vccnz .LBB145_11
; %bb.8:
	s_waitcnt lgkmcnt(0)
	v_cmp_gt_u32_e32 vcc, s7, v1
	s_and_b64 s[4:5], s[4:5], vcc
	s_mov_b32 s13, 0
	s_and_b64 s[10:11], s[4:5], s[10:11]
	v_mov_b32_e32 v16, 0
	s_and_saveexec_b64 s[4:5], s[10:11]
	s_cbranch_execz .LBB145_10
; %bb.9:
	s_mul_i32 s12, s6, s30
	s_lshl_b64 s[10:11], s[12:13], 2
	s_add_u32 s21, s22, s10
	s_mul_i32 s12, s15, s26
	s_addc_u32 s22, s23, s11
	s_lshl_b64 s[10:11], s[12:13], 2
	s_add_u32 s12, s21, s10
	s_addc_u32 s13, s22, s11
	s_ashr_i32 s21, s20, 31
	s_lshl_b64 s[10:11], s[20:21], 2
	s_add_u32 s10, s12, s10
	s_addc_u32 s11, s13, s11
	v_lshlrev_b32_e32 v2, 2, v14
	global_load_dword v16, v2, s[10:11]
.LBB145_10:
	s_or_b64 exec, exec, s[4:5]
.LBB145_11:
	s_cmp_lg_u64 s[36:37], 0
	s_cselect_b64 s[22:23], -1, 0
	s_cmp_lg_u64 s[38:39], 0
	s_cselect_b64 s[4:5], -1, 0
	s_and_b64 s[10:11], s[4:5], s[22:23]
	s_andn2_b64 vcc, exec, s[10:11]
	s_cbranch_vccnz .LBB145_15
; %bb.12:
	v_cmp_gt_u32_e32 vcc, 2, v14
	s_waitcnt lgkmcnt(0)
	v_cmp_gt_u32_e64 s[12:13], s7, v1
	v_cmp_eq_u32_e64 s[10:11], 0, v19
	s_and_b64 s[12:13], vcc, s[12:13]
	s_mov_b32 s35, 0
	s_and_b64 s[12:13], s[12:13], s[10:11]
	v_mov_b32_e32 v15, 0
	s_and_saveexec_b64 s[10:11], s[12:13]
	s_cbranch_execz .LBB145_14
; %bb.13:
	s_mul_i32 s34, s6, s30
	s_lshl_b64 s[12:13], s[34:35], 2
	s_add_u32 s21, s38, s12
	s_mul_i32 s34, s15, s26
	s_addc_u32 s31, s39, s13
	s_lshl_b64 s[12:13], s[34:35], 2
	s_add_u32 s15, s21, s12
	s_addc_u32 s31, s31, s13
	s_ashr_i32 s21, s20, 31
	s_lshl_b64 s[12:13], s[20:21], 2
	s_add_u32 s12, s15, s12
	s_addc_u32 s13, s31, s13
	v_lshlrev_b32_e32 v1, 2, v14
	global_load_dword v15, v1, s[12:13]
.LBB145_14:
	s_or_b64 exec, exec, s[10:11]
.LBB145_15:
	s_load_dwordx2 s[0:1], s[0:1], 0x4
	v_bfe_u32 v1, v0, 20, 10
	v_lshl_add_u32 v0, v19, 6, v14
	s_lshr_b32 s15, s40, 8
	v_lshrrev_b32_e32 v20, 5, v0
	s_waitcnt lgkmcnt(0)
	s_lshr_b32 s0, s0, 16
	v_mul_u32_u24_e32 v2, s1, v19
	s_mul_i32 s0, s0, s1
	v_mad_u32_u24 v2, s0, v14, v2
	v_add_lshl_u32 v1, v2, v1, 3
	v_add_u32_e32 v18, 0x800, v1
	v_add_u32_e32 v17, 0x400, v1
	v_cndmask_b32_e64 v1, 0, 1, s[22:23]
	v_mov_b32_e32 v23, 0
	v_cmp_gt_u32_e32 vcc, s15, v20
	v_cmp_ne_u32_e64 s[10:11], 1, v1
	v_mov_b32_e32 v25, 0
	v_mov_b32_e32 v22, 0
	;; [unrolled: 1-line block ×3, first 2 shown]
	ds_write2_b32 v18, v23, v23 offset1:1
	ds_write2_b32 v17, v23, v23 offset1:1
	s_and_saveexec_b64 s[0:1], vcc
	s_cbranch_execz .LBB145_23
; %bb.16:
	s_mul_hi_u32 s12, s27, s6
	s_add_i32 s12, s6, s12
	v_and_b32_e32 v3, 15, v14
	s_lshr_b32 s12, s12, s45
	v_bfe_u32 v2, v14, 4, 1
	v_lshrrev_b16_e32 v4, 3, v3
	s_mul_i32 s21, s44, s24
	s_mul_i32 s24, s12, s28
	s_mul_i32 s12, s41, s25
	v_lshl_or_b32 v8, v2, 2, v4
	v_lshlrev_b32_e32 v2, 3, v2
	v_and_b32_e32 v5, 7, v14
	v_or_b32_e32 v6, v2, v5
	s_mul_hi_u32 s13, s12, 36
	s_mul_i32 s12, s12, 36
	v_lshlrev_b32_e32 v12, 1, v6
	v_lshrrev_b32_e32 v0, 5, v0
	v_mov_b32_e32 v6, s12
	v_mov_b32_e32 v7, s13
	s_movk_i32 s12, 0x120
	s_mul_i32 s27, s6, s29
	v_mad_u64_u32 v[6:7], s[12:13], v0, s12, v[6:7]
	v_mad_u64_u32 v[6:7], s[12:13], s27, 36, v[6:7]
	v_and_b32_e32 v1, 31, v14
	v_mad_u64_u32 v[6:7], s[12:13], v8, 36, v[6:7]
	v_lshlrev_b32_e32 v10, 1, v1
	s_add_i32 s12, s20, 1
	v_mov_b32_e32 v1, 0
	v_lshrrev_b16_e32 v3, 2, v3
	s_mul_i32 s25, s20, s33
	s_add_i32 s24, s24, s21
	s_mul_i32 s33, s33, s12
	v_lshlrev_b32_e32 v0, 1, v10
	v_lshlrev_b32_e32 v10, 1, v12
	;; [unrolled: 1-line block ×3, first 2 shown]
	v_or_b32_e32 v2, v2, v3
	v_mov_b32_e32 v3, v1
	v_lshlrev_b32_e32 v4, 2, v5
	v_mov_b32_e32 v5, v1
	v_lshl_add_u64 v[6:7], s[18:19], 0, v[6:7]
	s_add_i32 s21, s24, s25
	s_add_i32 s24, s24, s33
	s_mov_b64 s[12:13], 0
	s_movk_i32 s25, 0xd2
	v_mov_b64_e32 v[8:9], s[16:17]
	s_mov_b32 s27, 0x30303030
	s_movk_i32 s28, 0x3f00
	s_movk_i32 s29, 0xe000
	s_mov_b64 s[18:19], 0x480
	v_mov_b32_e32 v12, v10
	v_mov_b32_e32 v13, v1
	;; [unrolled: 1-line block ×9, first 2 shown]
	s_branch .LBB145_18
.LBB145_17:                             ;   in Loop: Header=BB145_18 Depth=1
	s_waitcnt vmcnt(4)
	v_ashrrev_i32_e32 v11, v24, v41
	s_waitcnt vmcnt(3)
	v_bfe_i32 v41, v42, 0, 8
	s_waitcnt vmcnt(1)
	v_and_b32_e32 v42, 0xf0f0f0f, v39
	v_lshlrev_b32_e32 v43, 4, v11
	v_and_or_b32 v42, v43, s27, v42
	v_lshlrev_b16_e32 v44, 8, v42
	v_and_b32_e32 v43, 0x3f00, v42
	v_add_u16_e32 v44, 0xe000, v44
	v_or_b32_sdwa v43, v43, v44 dst_sel:DWORD dst_unused:UNUSED_PAD src0_sel:DWORD src1_sel:BYTE_1
	v_and_b32_sdwa v44, v42, s28 dst_sel:DWORD dst_unused:UNUSED_PAD src0_sel:WORD_1 src1_sel:DWORD
	v_lshlrev_b16_sdwa v42, v26, v42 dst_sel:DWORD dst_unused:UNUSED_PAD src0_sel:DWORD src1_sel:WORD_1
	v_add_u16_e32 v42, 0xe000, v42
	v_or_b32_sdwa v42, v44, v42 dst_sel:DWORD dst_unused:UNUSED_PAD src0_sel:DWORD src1_sel:BYTE_1
	v_lshrrev_b32_e32 v39, 4, v39
	v_add_u16_e32 v43, 0xe000, v43
	v_add_u16_sdwa v42, v42, s29 dst_sel:WORD_1 dst_unused:UNUSED_PAD src0_sel:DWORD src1_sel:DWORD
	v_and_b32_e32 v39, 0xf0f0f0f, v39
	v_or_b32_e32 v42, v43, v42
	v_mov_b32_e32 v43, v1
	v_and_or_b32 v11, v11, s27, v39
	v_dot4c_i32_i8_e32 v43, v42, v30
	v_lshlrev_b16_e32 v42, 8, v11
	v_and_b32_e32 v39, 0x3f00, v11
	v_add_u16_e32 v42, 0xe000, v42
	v_or_b32_sdwa v39, v39, v42 dst_sel:DWORD dst_unused:UNUSED_PAD src0_sel:DWORD src1_sel:BYTE_1
	v_and_b32_sdwa v42, v11, s28 dst_sel:DWORD dst_unused:UNUSED_PAD src0_sel:WORD_1 src1_sel:DWORD
	v_lshlrev_b16_sdwa v11, v26, v11 dst_sel:DWORD dst_unused:UNUSED_PAD src0_sel:DWORD src1_sel:WORD_1
	v_add_u16_e32 v11, 0xe000, v11
	v_or_b32_sdwa v11, v42, v11 dst_sel:DWORD dst_unused:UNUSED_PAD src0_sel:DWORD src1_sel:BYTE_1
	v_add_u16_e32 v39, 0xe000, v39
	v_add_u16_sdwa v11, v11, s29 dst_sel:WORD_1 dst_unused:UNUSED_PAD src0_sel:DWORD src1_sel:DWORD
	v_bfe_i32 v40, v40, 0, 8
	v_or_b32_e32 v11, v39, v11
	v_mov_b32_e32 v39, v1
	v_dot4c_i32_i8_e32 v39, v11, v27
	v_ashrrev_i32_e32 v36, v24, v36
	v_bfe_i32 v37, v37, 0, 8
	v_mul_lo_u32 v41, v43, v41
	v_mul_lo_u32 v11, v39, v40
	v_and_b32_e32 v39, 0xf0f0f0f, v32
	v_lshlrev_b32_e32 v40, 4, v36
	v_and_or_b32 v39, v40, s27, v39
	v_lshlrev_b16_e32 v42, 8, v39
	v_and_b32_e32 v40, 0x3f00, v39
	v_add_u16_e32 v42, 0xe000, v42
	v_or_b32_sdwa v40, v40, v42 dst_sel:DWORD dst_unused:UNUSED_PAD src0_sel:DWORD src1_sel:BYTE_1
	v_and_b32_sdwa v42, v39, s28 dst_sel:DWORD dst_unused:UNUSED_PAD src0_sel:WORD_1 src1_sel:DWORD
	v_lshlrev_b16_sdwa v39, v26, v39 dst_sel:DWORD dst_unused:UNUSED_PAD src0_sel:DWORD src1_sel:WORD_1
	v_add_u16_e32 v39, 0xe000, v39
	v_or_b32_sdwa v39, v42, v39 dst_sel:DWORD dst_unused:UNUSED_PAD src0_sel:DWORD src1_sel:BYTE_1
	v_add_u16_e32 v40, 0xe000, v40
	v_add_u16_sdwa v39, v39, s29 dst_sel:WORD_1 dst_unused:UNUSED_PAD src0_sel:DWORD src1_sel:DWORD
	v_lshrrev_b32_e32 v32, 4, v32
	v_or_b32_e32 v39, v40, v39
	v_mov_b32_e32 v40, v1
	v_and_b32_e32 v32, 0xf0f0f0f, v32
	v_dot4c_i32_i8_e32 v40, v39, v30
	v_and_or_b32 v32, v36, s27, v32
	v_and_b32_e32 v36, 0x3f00, v32
	v_cvt_f32_i32_e32 v41, v41
	v_mul_lo_u32 v30, v40, v37
	v_lshlrev_b16_e32 v37, 8, v32
	v_add_u16_e32 v37, 0xe000, v37
	v_or_b32_sdwa v36, v36, v37 dst_sel:DWORD dst_unused:UNUSED_PAD src0_sel:DWORD src1_sel:BYTE_1
	v_and_b32_sdwa v37, v32, s28 dst_sel:DWORD dst_unused:UNUSED_PAD src0_sel:WORD_1 src1_sel:DWORD
	v_lshlrev_b16_sdwa v32, v26, v32 dst_sel:DWORD dst_unused:UNUSED_PAD src0_sel:DWORD src1_sel:WORD_1
	v_add_u16_e32 v32, 0xe000, v32
	v_or_b32_sdwa v32, v37, v32 dst_sel:DWORD dst_unused:UNUSED_PAD src0_sel:DWORD src1_sel:BYTE_1
	v_add_u16_e32 v36, 0xe000, v36
	v_add_u16_sdwa v32, v32, s29 dst_sel:WORD_1 dst_unused:UNUSED_PAD src0_sel:DWORD src1_sel:DWORD
	v_bfe_i32 v33, v33, 0, 8
	v_or_b32_e32 v32, v36, v32
	v_mov_b32_e32 v36, v1
	v_dot4c_i32_i8_e32 v36, v32, v27
	v_cvt_f32_i32_e32 v11, v11
	v_cvt_f32_i32_e32 v30, v30
	v_fma_f32 v41, v31, v41, 0
	v_mul_lo_u32 v27, v36, v33
	v_cvt_f32_i32_e32 v27, v27
	v_fmac_f32_e32 v41, v29, v11
	v_fma_f32 v11, v31, v30, 0
	v_add_u32_e32 v20, 4, v20
	v_fmac_f32_e32 v11, v29, v27
	v_cmp_le_u32_e32 vcc, s15, v20
	s_waitcnt vmcnt(0)
	v_fma_mix_f32 v22, v41, v38, v22 op_sel_hi:[0,1,0]
	v_fma_mix_f32 v23, v11, v28, v23 op_sel_hi:[0,1,0]
	s_or_b64 s[12:13], vcc, s[12:13]
	v_lshl_add_u64 v[6:7], v[6:7], 0, s[18:19]
	s_andn2_b64 exec, exec, s[12:13]
	s_cbranch_execz .LBB145_22
.LBB145_18:                             ; =>This Inner Loop Header: Depth=1
	v_add_u32_e32 v11, s21, v20
	v_lshl_add_u64 v[28:29], v[6:7], 0, v[4:5]
	v_mad_i64_i32 v[38:39], s[34:35], v11, s25, v[8:9]
	global_load_dword v30, v[28:29], off offset:4
	global_load_dword v27, v[28:29], off offset:76
	global_load_dword v31, v[6:7], off
	global_load_dword v46, v[6:7], off offset:72
	v_lshl_add_u64 v[42:43], v[38:39], 0, v[12:13]
	v_lshl_add_u64 v[40:41], v[38:39], 0, v[0:1]
	;; [unrolled: 1-line block ×3, first 2 shown]
	global_load_dword v36, v[42:43], off offset:128
	global_load_ubyte v37, v[44:45], off offset:192
	global_load_ubyte v33, v[44:45], off offset:196
	global_load_dword v32, v[40:41], off
	global_load_ushort v28, v[38:39], off offset:208
	s_and_b64 vcc, exec, s[10:11]
	s_waitcnt vmcnt(6)
	v_cvt_f32_f16_e32 v31, v31
	s_waitcnt vmcnt(5)
	v_cvt_f32_f16_e32 v29, v46
	s_cbranch_vccnz .LBB145_20
; %bb.19:                               ;   in Loop: Header=BB145_18 Depth=1
	v_mov_b64_e32 v[38:39], s[36:37]
	v_mad_i64_i32 v[38:39], s[34:35], v11, s25, v[38:39]
	v_lshl_add_u64 v[44:45], v[38:39], 0, v[2:3]
	v_lshl_add_u64 v[40:41], v[38:39], 0, v[0:1]
	;; [unrolled: 1-line block ×3, first 2 shown]
	global_load_sbyte v11, v[44:45], off offset:192
	global_load_sbyte v34, v[44:45], off offset:196
	global_load_dword v46, v[42:43], off offset:128
	global_load_dword v47, v[40:41], off
	global_load_ushort v48, v[38:39], off offset:208
	v_mov_b32_e32 v38, v1
	v_mov_b32_e32 v39, v1
	s_waitcnt vmcnt(2)
	v_ashrrev_i32_e32 v40, v24, v46
	s_waitcnt vmcnt(1)
	v_and_b32_e32 v41, 0xf0f0f0f, v47
	v_lshrrev_b32_e32 v42, 4, v47
	v_lshlrev_b32_e32 v43, 4, v40
	v_and_b32_e32 v42, 0xf0f0f0f, v42
	v_and_or_b32 v41, v43, s27, v41
	v_and_or_b32 v40, v40, s27, v42
	v_and_b32_e32 v42, 0x3f00, v41
	v_lshlrev_b16_e32 v43, 8, v41
	v_and_b32_sdwa v44, v41, s28 dst_sel:DWORD dst_unused:UNUSED_PAD src0_sel:WORD_1 src1_sel:DWORD
	v_lshlrev_b16_sdwa v41, v26, v41 dst_sel:DWORD dst_unused:UNUSED_PAD src0_sel:DWORD src1_sel:WORD_1
	v_and_b32_e32 v45, 0x3f00, v40
	v_lshlrev_b16_e32 v46, 8, v40
	v_and_b32_sdwa v47, v40, s28 dst_sel:DWORD dst_unused:UNUSED_PAD src0_sel:WORD_1 src1_sel:DWORD
	v_lshlrev_b16_sdwa v40, v26, v40 dst_sel:DWORD dst_unused:UNUSED_PAD src0_sel:DWORD src1_sel:WORD_1
	v_add_u16_e32 v43, 0xe000, v43
	v_add_u16_e32 v41, 0xe000, v41
	;; [unrolled: 1-line block ×4, first 2 shown]
	v_or_b32_sdwa v42, v42, v43 dst_sel:DWORD dst_unused:UNUSED_PAD src0_sel:DWORD src1_sel:BYTE_1
	v_or_b32_sdwa v41, v44, v41 dst_sel:DWORD dst_unused:UNUSED_PAD src0_sel:DWORD src1_sel:BYTE_1
	;; [unrolled: 1-line block ×4, first 2 shown]
	v_add_u16_e32 v42, 0xe000, v42
	v_add_u16_sdwa v41, v41, s29 dst_sel:WORD_1 dst_unused:UNUSED_PAD src0_sel:DWORD src1_sel:DWORD
	v_add_u16_e32 v43, 0xe000, v43
	v_add_u16_sdwa v40, v40, s29 dst_sel:WORD_1 dst_unused:UNUSED_PAD src0_sel:DWORD src1_sel:DWORD
	v_or_b32_e32 v41, v42, v41
	v_or_b32_e32 v40, v43, v40
	v_dot4c_i32_i8_e32 v38, v41, v30
	v_dot4c_i32_i8_e32 v39, v40, v27
	s_nop 1
	v_mul_lo_u32 v11, v38, v11
	v_cvt_f32_i32_e32 v11, v11
	v_mul_lo_u32 v34, v39, v34
	v_cvt_f32_i32_e32 v34, v34
	v_fma_f32 v11, v31, v11, 0
	v_fmac_f32_e32 v11, v29, v34
	s_waitcnt vmcnt(0)
	v_fma_mix_f32 v34, v11, v48, v25 op_sel_hi:[0,1,0]
	v_mov_b32_e32 v25, v34
.LBB145_20:                             ;   in Loop: Header=BB145_18 Depth=1
	v_add_u32_e32 v43, s24, v20
	v_mov_b64_e32 v[38:39], s[16:17]
	v_mad_i64_i32 v[44:45], s[34:35], v43, s25, v[38:39]
	v_mov_b32_e32 v11, v1
	v_lshl_add_u64 v[48:49], v[44:45], 0, v[10:11]
	v_lshl_add_u64 v[46:47], v[44:45], 0, v[0:1]
	;; [unrolled: 1-line block ×3, first 2 shown]
	global_load_dword v41, v[48:49], off offset:128
	global_load_ubyte v42, v[50:51], off offset:192
	global_load_ubyte v40, v[50:51], off offset:196
	global_load_dword v39, v[46:47], off
	global_load_ushort v38, v[44:45], off offset:208
	s_and_b64 vcc, exec, s[10:11]
	s_cbranch_vccnz .LBB145_17
; %bb.21:                               ;   in Loop: Header=BB145_18 Depth=1
	v_mov_b64_e32 v[44:45], s[36:37]
	v_mad_i64_i32 v[44:45], s[34:35], v43, s25, v[44:45]
	v_lshl_add_u64 v[50:51], v[44:45], 0, v[2:3]
	v_lshl_add_u64 v[46:47], v[44:45], 0, v[0:1]
	;; [unrolled: 1-line block ×3, first 2 shown]
	global_load_sbyte v11, v[50:51], off offset:192
	global_load_sbyte v35, v[50:51], off offset:196
	global_load_dword v43, v[48:49], off offset:128
	global_load_dword v52, v[46:47], off
	global_load_ushort v53, v[44:45], off offset:208
	v_mov_b32_e32 v44, v1
	v_mov_b32_e32 v45, v1
	s_waitcnt vmcnt(2)
	v_ashrrev_i32_e32 v43, v24, v43
	s_waitcnt vmcnt(1)
	v_and_b32_e32 v46, 0xf0f0f0f, v52
	v_lshrrev_b32_e32 v47, 4, v52
	v_lshlrev_b32_e32 v48, 4, v43
	v_and_b32_e32 v47, 0xf0f0f0f, v47
	v_and_or_b32 v46, v48, s27, v46
	v_and_or_b32 v43, v43, s27, v47
	v_and_b32_e32 v47, 0x3f00, v46
	v_lshlrev_b16_e32 v48, 8, v46
	v_and_b32_sdwa v49, v46, s28 dst_sel:DWORD dst_unused:UNUSED_PAD src0_sel:WORD_1 src1_sel:DWORD
	v_lshlrev_b16_sdwa v46, v26, v46 dst_sel:DWORD dst_unused:UNUSED_PAD src0_sel:DWORD src1_sel:WORD_1
	v_and_b32_e32 v50, 0x3f00, v43
	v_lshlrev_b16_e32 v51, 8, v43
	v_and_b32_sdwa v52, v43, s28 dst_sel:DWORD dst_unused:UNUSED_PAD src0_sel:WORD_1 src1_sel:DWORD
	v_lshlrev_b16_sdwa v43, v26, v43 dst_sel:DWORD dst_unused:UNUSED_PAD src0_sel:DWORD src1_sel:WORD_1
	v_add_u16_e32 v48, 0xe000, v48
	v_add_u16_e32 v46, 0xe000, v46
	;; [unrolled: 1-line block ×4, first 2 shown]
	v_or_b32_sdwa v47, v47, v48 dst_sel:DWORD dst_unused:UNUSED_PAD src0_sel:DWORD src1_sel:BYTE_1
	v_or_b32_sdwa v46, v49, v46 dst_sel:DWORD dst_unused:UNUSED_PAD src0_sel:DWORD src1_sel:BYTE_1
	;; [unrolled: 1-line block ×4, first 2 shown]
	v_add_u16_e32 v47, 0xe000, v47
	v_add_u16_sdwa v46, v46, s29 dst_sel:WORD_1 dst_unused:UNUSED_PAD src0_sel:DWORD src1_sel:DWORD
	v_add_u16_e32 v48, 0xe000, v48
	v_add_u16_sdwa v43, v43, s29 dst_sel:WORD_1 dst_unused:UNUSED_PAD src0_sel:DWORD src1_sel:DWORD
	v_or_b32_e32 v46, v47, v46
	v_or_b32_e32 v43, v48, v43
	v_dot4c_i32_i8_e32 v44, v46, v30
	v_dot4c_i32_i8_e32 v45, v43, v27
	s_nop 1
	v_mul_lo_u32 v11, v44, v11
	v_cvt_f32_i32_e32 v11, v11
	v_mul_lo_u32 v35, v45, v35
	v_cvt_f32_i32_e32 v35, v35
	v_fma_f32 v11, v31, v11, 0
	v_fmac_f32_e32 v11, v29, v35
	s_waitcnt vmcnt(0)
	v_fma_mix_f32 v35, v11, v53, v21 op_sel_hi:[0,1,0]
	v_mov_b32_e32 v21, v35
	s_branch .LBB145_17
.LBB145_22:
	s_or_b64 exec, exec, s[12:13]
	ds_write2_b32 v18, v23, v22 offset1:1
	ds_write2_b32 v17, v34, v35 offset1:1
.LBB145_23:
	s_or_b64 exec, exec, s[0:1]
	s_load_dword s15, s[2:3], 0x30
	s_mov_b32 s16, 0
	v_cmp_eq_u32_e64 s[0:1], 0, v19
	v_cmp_ne_u32_e32 vcc, 0, v19
	v_lshlrev_b32_e32 v0, 2, v14
	s_and_saveexec_b64 s[12:13], vcc
	s_cbranch_execz .LBB145_28
; %bb.24:
	v_add_u32_e32 v1, -1, v19
	v_lshl_or_b32 v2, v1, 9, v0
	s_and_b64 vcc, exec, s[22:23]
	ds_write_b32 v2, v23
	s_cbranch_vccz .LBB145_26
; %bb.25:
	s_movk_i32 s16, 0x200
	ds_write2st64_b32 v2, v22, v25 offset0:1 offset1:2
	s_branch .LBB145_27
.LBB145_26:
	v_mov_b32_e32 v21, v22
.LBB145_27:
	v_lshlrev_b32_e32 v1, 9, v1
	v_add3_u32 v1, s16, v1, v0
	ds_write_b32 v1, v21 offset:256
.LBB145_28:
	s_or_b64 exec, exec, s[12:13]
	s_waitcnt lgkmcnt(0)
	s_barrier
	s_and_saveexec_b64 s[12:13], s[0:1]
	s_cbranch_execz .LBB145_61
; %bb.29:
	ds_read_b32 v2, v0
	ds_read_b32 v3, v18
	s_and_b64 vcc, exec, s[10:11]
	s_cbranch_vccnz .LBB145_31
; %bb.30:
	ds_read_b32 v1, v0 offset:512
	ds_read_b32 v4, v17
	s_waitcnt lgkmcnt(0)
	v_add_f32_e32 v1, v1, v4
	ds_write_b32 v17, v1
.LBB145_31:
	v_mbcnt_lo_u32_b32 v1, -1, 0
	v_mbcnt_hi_u32_b32 v6, -1, v1
	v_and_b32_e32 v1, 64, v6
	v_add_u32_e32 v7, 64, v1
	v_xor_b32_e32 v1, 32, v6
	v_cmp_lt_i32_e32 vcc, v1, v7
	s_waitcnt lgkmcnt(0)
	v_add_f32_e32 v3, v2, v3
	v_xor_b32_e32 v2, 16, v6
	v_cndmask_b32_e32 v1, v6, v1, vcc
	v_lshlrev_b32_e32 v1, 2, v1
	ds_bpermute_b32 v4, v1, v3
	v_cmp_lt_i32_e32 vcc, v2, v7
	v_xor_b32_e32 v10, 1, v6
	s_waitcnt lgkmcnt(0)
	v_add_f32_e32 v4, v3, v4
	v_cndmask_b32_e32 v2, v6, v2, vcc
	v_lshlrev_b32_e32 v2, 2, v2
	ds_bpermute_b32 v5, v2, v4
	v_xor_b32_e32 v3, 8, v6
	v_cmp_lt_i32_e32 vcc, v3, v7
	s_waitcnt lgkmcnt(0)
	v_add_f32_e32 v5, v4, v5
	v_cndmask_b32_e32 v3, v6, v3, vcc
	v_lshlrev_b32_e32 v3, 2, v3
	ds_bpermute_b32 v8, v3, v5
	v_xor_b32_e32 v4, 4, v6
	v_cmp_lt_i32_e32 vcc, v4, v7
	;; [unrolled: 7-line block ×3, first 2 shown]
	s_waitcnt lgkmcnt(0)
	v_add_f32_e32 v8, v8, v9
	v_cndmask_b32_e32 v5, v6, v5, vcc
	v_lshlrev_b32_e32 v5, 2, v5
	ds_bpermute_b32 v9, v5, v8
	v_cmp_lt_i32_e32 vcc, v10, v7
	s_waitcnt lgkmcnt(0)
	v_add_f32_e32 v7, v8, v9
	v_cndmask_b32_e32 v6, v6, v10, vcc
	v_lshlrev_b32_e32 v6, 2, v6
	ds_bpermute_b32 v8, v6, v7
	s_and_b64 vcc, exec, s[10:11]
	s_waitcnt lgkmcnt(0)
	v_add_f32_e32 v7, v7, v8
	ds_write_b32 v18, v7
	s_cbranch_vccnz .LBB145_33
; %bb.32:
	ds_read_b32 v7, v17
	s_waitcnt lgkmcnt(0)
	ds_bpermute_b32 v8, v1, v7
	s_waitcnt lgkmcnt(0)
	v_add_f32_e32 v7, v7, v8
	ds_bpermute_b32 v8, v2, v7
	s_waitcnt lgkmcnt(0)
	v_add_f32_e32 v7, v7, v8
	;; [unrolled: 3-line block ×6, first 2 shown]
	ds_write_b32 v17, v7
.LBB145_33:
	ds_read_b32 v7, v0 offset:256
	ds_read_b32 v8, v18 offset:4
	s_and_b64 vcc, exec, s[10:11]
	s_cbranch_vccnz .LBB145_35
; %bb.34:
	ds_read_b32 v9, v0 offset:768
	ds_read_b32 v10, v17 offset:4
	s_waitcnt lgkmcnt(0)
	v_add_f32_e32 v9, v9, v10
	ds_write_b32 v17, v9 offset:4
.LBB145_35:
	s_waitcnt lgkmcnt(0)
	v_add_f32_e32 v7, v7, v8
	ds_bpermute_b32 v8, v1, v7
	s_and_b64 vcc, exec, s[10:11]
	s_waitcnt lgkmcnt(0)
	v_add_f32_e32 v7, v7, v8
	ds_bpermute_b32 v8, v2, v7
	s_waitcnt lgkmcnt(0)
	v_add_f32_e32 v7, v7, v8
	ds_bpermute_b32 v8, v3, v7
	;; [unrolled: 3-line block ×5, first 2 shown]
	s_waitcnt lgkmcnt(0)
	v_add_f32_e32 v7, v7, v8
	ds_write_b32 v18, v7 offset:4
	s_cbranch_vccnz .LBB145_37
; %bb.36:
	ds_read_b32 v7, v17 offset:4
	s_waitcnt lgkmcnt(0)
	ds_bpermute_b32 v1, v1, v7
	s_waitcnt lgkmcnt(0)
	v_add_f32_e32 v1, v7, v1
	ds_bpermute_b32 v2, v2, v1
	s_waitcnt lgkmcnt(0)
	v_add_f32_e32 v1, v1, v2
	;; [unrolled: 3-line block ×6, first 2 shown]
	ds_write_b32 v17, v1 offset:4
.LBB145_37:
	v_add_u32_e32 v1, s20, v14
	v_cmp_gt_u32_e32 vcc, 2, v14
	v_cmp_gt_u32_e64 s[0:1], s7, v1
	s_and_b64 s[0:1], vcc, s[0:1]
	s_and_b64 exec, exec, s[0:1]
	s_cbranch_execz .LBB145_61
; %bb.38:
	v_lshl_add_u32 v1, v14, 2, v18
	ds_read_b32 v1, v1
	s_and_b64 vcc, exec, s[10:11]
	s_waitcnt vmcnt(0) lgkmcnt(0)
	v_add_f32_e32 v2, v16, v1
	v_cndmask_b32_e64 v1, v2, v1, s[8:9]
	s_cbranch_vccnz .LBB145_60
; %bb.39:
	v_lshl_add_u32 v2, v14, 2, v17
	ds_read_b32 v2, v2
	s_cmp_lt_i32 s15, 2
	s_mov_b64 s[0:1], 0
	s_waitcnt lgkmcnt(0)
	v_add_f32_e32 v3, v15, v2
	v_cndmask_b32_e64 v2, v2, v3, s[4:5]
	s_cbranch_scc1 .LBB145_43
; %bb.40:
	s_cmp_gt_i32 s15, 2
	s_cbranch_scc0 .LBB145_44
; %bb.41:
	s_cmp_eq_u32 s15, 3
	s_cbranch_scc0 .LBB145_45
; %bb.42:
	v_max_f32_e32 v3, v2, v2
	v_min_f32_e32 v3, 0x40e00000, v3
	v_mul_f32_e32 v5, 0xbfd9db23, v3
	s_mov_b32 s4, 0x3fb8aa3b
	v_mul_f32_e32 v4, 0x3fb8aa3b, v5
	v_fma_f32 v6, v5, s4, -v4
	v_rndne_f32_e32 v7, v4
	v_fmamk_f32 v6, v5, 0x32a5705f, v6
	v_sub_f32_e32 v4, v4, v7
	v_add_f32_e32 v4, v4, v6
	v_exp_f32_e32 v6, v4
	v_cvt_i32_f32_e32 v7, v7
	s_mov_b32 s4, 0xc2ce8ed0
	v_max_f32_e32 v4, v1, v1
	v_cmp_ngt_f32_e32 vcc, s4, v5
	v_ldexp_f32 v6, v6, v7
	s_mov_b32 s4, 0x42b17218
	v_min_f32_e32 v4, 0x40e00000, v4
	v_cndmask_b32_e32 v6, 0, v6, vcc
	v_mov_b32_e32 v7, 0x7f800000
	v_cmp_nlt_f32_e32 vcc, s4, v5
	v_max_f32_e32 v4, 0xc0e00000, v4
	s_nop 0
	v_cndmask_b32_e32 v5, v7, v6, vcc
	v_pk_add_f32 v[4:5], v[4:5], 1.0 op_sel_hi:[1,0]
	s_nop 0
	v_div_scale_f32 v6, s[4:5], v5, v5, v3
	v_rcp_f32_e32 v7, v6
	s_mov_b64 s[4:5], 0
	v_fma_f32 v8, -v6, v7, 1.0
	v_fmac_f32_e32 v7, v8, v7
	v_div_scale_f32 v8, vcc, v3, v5, v3
	v_mul_f32_e32 v9, v8, v7
	v_fma_f32 v10, -v6, v9, v8
	v_fmac_f32_e32 v9, v10, v7
	v_fma_f32 v6, -v6, v9, v8
	v_div_fmas_f32 v6, v6, v7, v9
	v_div_fixup_f32 v3, v6, v5, v3
	v_mul_f32_e32 v3, v4, v3
	s_branch .LBB145_46
.LBB145_43:
                                        ; implicit-def: $vgpr3
	s_mov_b64 s[4:5], 0
	s_cbranch_execnz .LBB145_50
	s_branch .LBB145_51
.LBB145_44:
	s_mov_b64 s[8:9], -1
	s_mov_b64 s[4:5], 0
                                        ; implicit-def: $vgpr3
	s_branch .LBB145_47
.LBB145_45:
	s_mov_b64 s[4:5], -1
                                        ; implicit-def: $vgpr3
.LBB145_46:
	s_mov_b64 s[8:9], 0
.LBB145_47:
	s_and_b64 vcc, exec, s[8:9]
	s_cbranch_vccz .LBB145_49
; %bb.48:
	v_mul_f32_e32 v3, 0xbfb8aa3b, v2
	s_mov_b32 s7, 0xbfb8aa3b
	v_rndne_f32_e32 v4, v3
	v_sub_f32_e32 v5, v3, v4
	v_fma_f32 v3, v2, s7, -v3
	v_fmamk_f32 v3, v2, 0xb2a5705f, v3
	v_add_f32_e32 v3, v5, v3
	v_exp_f32_e32 v3, v3
	v_cvt_i32_f32_e32 v4, v4
	s_mov_b32 s7, 0x42ce8ed0
	v_cmp_nlt_f32_e32 vcc, s7, v2
	s_mov_b32 s7, 0xc2b17218
	v_ldexp_f32 v3, v3, v4
	v_cndmask_b32_e32 v3, 0, v3, vcc
	v_mov_b32_e32 v4, 0x7f800000
	v_cmp_ngt_f32_e32 vcc, s7, v2
	s_nop 1
	v_cndmask_b32_e32 v3, v4, v3, vcc
	v_add_f32_e32 v3, 1.0, v3
	v_div_scale_f32 v4, s[8:9], v3, v3, v2
	v_rcp_f32_e32 v5, v4
	s_nop 0
	v_fma_f32 v6, -v4, v5, 1.0
	v_fmac_f32_e32 v5, v6, v5
	v_div_scale_f32 v6, vcc, v2, v3, v2
	v_mul_f32_e32 v7, v6, v5
	v_fma_f32 v8, -v4, v7, v6
	v_fmac_f32_e32 v7, v8, v5
	v_fma_f32 v4, -v4, v7, v6
	v_div_fmas_f32 v4, v4, v5, v7
	v_div_fixup_f32 v3, v4, v3, v2
	v_mul_f32_e32 v3, v1, v3
.LBB145_49:
	s_branch .LBB145_51
.LBB145_50:
	s_cmp_lg_u32 s15, 1
	s_mov_b64 s[0:1], -1
	s_cselect_b64 s[4:5], -1, 0
                                        ; implicit-def: $vgpr3
.LBB145_51:
	s_andn2_b64 vcc, exec, s[4:5]
	s_cbranch_vccz .LBB145_53
; %bb.52:
	s_andn2_b64 vcc, exec, s[0:1]
	s_cbranch_vccz .LBB145_54
	s_branch .LBB145_59
.LBB145_53:
	v_mul_f32_e32 v3, v1, v2
	s_cbranch_execnz .LBB145_59
.LBB145_54:
	v_mul_f32_e32 v4, 0x3d372713, v2
	v_mul_f32_e32 v3, 0x3f4c422a, v2
	v_fma_f32 v4, v2, v4, 1.0
	v_mul_f32_e32 v3, v3, v4
	s_mov_b32 s0, 0x3f200000
	v_cmp_nlt_f32_e64 s[0:1], |v3|, s0
                                        ; implicit-def: $vgpr4
	s_and_saveexec_b64 s[4:5], s[0:1]
	s_xor_b64 s[0:1], exec, s[4:5]
	s_cbranch_execz .LBB145_56
; %bb.55:
	v_add_f32_e64 v4, |v3|, |v3|
	v_mul_f32_e32 v5, 0x3fb8aa3b, v4
	s_mov_b32 s4, 0x3fb8aa3b
	v_rndne_f32_e32 v6, v5
	v_sub_f32_e32 v7, v5, v6
	v_fma_f32 v5, v4, s4, -v5
	v_fmamk_f32 v5, v4, 0x32a5705f, v5
	v_add_f32_e32 v5, v7, v5
	v_exp_f32_e32 v5, v5
	v_cvt_i32_f32_e32 v6, v6
	s_mov_b32 s4, 0xc2ce8ed0
	v_cmp_ngt_f32_e32 vcc, s4, v4
	s_mov_b32 s4, 0x42b17218
	v_ldexp_f32 v5, v5, v6
	v_cndmask_b32_e32 v5, 0, v5, vcc
	v_mov_b32_e32 v6, 0x7f800000
	v_cmp_nlt_f32_e32 vcc, s4, v4
	s_nop 1
	v_cndmask_b32_e32 v4, v6, v5, vcc
	v_add_f32_e32 v4, 1.0, v4
	v_rcp_f32_e32 v4, v4
	s_nop 0
	v_fma_f32 v4, v4, -2.0, 1.0
.LBB145_56:
	s_andn2_saveexec_b64 s[0:1], s[0:1]
; %bb.57:
	v_mul_f32_e32 v4, v3, v3
	v_mov_b32_e32 v5, 0x3ca908c9
	v_fmac_f32_e32 v5, 0xbbbac73d, v4
	v_fmaak_f32 v5, v4, v5, 0xbd5c1c4e
	v_fmaak_f32 v5, v4, v5, 0x3e088382
	v_fmaak_f32 v5, v4, v5, 0xbeaaaa99
	v_mul_f32_e64 v5, |v3|, v5
	v_fma_f32 v4, v4, v5, |v3|
; %bb.58:
	s_or_b64 exec, exec, s[0:1]
	s_brev_b32 s0, -2
	v_bfi_b32 v3, s0, v4, v3
	v_mul_f32_e32 v2, 0.5, v2
	v_add_f32_e32 v3, 1.0, v3
	v_mul_f32_e32 v2, v2, v3
	v_mul_f32_e32 v3, v1, v2
.LBB145_59:
	v_mov_b32_e32 v1, v3
.LBB145_60:
	s_load_dwordx2 s[0:1], s[2:3], 0x38
	s_mul_i32 s4, s14, s26
	s_mul_i32 s6, s6, s30
	s_add_i32 s2, s4, s20
	s_add_i32 s2, s2, s6
	s_mov_b32 s3, 0
	s_lshl_b64 s[2:3], s[2:3], 2
	s_waitcnt lgkmcnt(0)
	s_add_u32 s0, s0, s2
	s_addc_u32 s1, s1, s3
	global_store_dword v0, v1, s[0:1]
.LBB145_61:
	s_endpgm
	.section	.rodata,"a",@progbits
	.p2align	6, 0x0
	.amdhsa_kernel _ZL13mul_mat_vec_qIL9ggml_type14ELi1ELb1ELb1EEvPKvS2_PKi31ggml_cuda_mm_fusion_args_devicePfj15HIP_vector_typeIjLj3EEjjjS8_jjjS8_jjjj
		.amdhsa_group_segment_fixed_size 3072
		.amdhsa_private_segment_fixed_size 0
		.amdhsa_kernarg_size 144
		.amdhsa_user_sgpr_count 4
		.amdhsa_user_sgpr_dispatch_ptr 1
		.amdhsa_user_sgpr_queue_ptr 0
		.amdhsa_user_sgpr_kernarg_segment_ptr 1
		.amdhsa_user_sgpr_dispatch_id 0
		.amdhsa_user_sgpr_kernarg_preload_length 0
		.amdhsa_user_sgpr_kernarg_preload_offset 0
		.amdhsa_user_sgpr_private_segment_size 0
		.amdhsa_uses_dynamic_stack 0
		.amdhsa_enable_private_segment 0
		.amdhsa_system_sgpr_workgroup_id_x 1
		.amdhsa_system_sgpr_workgroup_id_y 1
		.amdhsa_system_sgpr_workgroup_id_z 1
		.amdhsa_system_sgpr_workgroup_info 0
		.amdhsa_system_vgpr_workitem_id 2
		.amdhsa_next_free_vgpr 54
		.amdhsa_next_free_sgpr 46
		.amdhsa_accum_offset 56
		.amdhsa_reserve_vcc 1
		.amdhsa_float_round_mode_32 0
		.amdhsa_float_round_mode_16_64 0
		.amdhsa_float_denorm_mode_32 3
		.amdhsa_float_denorm_mode_16_64 3
		.amdhsa_dx10_clamp 1
		.amdhsa_ieee_mode 1
		.amdhsa_fp16_overflow 0
		.amdhsa_tg_split 0
		.amdhsa_exception_fp_ieee_invalid_op 0
		.amdhsa_exception_fp_denorm_src 0
		.amdhsa_exception_fp_ieee_div_zero 0
		.amdhsa_exception_fp_ieee_overflow 0
		.amdhsa_exception_fp_ieee_underflow 0
		.amdhsa_exception_fp_ieee_inexact 0
		.amdhsa_exception_int_div_zero 0
	.end_amdhsa_kernel
	.section	.text._ZL13mul_mat_vec_qIL9ggml_type14ELi1ELb1ELb1EEvPKvS2_PKi31ggml_cuda_mm_fusion_args_devicePfj15HIP_vector_typeIjLj3EEjjjS8_jjjS8_jjjj,"axG",@progbits,_ZL13mul_mat_vec_qIL9ggml_type14ELi1ELb1ELb1EEvPKvS2_PKi31ggml_cuda_mm_fusion_args_devicePfj15HIP_vector_typeIjLj3EEjjjS8_jjjS8_jjjj,comdat
.Lfunc_end145:
	.size	_ZL13mul_mat_vec_qIL9ggml_type14ELi1ELb1ELb1EEvPKvS2_PKi31ggml_cuda_mm_fusion_args_devicePfj15HIP_vector_typeIjLj3EEjjjS8_jjjS8_jjjj, .Lfunc_end145-_ZL13mul_mat_vec_qIL9ggml_type14ELi1ELb1ELb1EEvPKvS2_PKi31ggml_cuda_mm_fusion_args_devicePfj15HIP_vector_typeIjLj3EEjjjS8_jjjS8_jjjj
                                        ; -- End function
	.section	.AMDGPU.csdata,"",@progbits
; Kernel info:
; codeLenInByte = 4320
; NumSgprs: 52
; NumVgprs: 54
; NumAgprs: 0
; TotalNumVgprs: 54
; ScratchSize: 0
; MemoryBound: 0
; FloatMode: 240
; IeeeMode: 1
; LDSByteSize: 3072 bytes/workgroup (compile time only)
; SGPRBlocks: 6
; VGPRBlocks: 6
; NumSGPRsForWavesPerEU: 52
; NumVGPRsForWavesPerEU: 54
; AccumOffset: 56
; Occupancy: 8
; WaveLimiterHint : 0
; COMPUTE_PGM_RSRC2:SCRATCH_EN: 0
; COMPUTE_PGM_RSRC2:USER_SGPR: 4
; COMPUTE_PGM_RSRC2:TRAP_HANDLER: 0
; COMPUTE_PGM_RSRC2:TGID_X_EN: 1
; COMPUTE_PGM_RSRC2:TGID_Y_EN: 1
; COMPUTE_PGM_RSRC2:TGID_Z_EN: 1
; COMPUTE_PGM_RSRC2:TIDIG_COMP_CNT: 2
; COMPUTE_PGM_RSRC3_GFX90A:ACCUM_OFFSET: 13
; COMPUTE_PGM_RSRC3_GFX90A:TG_SPLIT: 0
	.section	.text._ZL13mul_mat_vec_qIL9ggml_type14ELi1ELb0ELb1EEvPKvS2_PKi31ggml_cuda_mm_fusion_args_devicePfj15HIP_vector_typeIjLj3EEjjjS8_jjjS8_jjjj,"axG",@progbits,_ZL13mul_mat_vec_qIL9ggml_type14ELi1ELb0ELb1EEvPKvS2_PKi31ggml_cuda_mm_fusion_args_devicePfj15HIP_vector_typeIjLj3EEjjjS8_jjjS8_jjjj,comdat
	.globl	_ZL13mul_mat_vec_qIL9ggml_type14ELi1ELb0ELb1EEvPKvS2_PKi31ggml_cuda_mm_fusion_args_devicePfj15HIP_vector_typeIjLj3EEjjjS8_jjjS8_jjjj ; -- Begin function _ZL13mul_mat_vec_qIL9ggml_type14ELi1ELb0ELb1EEvPKvS2_PKi31ggml_cuda_mm_fusion_args_devicePfj15HIP_vector_typeIjLj3EEjjjS8_jjjS8_jjjj
	.p2align	8
	.type	_ZL13mul_mat_vec_qIL9ggml_type14ELi1ELb0ELb1EEvPKvS2_PKi31ggml_cuda_mm_fusion_args_devicePfj15HIP_vector_typeIjLj3EEjjjS8_jjjS8_jjjj,@function
_ZL13mul_mat_vec_qIL9ggml_type14ELi1ELb0ELb1EEvPKvS2_PKi31ggml_cuda_mm_fusion_args_devicePfj15HIP_vector_typeIjLj3EEjjjS8_jjjS8_jjjj: ; @_ZL13mul_mat_vec_qIL9ggml_type14ELi1ELb0ELb1EEvPKvS2_PKi31ggml_cuda_mm_fusion_args_devicePfj15HIP_vector_typeIjLj3EEjjjS8_jjjS8_jjjj
; %bb.0:
	s_load_dwordx2 s[8:9], s[2:3], 0x10
	s_load_dwordx4 s[16:19], s[2:3], 0x40
	s_mov_b32 s20, s5
	s_mov_b64 s[14:15], 0
	s_waitcnt lgkmcnt(0)
	s_cmp_lg_u64 s[8:9], 0
	s_cselect_b64 s[12:13], -1, 0
	s_cmp_eq_u64 s[8:9], 0
	s_cbranch_scc1 .LBB146_5
; %bb.1:
	s_mov_b32 s21, 0
	s_lshl_b64 s[10:11], s[20:21], 2
	s_add_u32 s8, s8, s10
	s_addc_u32 s9, s9, s11
	s_load_dword s21, s[8:9], 0x0
	s_nop 0
	s_load_dwordx4 s[8:11], s[2:3], 0x68
	s_load_dword s5, s[2:3], 0x50
	s_andn2_b64 vcc, exec, s[14:15]
	s_cbranch_vccnz .LBB146_3
.LBB146_2:
	s_load_dwordx2 s[14:15], s[2:3], 0x5c
	s_waitcnt lgkmcnt(0)
	s_mul_hi_u32 s7, s14, s20
	s_add_i32 s7, s20, s7
	s_lshr_b32 s21, s7, s15
.LBB146_3:
	s_load_dword s22, s[2:3], 0x78
	s_andn2_b64 vcc, exec, s[12:13]
	s_cbranch_vccnz .LBB146_6
; %bb.4:
	s_mul_hi_u32 s7, s17, s20
	s_add_i32 s7, s20, s7
	s_lshr_b32 s7, s7, s18
	s_mul_i32 s7, s7, s19
	s_sub_i32 s23, s20, s7
	s_branch .LBB146_7
.LBB146_5:
                                        ; implicit-def: $sgpr21
	s_load_dwordx4 s[8:11], s[2:3], 0x68
	s_load_dword s5, s[2:3], 0x50
	s_branch .LBB146_2
.LBB146_6:
	s_mov_b32 s23, s20
.LBB146_7:
	s_load_dwordx2 s[18:19], s[0:1], 0x4
	s_load_dwordx4 s[12:15], s[2:3], 0x80
	v_bfe_u32 v14, v0, 10, 10
	v_and_b32_e32 v13, 0x3ff, v0
	v_bfe_u32 v0, v0, 20, 10
	s_waitcnt lgkmcnt(0)
	s_lshr_b32 s0, s18, 16
	v_mul_u32_u24_e32 v1, s19, v14
	s_mul_i32 s0, s0, s19
	v_mad_u32_u24 v1, s0, v13, v1
	v_lshl_add_u32 v4, v14, 6, v13
	v_add_lshl_u32 v0, v1, v0, 3
	s_lshr_b32 s15, s16, 8
	v_lshrrev_b32_e32 v15, 5, v4
	v_add_u32_e32 v12, 0x200, v0
	s_lshl_b32 s7, s4, 1
	v_mov_b32_e32 v17, 0
	v_cmp_gt_u32_e32 vcc, s15, v15
	v_mov_b32_e32 v18, 0
	ds_write2_b32 v0, v17, v17 offset0:128 offset1:129
	s_and_saveexec_b64 s[0:1], vcc
	s_cbranch_execz .LBB146_11
; %bb.8:
	s_mul_i32 s4, s21, s8
	s_mul_hi_u32 s8, s11, s6
	s_add_i32 s8, s6, s8
	v_and_b32_e32 v3, 15, v13
	s_lshr_b32 s8, s8, s22
	v_and_b32_e32 v0, 31, v13
	v_bfe_u32 v2, v13, 4, 1
	v_lshrrev_b16_e32 v5, 3, v3
	s_mul_i32 s11, s8, s12
	s_mul_i32 s8, s23, s9
	v_lshl_or_b32 v6, v2, 2, v5
	v_lshlrev_b32_e32 v8, 1, v0
	v_lshlrev_b32_e32 v0, 3, v2
	v_and_b32_e32 v2, 7, v13
	s_load_dwordx4 s[16:19], s[2:3], 0x0
	v_or_b32_e32 v7, v0, v2
	s_mul_hi_u32 s9, s8, 36
	s_mul_i32 s8, s8, 36
	v_lshlrev_b32_e32 v10, 1, v7
	v_lshlrev_b32_e32 v16, 1, v5
	v_lshrrev_b32_e32 v7, 5, v4
	v_mov_b32_e32 v4, s8
	v_mov_b32_e32 v5, s9
	s_movk_i32 s8, 0x120
	s_mul_i32 s12, s6, s13
	v_mad_u64_u32 v[4:5], s[8:9], v7, s8, v[4:5]
	v_mad_u64_u32 v[4:5], s[8:9], s12, 36, v[4:5]
	s_add_i32 s12, s11, s4
	s_add_i32 s4, s7, 1
	v_mov_b32_e32 v1, 0
	v_lshrrev_b16_e32 v3, 2, v3
	s_mul_i32 s13, s7, s5
	v_mad_u64_u32 v[4:5], s[8:9], v6, 36, v[4:5]
	s_mul_i32 s5, s5, s4
	v_or_b32_e32 v0, v0, v3
	v_lshlrev_b32_e32 v2, 2, v2
	v_mov_b32_e32 v3, v1
	s_waitcnt lgkmcnt(0)
	v_lshl_add_u64 v[4:5], s[18:19], 0, v[4:5]
	s_add_i32 s11, s12, s13
	s_add_i32 s12, s12, s5
	s_mov_b64 s[4:5], 0
	s_movk_i32 s13, 0xd2
	v_mov_b64_e32 v[6:7], s[16:17]
	v_lshlrev_b32_e32 v8, 1, v8
	v_lshlrev_b32_e32 v10, 1, v10
	s_mov_b32 s16, 0x30303030
	s_movk_i32 s17, 0x3f00
	s_movk_i32 s18, 0xe000
	s_mov_b64 s[8:9], 0x480
	v_mov_b32_e32 v9, v1
	v_mov_b32_e32 v11, v1
	;; [unrolled: 1-line block ×5, first 2 shown]
.LBB146_9:                              ; =>This Inner Loop Header: Depth=1
	v_add_u32_e32 v22, s11, v15
	v_add_u32_e32 v24, s12, v15
	v_mad_i64_i32 v[22:23], s[22:23], v22, s13, v[6:7]
	v_lshl_add_u64 v[20:21], v[4:5], 0, v[2:3]
	v_mad_i64_i32 v[24:25], s[22:23], v24, s13, v[6:7]
	v_lshl_add_u64 v[30:31], v[22:23], 0, v[0:1]
	global_load_dword v36, v[4:5], off
	global_load_dword v37, v[4:5], off offset:72
	global_load_dword v38, v[20:21], off offset:4
	v_lshl_add_u64 v[26:27], v[22:23], 0, v[8:9]
	v_lshl_add_u64 v[28:29], v[22:23], 0, v[10:11]
	;; [unrolled: 1-line block ×4, first 2 shown]
	global_load_sbyte v39, v[30:31], off offset:192
	global_load_sbyte v40, v[30:31], off offset:196
	global_load_ushort v41, v[24:25], off offset:208
	global_load_dword v42, v[28:29], off offset:128
	global_load_dword v43, v[26:27], off
	global_load_dword v44, v[34:35], off offset:128
	global_load_dword v45, v[32:33], off
	global_load_dword v46, v[20:21], off offset:76
	v_lshl_add_u64 v[20:21], v[24:25], 0, v[0:1]
	global_load_sbyte v24, v[20:21], off offset:192
	global_load_sbyte v25, v[20:21], off offset:196
	v_mov_b32_e32 v20, 0
	global_load_ushort v22, v[22:23], off offset:208
	v_mov_b32_e32 v26, 0
	v_mov_b32_e32 v21, 0
	;; [unrolled: 1-line block ×3, first 2 shown]
	v_add_u32_e32 v15, 4, v15
	v_cmp_le_u32_e32 vcc, s15, v15
	v_lshl_add_u64 v[4:5], v[4:5], 0, s[8:9]
	s_or_b64 s[4:5], vcc, s[4:5]
	s_waitcnt vmcnt(7)
	v_ashrrev_i32_e32 v23, v16, v42
	s_waitcnt vmcnt(6)
	v_lshrrev_b32_e32 v29, 4, v43
	s_waitcnt vmcnt(5)
	v_ashrrev_i32_e32 v30, v16, v44
	v_and_b32_e32 v28, 0xf0f0f0f, v43
	s_waitcnt vmcnt(4)
	v_and_b32_e32 v31, 0xf0f0f0f, v45
	v_lshrrev_b32_e32 v32, 4, v45
	v_lshlrev_b32_e32 v33, 4, v23
	v_and_b32_e32 v29, 0xf0f0f0f, v29
	v_lshlrev_b32_e32 v34, 4, v30
	v_and_b32_e32 v32, 0xf0f0f0f, v32
	v_and_or_b32 v28, v33, s16, v28
	v_and_or_b32 v23, v23, s16, v29
	v_and_or_b32 v29, v34, s16, v31
	v_and_or_b32 v30, v30, s16, v32
	v_and_b32_e32 v31, 0x3f00, v28
	v_lshlrev_b16_e32 v32, 8, v28
	v_and_b32_sdwa v33, v28, s17 dst_sel:DWORD dst_unused:UNUSED_PAD src0_sel:WORD_1 src1_sel:DWORD
	v_lshlrev_b16_sdwa v28, v19, v28 dst_sel:DWORD dst_unused:UNUSED_PAD src0_sel:DWORD src1_sel:WORD_1
	v_and_b32_e32 v43, 0x3f00, v29
	v_lshlrev_b16_e32 v44, 8, v29
	v_and_b32_sdwa v45, v29, s17 dst_sel:DWORD dst_unused:UNUSED_PAD src0_sel:WORD_1 src1_sel:DWORD
	v_lshlrev_b16_sdwa v29, v19, v29 dst_sel:DWORD dst_unused:UNUSED_PAD src0_sel:DWORD src1_sel:WORD_1
	;; [unrolled: 4-line block ×4, first 2 shown]
	v_add_u16_e32 v32, 0xe000, v32
	v_add_u16_e32 v28, 0xe000, v28
	;; [unrolled: 1-line block ×8, first 2 shown]
	v_or_b32_sdwa v31, v31, v32 dst_sel:DWORD dst_unused:UNUSED_PAD src0_sel:DWORD src1_sel:BYTE_1
	v_or_b32_sdwa v28, v33, v28 dst_sel:DWORD dst_unused:UNUSED_PAD src0_sel:DWORD src1_sel:BYTE_1
	v_or_b32_sdwa v33, v43, v44 dst_sel:DWORD dst_unused:UNUSED_PAD src0_sel:DWORD src1_sel:BYTE_1
	v_or_b32_sdwa v29, v45, v29 dst_sel:DWORD dst_unused:UNUSED_PAD src0_sel:DWORD src1_sel:BYTE_1
	v_or_b32_sdwa v32, v34, v35 dst_sel:DWORD dst_unused:UNUSED_PAD src0_sel:DWORD src1_sel:BYTE_1
	v_or_b32_sdwa v23, v42, v23 dst_sel:DWORD dst_unused:UNUSED_PAD src0_sel:DWORD src1_sel:BYTE_1
	v_or_b32_sdwa v34, v47, v48 dst_sel:DWORD dst_unused:UNUSED_PAD src0_sel:DWORD src1_sel:BYTE_1
	v_or_b32_sdwa v30, v49, v30 dst_sel:DWORD dst_unused:UNUSED_PAD src0_sel:DWORD src1_sel:BYTE_1
	v_add_u16_e32 v31, 0xe000, v31
	v_add_u16_sdwa v28, v28, s18 dst_sel:WORD_1 dst_unused:UNUSED_PAD src0_sel:DWORD src1_sel:DWORD
	v_add_u16_e32 v33, 0xe000, v33
	v_add_u16_sdwa v29, v29, s18 dst_sel:WORD_1 dst_unused:UNUSED_PAD src0_sel:DWORD src1_sel:DWORD
	;; [unrolled: 2-line block ×4, first 2 shown]
	v_or_b32_e32 v28, v31, v28
	v_or_b32_e32 v29, v33, v29
	;; [unrolled: 1-line block ×4, first 2 shown]
	v_dot4c_i32_i8_e32 v20, v28, v38
	v_dot4c_i32_i8_e32 v26, v29, v38
	s_waitcnt vmcnt(3)
	v_dot4c_i32_i8_e32 v21, v23, v46
	v_dot4c_i32_i8_e32 v27, v30, v46
	v_mul_lo_u32 v20, v20, v39
	s_waitcnt vmcnt(2)
	v_mul_lo_u32 v23, v26, v24
	v_mul_lo_u32 v21, v21, v40
	s_waitcnt vmcnt(1)
	v_mul_lo_u32 v24, v27, v25
	v_cvt_f32_i32_e32 v20, v20
	v_cvt_f32_i32_e32 v23, v23
	;; [unrolled: 1-line block ×4, first 2 shown]
	v_fma_mix_f32 v20, v36, v20, 0 op_sel_hi:[1,0,0]
	v_fma_mix_f32 v23, v36, v23, 0 op_sel_hi:[1,0,0]
	;; [unrolled: 1-line block ×4, first 2 shown]
	s_waitcnt vmcnt(0)
	v_fma_mix_f32 v17, v20, v22, v17 op_sel_hi:[0,1,0]
	v_fma_mix_f32 v18, v21, v41, v18 op_sel_hi:[0,1,0]
	s_andn2_b64 exec, exec, s[4:5]
	s_cbranch_execnz .LBB146_9
; %bb.10:
	s_or_b64 exec, exec, s[4:5]
	ds_write2_b32 v12, v17, v18 offset1:1
.LBB146_11:
	s_or_b64 exec, exec, s[0:1]
	v_cmp_eq_u32_e32 vcc, 0, v14
	v_cmp_ne_u32_e64 s[0:1], 0, v14
	v_lshlrev_b32_e32 v0, 2, v13
	s_and_saveexec_b64 s[4:5], s[0:1]
	s_cbranch_execz .LBB146_13
; %bb.12:
	v_lshl_or_b32 v1, v14, 9, v0
	v_add_u32_e32 v1, 0xfffffe00, v1
	ds_write2st64_b32 v1, v17, v18 offset1:1
.LBB146_13:
	s_or_b64 exec, exec, s[4:5]
	s_waitcnt lgkmcnt(0)
	s_barrier
	s_and_saveexec_b64 s[0:1], vcc
	s_cbranch_execz .LBB146_16
; %bb.14:
	v_mbcnt_lo_u32_b32 v1, -1, 0
	v_mbcnt_hi_u32_b32 v1, -1, v1
	v_and_b32_e32 v2, 64, v1
	v_add_u32_e32 v6, 64, v2
	ds_read2st64_b32 v[2:3], v0 offset1:1
	ds_read2_b32 v[4:5], v12 offset1:1
	v_xor_b32_e32 v7, 32, v1
	v_cmp_lt_i32_e32 vcc, v7, v6
	s_load_dword s0, s[2:3], 0x58
	s_mov_b32 s5, 0
	v_cndmask_b32_e32 v7, v1, v7, vcc
	v_lshlrev_b32_e32 v7, 2, v7
	s_waitcnt lgkmcnt(0)
	v_pk_add_f32 v[2:3], v[2:3], v[4:5]
	ds_bpermute_b32 v4, v7, v2
	ds_bpermute_b32 v5, v7, v3
	v_xor_b32_e32 v7, 16, v1
	v_cmp_lt_i32_e32 vcc, v7, v6
	s_waitcnt lgkmcnt(0)
	v_pk_add_f32 v[2:3], v[2:3], v[4:5]
	v_cndmask_b32_e32 v7, v1, v7, vcc
	v_lshlrev_b32_e32 v7, 2, v7
	ds_bpermute_b32 v4, v7, v2
	ds_bpermute_b32 v5, v7, v3
	v_xor_b32_e32 v7, 8, v1
	v_cmp_lt_i32_e32 vcc, v7, v6
	s_waitcnt lgkmcnt(0)
	v_pk_add_f32 v[2:3], v[2:3], v[4:5]
	v_cndmask_b32_e32 v7, v1, v7, vcc
	v_lshlrev_b32_e32 v7, 2, v7
	;; [unrolled: 8-line block ×5, first 2 shown]
	ds_bpermute_b32 v4, v1, v2
	ds_bpermute_b32 v5, v1, v3
	v_or_b32_e32 v1, s7, v13
	v_cmp_gt_u32_e32 vcc, 2, v13
	v_cmp_gt_u32_e64 s[0:1], s0, v1
	s_and_b64 s[0:1], vcc, s[0:1]
	s_waitcnt lgkmcnt(0)
	v_pk_add_f32 v[2:3], v[2:3], v[4:5]
	ds_write2_b32 v12, v2, v3 offset1:1
	s_and_b64 exec, exec, s[0:1]
	s_cbranch_execz .LBB146_16
; %bb.15:
	s_load_dwordx2 s[0:1], s[2:3], 0x38
	s_mul_i32 s2, s20, s10
	v_add_u32_e32 v1, v12, v0
	s_add_i32 s2, s2, s7
	s_mul_i32 s6, s6, s14
	ds_read_b32 v1, v1
	s_add_i32 s4, s2, s6
	s_lshl_b64 s[2:3], s[4:5], 2
	s_waitcnt lgkmcnt(0)
	s_add_u32 s0, s0, s2
	s_addc_u32 s1, s1, s3
	global_store_dword v0, v1, s[0:1]
.LBB146_16:
	s_endpgm
	.section	.rodata,"a",@progbits
	.p2align	6, 0x0
	.amdhsa_kernel _ZL13mul_mat_vec_qIL9ggml_type14ELi1ELb0ELb1EEvPKvS2_PKi31ggml_cuda_mm_fusion_args_devicePfj15HIP_vector_typeIjLj3EEjjjS8_jjjS8_jjjj
		.amdhsa_group_segment_fixed_size 1536
		.amdhsa_private_segment_fixed_size 0
		.amdhsa_kernarg_size 144
		.amdhsa_user_sgpr_count 4
		.amdhsa_user_sgpr_dispatch_ptr 1
		.amdhsa_user_sgpr_queue_ptr 0
		.amdhsa_user_sgpr_kernarg_segment_ptr 1
		.amdhsa_user_sgpr_dispatch_id 0
		.amdhsa_user_sgpr_kernarg_preload_length 0
		.amdhsa_user_sgpr_kernarg_preload_offset 0
		.amdhsa_user_sgpr_private_segment_size 0
		.amdhsa_uses_dynamic_stack 0
		.amdhsa_enable_private_segment 0
		.amdhsa_system_sgpr_workgroup_id_x 1
		.amdhsa_system_sgpr_workgroup_id_y 1
		.amdhsa_system_sgpr_workgroup_id_z 1
		.amdhsa_system_sgpr_workgroup_info 0
		.amdhsa_system_vgpr_workitem_id 2
		.amdhsa_next_free_vgpr 50
		.amdhsa_next_free_sgpr 24
		.amdhsa_accum_offset 52
		.amdhsa_reserve_vcc 1
		.amdhsa_float_round_mode_32 0
		.amdhsa_float_round_mode_16_64 0
		.amdhsa_float_denorm_mode_32 3
		.amdhsa_float_denorm_mode_16_64 3
		.amdhsa_dx10_clamp 1
		.amdhsa_ieee_mode 1
		.amdhsa_fp16_overflow 0
		.amdhsa_tg_split 0
		.amdhsa_exception_fp_ieee_invalid_op 0
		.amdhsa_exception_fp_denorm_src 0
		.amdhsa_exception_fp_ieee_div_zero 0
		.amdhsa_exception_fp_ieee_overflow 0
		.amdhsa_exception_fp_ieee_underflow 0
		.amdhsa_exception_fp_ieee_inexact 0
		.amdhsa_exception_int_div_zero 0
	.end_amdhsa_kernel
	.section	.text._ZL13mul_mat_vec_qIL9ggml_type14ELi1ELb0ELb1EEvPKvS2_PKi31ggml_cuda_mm_fusion_args_devicePfj15HIP_vector_typeIjLj3EEjjjS8_jjjS8_jjjj,"axG",@progbits,_ZL13mul_mat_vec_qIL9ggml_type14ELi1ELb0ELb1EEvPKvS2_PKi31ggml_cuda_mm_fusion_args_devicePfj15HIP_vector_typeIjLj3EEjjjS8_jjjS8_jjjj,comdat
.Lfunc_end146:
	.size	_ZL13mul_mat_vec_qIL9ggml_type14ELi1ELb0ELb1EEvPKvS2_PKi31ggml_cuda_mm_fusion_args_devicePfj15HIP_vector_typeIjLj3EEjjjS8_jjjS8_jjjj, .Lfunc_end146-_ZL13mul_mat_vec_qIL9ggml_type14ELi1ELb0ELb1EEvPKvS2_PKi31ggml_cuda_mm_fusion_args_devicePfj15HIP_vector_typeIjLj3EEjjjS8_jjjS8_jjjj
                                        ; -- End function
	.section	.AMDGPU.csdata,"",@progbits
; Kernel info:
; codeLenInByte = 1868
; NumSgprs: 30
; NumVgprs: 50
; NumAgprs: 0
; TotalNumVgprs: 50
; ScratchSize: 0
; MemoryBound: 0
; FloatMode: 240
; IeeeMode: 1
; LDSByteSize: 1536 bytes/workgroup (compile time only)
; SGPRBlocks: 3
; VGPRBlocks: 6
; NumSGPRsForWavesPerEU: 30
; NumVGPRsForWavesPerEU: 50
; AccumOffset: 52
; Occupancy: 8
; WaveLimiterHint : 0
; COMPUTE_PGM_RSRC2:SCRATCH_EN: 0
; COMPUTE_PGM_RSRC2:USER_SGPR: 4
; COMPUTE_PGM_RSRC2:TRAP_HANDLER: 0
; COMPUTE_PGM_RSRC2:TGID_X_EN: 1
; COMPUTE_PGM_RSRC2:TGID_Y_EN: 1
; COMPUTE_PGM_RSRC2:TGID_Z_EN: 1
; COMPUTE_PGM_RSRC2:TIDIG_COMP_CNT: 2
; COMPUTE_PGM_RSRC3_GFX90A:ACCUM_OFFSET: 12
; COMPUTE_PGM_RSRC3_GFX90A:TG_SPLIT: 0
	.section	.text._ZL13mul_mat_vec_qIL9ggml_type14ELi1ELb1ELb0EEvPKvS2_PKi31ggml_cuda_mm_fusion_args_devicePfj15HIP_vector_typeIjLj3EEjjjS8_jjjS8_jjjj,"axG",@progbits,_ZL13mul_mat_vec_qIL9ggml_type14ELi1ELb1ELb0EEvPKvS2_PKi31ggml_cuda_mm_fusion_args_devicePfj15HIP_vector_typeIjLj3EEjjjS8_jjjS8_jjjj,comdat
	.globl	_ZL13mul_mat_vec_qIL9ggml_type14ELi1ELb1ELb0EEvPKvS2_PKi31ggml_cuda_mm_fusion_args_devicePfj15HIP_vector_typeIjLj3EEjjjS8_jjjS8_jjjj ; -- Begin function _ZL13mul_mat_vec_qIL9ggml_type14ELi1ELb1ELb0EEvPKvS2_PKi31ggml_cuda_mm_fusion_args_devicePfj15HIP_vector_typeIjLj3EEjjjS8_jjjS8_jjjj
	.p2align	8
	.type	_ZL13mul_mat_vec_qIL9ggml_type14ELi1ELb1ELb0EEvPKvS2_PKi31ggml_cuda_mm_fusion_args_devicePfj15HIP_vector_typeIjLj3EEjjjS8_jjjS8_jjjj,@function
_ZL13mul_mat_vec_qIL9ggml_type14ELi1ELb1ELb0EEvPKvS2_PKi31ggml_cuda_mm_fusion_args_devicePfj15HIP_vector_typeIjLj3EEjjjS8_jjjS8_jjjj: ; @_ZL13mul_mat_vec_qIL9ggml_type14ELi1ELb1ELb0EEvPKvS2_PKi31ggml_cuda_mm_fusion_args_devicePfj15HIP_vector_typeIjLj3EEjjjS8_jjjS8_jjjj
; %bb.0:
	s_load_dwordx8 s[16:23], s[0:1], 0x0
	s_load_dwordx4 s[36:39], s[0:1], 0x20
	s_load_dwordx4 s[8:11], s[0:1], 0x40
	;; [unrolled: 1-line block ×3, first 2 shown]
	s_mov_b32 s14, s3
	s_waitcnt lgkmcnt(0)
	s_cmp_lg_u64 s[20:21], 0
	s_cselect_b64 s[6:7], -1, 0
	s_cmp_eq_u64 s[20:21], 0
	s_mov_b64 s[12:13], 0
	s_cbranch_scc1 .LBB147_5
; %bb.1:
	s_mov_b32 s15, 0
	s_lshl_b64 s[28:29], s[14:15], 2
	s_add_u32 s20, s20, s28
	s_addc_u32 s21, s21, s29
	s_load_dword s5, s[20:21], 0x0
	s_load_dword s15, s[0:1], 0x50
	s_load_dword s33, s[0:1], 0x78
	s_andn2_b64 vcc, exec, s[12:13]
	s_cbranch_vccnz .LBB147_3
.LBB147_2:
	s_load_dwordx2 s[12:13], s[0:1], 0x5c
	s_waitcnt lgkmcnt(0)
	s_mul_hi_u32 s3, s12, s14
	s_add_i32 s3, s14, s3
	s_lshr_b32 s5, s3, s13
.LBB147_3:
	s_andn2_b64 vcc, exec, s[6:7]
	s_cbranch_vccnz .LBB147_6
; %bb.4:
	s_mul_hi_u32 s3, s9, s14
	s_add_i32 s3, s14, s3
	s_lshr_b32 s3, s3, s10
	s_mul_i32 s3, s3, s11
	s_sub_i32 s34, s14, s3
	s_waitcnt lgkmcnt(0)
	s_mov_b32 s3, s5
	s_branch .LBB147_7
.LBB147_5:
                                        ; implicit-def: $sgpr5
	s_load_dword s15, s[0:1], 0x50
	s_load_dword s33, s[0:1], 0x78
	s_branch .LBB147_2
.LBB147_6:
	s_mov_b32 s3, s14
	s_mov_b32 s34, s14
.LBB147_7:
	s_load_dwordx4 s[28:31], s[0:1], 0x80
	v_bfe_u32 v16, v0, 10, 10
	v_and_b32_e32 v13, 0x3ff, v0
	s_cmp_lg_u64 s[22:23], 0
	v_or_b32_e32 v0, v16, v13
	s_cselect_b64 s[12:13], -1, 0
	v_cmp_eq_u32_e32 vcc, 0, v0
	s_mov_b32 s21, 0
	s_and_b64 s[40:41], vcc, s[12:13]
	v_mov_b32_e32 v14, 0
	s_mul_i32 s10, s3, s26
	v_lshlrev_b32_e32 v12, 2, v13
	v_mov_b32_e32 v15, 0
	s_and_saveexec_b64 s[6:7], s[40:41]
	s_cbranch_execz .LBB147_9
; %bb.8:
	s_waitcnt lgkmcnt(0)
	s_mul_i32 s20, s4, s30
	s_lshl_b64 s[40:41], s[20:21], 2
	s_add_u32 s3, s22, s40
	s_mov_b32 s11, s21
	s_addc_u32 s9, s23, s41
	s_lshl_b64 s[20:21], s[10:11], 2
	s_add_u32 s11, s3, s20
	s_addc_u32 s9, s9, s21
	s_ashr_i32 s3, s2, 31
	s_lshl_b64 s[20:21], s[2:3], 2
	s_add_u32 s20, s11, s20
	s_addc_u32 s21, s9, s21
	global_load_dword v15, v12, s[20:21]
.LBB147_9:
	s_or_b64 exec, exec, s[6:7]
	s_cmp_lg_u64 s[36:37], 0
	s_cselect_b64 s[20:21], -1, 0
	s_cmp_lg_u64 s[38:39], 0
	s_cselect_b64 s[6:7], -1, 0
	s_and_b64 s[22:23], s[6:7], s[20:21]
	s_and_b64 s[40:41], vcc, s[22:23]
	s_and_saveexec_b64 s[22:23], s[40:41]
	s_cbranch_execz .LBB147_11
; %bb.10:
	s_waitcnt lgkmcnt(0)
	s_mul_i32 s40, s4, s30
	s_mov_b32 s41, 0
	s_lshl_b64 s[42:43], s[40:41], 2
	s_add_u32 s3, s38, s42
	s_mov_b32 s11, s41
	s_addc_u32 s9, s39, s43
	s_lshl_b64 s[10:11], s[10:11], 2
	s_add_u32 s31, s3, s10
	s_addc_u32 s9, s9, s11
	s_ashr_i32 s3, s2, 31
	s_lshl_b64 s[10:11], s[2:3], 2
	s_add_u32 s10, s31, s10
	s_addc_u32 s11, s9, s11
	global_load_dword v14, v12, s[10:11]
.LBB147_11:
	s_or_b64 exec, exec, s[22:23]
	v_lshl_add_u32 v4, v16, 6, v13
	s_lshr_b32 s3, s8, 8
	v_lshrrev_b32_e32 v18, 5, v4
	v_cndmask_b32_e64 v0, 0, 1, s[20:21]
	v_cmp_gt_u32_e32 vcc, s3, v18
	v_mov_b32_e32 v19, 0
	v_cmp_ne_u32_e64 s[8:9], 1, v0
	v_mov_b32_e32 v17, 0
	s_and_saveexec_b64 s[10:11], vcc
	s_cbranch_execz .LBB147_17
; %bb.12:
	v_and_b32_e32 v0, 31, v13
	v_add_u32_e32 v1, 0xf0, v0
	v_cmp_gt_u32_e32 vcc, 16, v0
	s_mul_hi_u32 s20, s27, s4
	s_add_i32 s20, s4, s20
	v_cndmask_b32_e32 v2, v1, v0, vcc
	v_cmp_lt_u32_e32 vcc, 15, v0
	v_and_b32_e32 v3, 0xf8, v2
	v_lshlrev_b32_e32 v8, 1, v0
	v_cndmask_b32_e64 v5, 0, 1, vcc
	v_lshlrev_b32_e32 v0, 3, v5
	v_and_b32_e32 v6, 7, v13
	s_waitcnt lgkmcnt(0)
	s_lshr_b32 s20, s20, s33
	v_or_b32_e32 v7, v0, v6
	v_cmp_ne_u32_e32 vcc, 0, v3
	s_mul_i32 s5, s5, s24
	s_mul_i32 s20, s20, s28
	v_lshlrev_b32_e32 v10, 1, v7
	v_cndmask_b32_e64 v7, 0, 1, vcc
	v_bfe_u32 v2, v2, 2, 6
	s_mul_i32 s15, s2, s15
	v_add_u32_e32 v0, v2, v0
	s_add_i32 s5, s20, s5
	v_lshlrev_b32_e32 v2, 2, v6
	v_lshrrev_b32_e32 v6, 5, v4
	v_lshl_or_b32 v4, v5, 2, v7
	s_add_i32 s5, s5, s15
	v_mul_hi_u32_u24_e32 v5, 36, v4
	v_mul_u32_u24_e32 v4, 36, v4
	s_movk_i32 s15, 0x120
	s_mul_i32 s22, s4, s29
	v_mad_u64_u32 v[4:5], s[20:21], v6, s15, v[4:5]
	s_mul_hi_u32 s20, s22, 36
	s_mul_i32 s22, s22, 36
	s_mul_i32 s23, s34, s25
	s_add_u32 s18, s18, s22
	s_mul_hi_u32 s15, s23, 36
	s_mul_i32 s23, s23, 36
	s_addc_u32 s19, s19, s20
	s_add_u32 s18, s18, s23
	v_mov_b32_e32 v1, 0
	s_addc_u32 s19, s19, s15
	v_lshlrev_b32_e32 v20, 1, v7
	v_mov_b32_e32 v3, v1
	v_lshl_add_u64 v[4:5], s[18:19], 0, v[4:5]
	s_mov_b64 s[18:19], 0
	s_movk_i32 s15, 0xd2
	v_mov_b64_e32 v[6:7], s[16:17]
	v_lshlrev_b32_e32 v8, 1, v8
	v_lshlrev_b32_e32 v10, 1, v10
	s_mov_b32 s20, 0x30303030
	s_movk_i32 s21, 0x3f00
	s_movk_i32 s22, 0xe000
	s_mov_b64 s[16:17], 0x480
	v_mov_b32_e32 v9, v1
	v_mov_b32_e32 v11, v1
	;; [unrolled: 1-line block ×5, first 2 shown]
	s_branch .LBB147_14
.LBB147_13:                             ;   in Loop: Header=BB147_14 Depth=1
	v_ashrrev_i32_e32 v29, v20, v29
	s_waitcnt vmcnt(3)
	v_and_b32_e32 v31, 0xf0f0f0f, v27
	v_lshlrev_b32_e32 v32, 4, v29
	v_and_or_b32 v31, v32, s20, v31
	v_lshlrev_b16_e32 v33, 8, v31
	v_and_b32_e32 v32, 0x3f00, v31
	v_add_u16_e32 v33, 0xe000, v33
	v_or_b32_sdwa v32, v32, v33 dst_sel:DWORD dst_unused:UNUSED_PAD src0_sel:DWORD src1_sel:BYTE_1
	v_and_b32_sdwa v33, v31, s21 dst_sel:DWORD dst_unused:UNUSED_PAD src0_sel:WORD_1 src1_sel:DWORD
	v_lshlrev_b16_sdwa v31, v21, v31 dst_sel:DWORD dst_unused:UNUSED_PAD src0_sel:DWORD src1_sel:WORD_1
	v_add_u16_e32 v31, 0xe000, v31
	v_or_b32_sdwa v31, v33, v31 dst_sel:DWORD dst_unused:UNUSED_PAD src0_sel:DWORD src1_sel:BYTE_1
	v_add_u16_e32 v32, 0xe000, v32
	v_add_u16_sdwa v31, v31, s22 dst_sel:WORD_1 dst_unused:UNUSED_PAD src0_sel:DWORD src1_sel:DWORD
	v_lshrrev_b32_e32 v27, 4, v27
	v_or_b32_e32 v31, v32, v31
	v_mov_b32_e32 v32, 0
	v_and_b32_e32 v27, 0xf0f0f0f, v27
	s_waitcnt vmcnt(1)
	v_bfe_i32 v30, v30, 0, 8
	v_dot4c_i32_i8_e32 v32, v31, v26
	v_and_or_b32 v27, v29, s20, v27
	v_and_b32_e32 v29, 0x3f00, v27
	s_waitcnt vmcnt(0)
	v_bfe_i32 v28, v28, 0, 8
	v_mul_lo_u32 v26, v32, v30
	v_lshlrev_b16_e32 v30, 8, v27
	v_add_u16_e32 v30, 0xe000, v30
	v_or_b32_sdwa v29, v29, v30 dst_sel:DWORD dst_unused:UNUSED_PAD src0_sel:DWORD src1_sel:BYTE_1
	v_and_b32_sdwa v30, v27, s21 dst_sel:DWORD dst_unused:UNUSED_PAD src0_sel:WORD_1 src1_sel:DWORD
	v_lshlrev_b16_sdwa v27, v21, v27 dst_sel:DWORD dst_unused:UNUSED_PAD src0_sel:DWORD src1_sel:WORD_1
	v_add_u16_e32 v27, 0xe000, v27
	v_or_b32_sdwa v27, v30, v27 dst_sel:DWORD dst_unused:UNUSED_PAD src0_sel:DWORD src1_sel:BYTE_1
	v_add_u16_e32 v29, 0xe000, v29
	v_add_u16_sdwa v27, v27, s22 dst_sel:WORD_1 dst_unused:UNUSED_PAD src0_sel:DWORD src1_sel:DWORD
	v_cvt_f32_i32_e32 v26, v26
	v_or_b32_e32 v27, v29, v27
	v_mov_b32_e32 v29, 0
	v_dot4c_i32_i8_e32 v29, v27, v22
	v_fma_f32 v25, v25, v26, 0
	v_add_u32_e32 v18, 4, v18
	v_cmp_le_u32_e32 vcc, s3, v18
	v_mul_lo_u32 v22, v29, v28
	v_cvt_f32_i32_e32 v22, v22
	s_or_b64 s[18:19], vcc, s[18:19]
	v_lshl_add_u64 v[4:5], v[4:5], 0, s[16:17]
	v_fmac_f32_e32 v25, v24, v22
	v_fma_mix_f32 v19, v25, v23, v19 op_sel_hi:[0,1,0]
	s_andn2_b64 exec, exec, s[18:19]
	s_cbranch_execz .LBB147_16
.LBB147_14:                             ; =>This Inner Loop Header: Depth=1
	v_add_u32_e32 v31, s5, v18
	v_mad_i64_i32 v[24:25], s[24:25], v31, s15, v[6:7]
	v_lshl_add_u64 v[22:23], v[24:25], 0, v[10:11]
	v_lshl_add_u64 v[34:35], v[4:5], 0, v[2:3]
	global_load_dword v29, v[22:23], off offset:128
	global_load_dword v26, v[34:35], off offset:4
	s_nop 0
	global_load_dword v22, v[34:35], off offset:76
	global_load_dword v36, v[4:5], off
	global_load_dword v37, v[4:5], off offset:72
	v_lshl_add_u64 v[32:33], v[24:25], 0, v[8:9]
	v_lshl_add_u64 v[34:35], v[24:25], 0, v[0:1]
	global_load_dword v27, v[32:33], off
	global_load_ushort v23, v[24:25], off offset:208
	global_load_ubyte v30, v[34:35], off offset:192
	global_load_ubyte v28, v[34:35], off offset:196
	s_and_b64 vcc, exec, s[8:9]
	s_waitcnt vmcnt(5)
	v_cvt_f32_f16_e32 v25, v36
	s_waitcnt vmcnt(4)
	v_cvt_f32_f16_e32 v24, v37
	s_cbranch_vccnz .LBB147_13
; %bb.15:                               ;   in Loop: Header=BB147_14 Depth=1
	v_mov_b64_e32 v[32:33], s[36:37]
	v_mad_i64_i32 v[32:33], s[24:25], v31, s15, v[32:33]
	v_lshl_add_u64 v[38:39], v[32:33], 0, v[0:1]
	v_lshl_add_u64 v[34:35], v[32:33], 0, v[8:9]
	;; [unrolled: 1-line block ×3, first 2 shown]
	global_load_sbyte v31, v[38:39], off offset:192
	global_load_sbyte v40, v[38:39], off offset:196
	global_load_dword v41, v[36:37], off offset:128
	global_load_dword v42, v[34:35], off
	global_load_ushort v43, v[32:33], off offset:208
	v_mov_b32_e32 v32, 0
	v_mov_b32_e32 v33, 0
	s_waitcnt vmcnt(2)
	v_ashrrev_i32_e32 v34, v20, v41
	s_waitcnt vmcnt(1)
	v_and_b32_e32 v35, 0xf0f0f0f, v42
	v_lshrrev_b32_e32 v36, 4, v42
	v_lshlrev_b32_e32 v37, 4, v34
	v_and_b32_e32 v36, 0xf0f0f0f, v36
	v_and_or_b32 v35, v37, s20, v35
	v_and_or_b32 v34, v34, s20, v36
	v_and_b32_e32 v36, 0x3f00, v35
	v_lshlrev_b16_e32 v37, 8, v35
	v_and_b32_sdwa v38, v35, s21 dst_sel:DWORD dst_unused:UNUSED_PAD src0_sel:WORD_1 src1_sel:DWORD
	v_lshlrev_b16_sdwa v35, v21, v35 dst_sel:DWORD dst_unused:UNUSED_PAD src0_sel:DWORD src1_sel:WORD_1
	v_and_b32_e32 v39, 0x3f00, v34
	v_lshlrev_b16_e32 v41, 8, v34
	v_and_b32_sdwa v42, v34, s21 dst_sel:DWORD dst_unused:UNUSED_PAD src0_sel:WORD_1 src1_sel:DWORD
	v_lshlrev_b16_sdwa v34, v21, v34 dst_sel:DWORD dst_unused:UNUSED_PAD src0_sel:DWORD src1_sel:WORD_1
	v_add_u16_e32 v37, 0xe000, v37
	v_add_u16_e32 v35, 0xe000, v35
	v_add_u16_e32 v41, 0xe000, v41
	v_add_u16_e32 v34, 0xe000, v34
	v_or_b32_sdwa v36, v36, v37 dst_sel:DWORD dst_unused:UNUSED_PAD src0_sel:DWORD src1_sel:BYTE_1
	v_or_b32_sdwa v35, v38, v35 dst_sel:DWORD dst_unused:UNUSED_PAD src0_sel:DWORD src1_sel:BYTE_1
	;; [unrolled: 1-line block ×4, first 2 shown]
	v_add_u16_e32 v36, 0xe000, v36
	v_add_u16_sdwa v35, v35, s22 dst_sel:WORD_1 dst_unused:UNUSED_PAD src0_sel:DWORD src1_sel:DWORD
	v_add_u16_e32 v37, 0xe000, v37
	v_add_u16_sdwa v34, v34, s22 dst_sel:WORD_1 dst_unused:UNUSED_PAD src0_sel:DWORD src1_sel:DWORD
	v_or_b32_e32 v35, v36, v35
	v_or_b32_e32 v34, v37, v34
	v_dot4c_i32_i8_e32 v32, v35, v26
	v_dot4c_i32_i8_e32 v33, v34, v22
	s_nop 1
	v_mul_lo_u32 v31, v32, v31
	v_cvt_f32_i32_e32 v31, v31
	v_mul_lo_u32 v32, v33, v40
	v_cvt_f32_i32_e32 v32, v32
	v_fma_f32 v31, v25, v31, 0
	v_fmac_f32_e32 v31, v24, v32
	s_waitcnt vmcnt(0)
	v_fma_mix_f32 v17, v31, v43, v17 op_sel_hi:[0,1,0]
	s_branch .LBB147_13
.LBB147_16:
	s_or_b64 exec, exec, s[18:19]
.LBB147_17:
	s_or_b64 exec, exec, s[10:11]
	s_load_dword s3, s[0:1], 0x30
	v_cmp_eq_u32_e64 s[10:11], 0, v16
	v_cmp_ne_u32_e32 vcc, 0, v16
	s_and_saveexec_b64 s[16:17], vcc
	s_cbranch_execz .LBB147_20
; %bb.18:
	v_add_u32_e32 v0, -1, v16
	v_lshl_add_u32 v0, v0, 8, v12
	s_and_b64 vcc, exec, s[8:9]
	ds_write_b32 v0, v19
	s_cbranch_vccnz .LBB147_20
; %bb.19:
	ds_write_b32 v0, v17 offset:256
.LBB147_20:
	s_or_b64 exec, exec, s[16:17]
	s_waitcnt lgkmcnt(0)
	s_barrier
	s_and_saveexec_b64 s[16:17], s[10:11]
	s_cbranch_execz .LBB147_49
; %bb.21:
	ds_read_b32 v0, v12
	s_and_b64 vcc, exec, s[8:9]
	s_cbranch_vccnz .LBB147_23
; %bb.22:
	ds_read_b32 v1, v12 offset:256
	s_waitcnt lgkmcnt(0)
	v_add_f32_e32 v17, v17, v1
.LBB147_23:
	s_waitcnt lgkmcnt(0)
	v_add_f32_e32 v1, v19, v0
	v_mbcnt_lo_u32_b32 v0, -1, 0
	v_mbcnt_hi_u32_b32 v4, -1, v0
	v_and_b32_e32 v0, 64, v4
	v_add_u32_e32 v7, 64, v0
	v_xor_b32_e32 v0, 32, v4
	v_cmp_lt_i32_e32 vcc, v0, v7
	v_xor_b32_e32 v3, 16, v4
	v_xor_b32_e32 v5, 8, v4
	v_cndmask_b32_e32 v0, v4, v0, vcc
	v_lshlrev_b32_e32 v0, 2, v0
	ds_bpermute_b32 v2, v0, v1
	v_cmp_lt_i32_e32 vcc, v3, v7
	v_xor_b32_e32 v6, 4, v4
	v_xor_b32_e32 v8, 2, v4
	;; [unrolled: 1-line block ×3, first 2 shown]
	s_waitcnt lgkmcnt(0)
	v_add_f32_e32 v2, v1, v2
	v_cndmask_b32_e32 v1, v4, v3, vcc
	v_lshlrev_b32_e32 v1, 2, v1
	ds_bpermute_b32 v3, v1, v2
	v_cmp_lt_i32_e32 vcc, v5, v7
	s_waitcnt lgkmcnt(0)
	v_add_f32_e32 v2, v2, v3
	v_cndmask_b32_e32 v3, v4, v5, vcc
	v_lshlrev_b32_e32 v3, 2, v3
	ds_bpermute_b32 v5, v3, v2
	v_cmp_lt_i32_e32 vcc, v6, v7
	;; [unrolled: 6-line block ×4, first 2 shown]
	s_waitcnt lgkmcnt(0)
	v_add_f32_e32 v2, v2, v8
	v_cndmask_b32_e32 v4, v4, v9, vcc
	v_lshlrev_b32_e32 v7, 2, v4
	ds_bpermute_b32 v4, v7, v2
	s_and_b64 vcc, exec, s[8:9]
	s_cbranch_vccnz .LBB147_25
; %bb.24:
	ds_bpermute_b32 v0, v0, v17
	s_waitcnt lgkmcnt(0)
	v_add_f32_e32 v0, v17, v0
	ds_bpermute_b32 v1, v1, v0
	s_waitcnt lgkmcnt(0)
	v_add_f32_e32 v0, v0, v1
	;; [unrolled: 3-line block ×6, first 2 shown]
.LBB147_25:
	v_cmp_eq_u32_e32 vcc, 0, v13
	s_and_b64 exec, exec, vcc
	s_cbranch_execz .LBB147_49
; %bb.26:
	s_waitcnt lgkmcnt(0)
	v_add_f32_e32 v0, v2, v4
	s_waitcnt vmcnt(0)
	v_add_f32_e32 v1, v15, v0
	s_and_b64 vcc, exec, s[8:9]
	v_cndmask_b32_e64 v0, v0, v1, s[12:13]
	s_cbranch_vccnz .LBB147_48
; %bb.27:
	v_add_f32_e32 v1, v14, v17
	v_cndmask_b32_e64 v1, v17, v1, s[6:7]
	s_cmp_lt_i32 s3, 2
	s_mov_b64 s[6:7], 0
	s_cbranch_scc1 .LBB147_31
; %bb.28:
	s_cmp_gt_i32 s3, 2
	s_cbranch_scc0 .LBB147_32
; %bb.29:
	s_cmp_eq_u32 s3, 3
	s_cbranch_scc0 .LBB147_33
; %bb.30:
	v_max_f32_e32 v2, v1, v1
	v_min_f32_e32 v4, 0x40e00000, v2
	v_mul_f32_e32 v3, 0xbfd9db23, v4
	s_mov_b32 s5, 0x3fb8aa3b
	v_mul_f32_e32 v2, 0x3fb8aa3b, v3
	v_fma_f32 v5, v3, s5, -v2
	v_rndne_f32_e32 v6, v2
	v_fmamk_f32 v5, v3, 0x32a5705f, v5
	v_sub_f32_e32 v2, v2, v6
	v_add_f32_e32 v2, v2, v5
	v_exp_f32_e32 v5, v2
	v_cvt_i32_f32_e32 v6, v6
	s_mov_b32 s5, 0xc2ce8ed0
	v_max_f32_e32 v2, v0, v0
	v_cmp_ngt_f32_e32 vcc, s5, v3
	v_ldexp_f32 v5, v5, v6
	s_mov_b32 s5, 0x42b17218
	v_min_f32_e32 v2, 0x40e00000, v2
	v_cndmask_b32_e32 v5, 0, v5, vcc
	v_mov_b32_e32 v6, 0x7f800000
	v_cmp_nlt_f32_e32 vcc, s5, v3
	v_max_f32_e32 v2, 0xc0e00000, v2
	s_nop 0
	v_cndmask_b32_e32 v3, v6, v5, vcc
	v_pk_add_f32 v[2:3], v[2:3], 1.0 op_sel_hi:[1,0]
	s_nop 0
	v_div_scale_f32 v5, s[8:9], v3, v3, v4
	v_rcp_f32_e32 v6, v5
	s_mov_b64 s[8:9], 0
	v_fma_f32 v7, -v5, v6, 1.0
	v_fmac_f32_e32 v6, v7, v6
	v_div_scale_f32 v7, vcc, v4, v3, v4
	v_mul_f32_e32 v8, v7, v6
	v_fma_f32 v9, -v5, v8, v7
	v_fmac_f32_e32 v8, v9, v6
	v_fma_f32 v5, -v5, v8, v7
	v_div_fmas_f32 v5, v5, v6, v8
	v_div_fixup_f32 v3, v5, v3, v4
	v_mul_f32_e32 v2, v2, v3
	s_branch .LBB147_34
.LBB147_31:
                                        ; implicit-def: $vgpr2
	s_mov_b64 s[8:9], 0
	s_cbranch_execnz .LBB147_38
	s_branch .LBB147_39
.LBB147_32:
	s_mov_b64 s[10:11], -1
	s_mov_b64 s[8:9], 0
                                        ; implicit-def: $vgpr2
	s_branch .LBB147_35
.LBB147_33:
	s_mov_b64 s[8:9], -1
                                        ; implicit-def: $vgpr2
.LBB147_34:
	s_mov_b64 s[10:11], 0
.LBB147_35:
	s_and_b64 vcc, exec, s[10:11]
	s_cbranch_vccz .LBB147_37
; %bb.36:
	v_mul_f32_e32 v2, 0xbfb8aa3b, v1
	s_mov_b32 s5, 0xbfb8aa3b
	v_rndne_f32_e32 v3, v2
	v_sub_f32_e32 v4, v2, v3
	v_fma_f32 v2, v1, s5, -v2
	v_fmamk_f32 v2, v1, 0xb2a5705f, v2
	v_add_f32_e32 v2, v4, v2
	v_exp_f32_e32 v2, v2
	v_cvt_i32_f32_e32 v3, v3
	s_mov_b32 s5, 0x42ce8ed0
	v_cmp_nlt_f32_e32 vcc, s5, v1
	s_mov_b32 s5, 0xc2b17218
	v_ldexp_f32 v2, v2, v3
	v_cndmask_b32_e32 v2, 0, v2, vcc
	v_mov_b32_e32 v3, 0x7f800000
	v_cmp_ngt_f32_e32 vcc, s5, v1
	s_nop 1
	v_cndmask_b32_e32 v2, v3, v2, vcc
	v_add_f32_e32 v2, 1.0, v2
	v_div_scale_f32 v3, s[10:11], v2, v2, v1
	v_rcp_f32_e32 v4, v3
	s_nop 0
	v_fma_f32 v5, -v3, v4, 1.0
	v_fmac_f32_e32 v4, v5, v4
	v_div_scale_f32 v5, vcc, v1, v2, v1
	v_mul_f32_e32 v6, v5, v4
	v_fma_f32 v7, -v3, v6, v5
	v_fmac_f32_e32 v6, v7, v4
	v_fma_f32 v3, -v3, v6, v5
	v_div_fmas_f32 v3, v3, v4, v6
	v_div_fixup_f32 v2, v3, v2, v1
	v_mul_f32_e32 v2, v0, v2
.LBB147_37:
	s_branch .LBB147_39
.LBB147_38:
	s_cmp_lg_u32 s3, 1
	s_mov_b64 s[6:7], -1
	s_cselect_b64 s[8:9], -1, 0
                                        ; implicit-def: $vgpr2
.LBB147_39:
	s_andn2_b64 vcc, exec, s[8:9]
	s_cbranch_vccz .LBB147_41
; %bb.40:
	s_andn2_b64 vcc, exec, s[6:7]
	s_cbranch_vccz .LBB147_42
	s_branch .LBB147_47
.LBB147_41:
	v_mul_f32_e32 v2, v0, v1
	s_cbranch_execnz .LBB147_47
.LBB147_42:
	v_mul_f32_e32 v3, 0x3d372713, v1
	v_mul_f32_e32 v2, 0x3f4c422a, v1
	v_fma_f32 v3, v1, v3, 1.0
	v_mul_f32_e32 v2, v2, v3
	s_mov_b32 s3, 0x3f200000
	v_cmp_nlt_f32_e64 s[6:7], |v2|, s3
                                        ; implicit-def: $vgpr3
	s_and_saveexec_b64 s[8:9], s[6:7]
	s_xor_b64 s[6:7], exec, s[8:9]
	s_cbranch_execz .LBB147_44
; %bb.43:
	v_add_f32_e64 v3, |v2|, |v2|
	v_mul_f32_e32 v4, 0x3fb8aa3b, v3
	s_mov_b32 s3, 0x3fb8aa3b
	v_rndne_f32_e32 v5, v4
	v_sub_f32_e32 v6, v4, v5
	v_fma_f32 v4, v3, s3, -v4
	v_fmamk_f32 v4, v3, 0x32a5705f, v4
	v_add_f32_e32 v4, v6, v4
	v_exp_f32_e32 v4, v4
	v_cvt_i32_f32_e32 v5, v5
	s_mov_b32 s3, 0xc2ce8ed0
	v_cmp_ngt_f32_e32 vcc, s3, v3
	s_mov_b32 s3, 0x42b17218
	v_ldexp_f32 v4, v4, v5
	v_cndmask_b32_e32 v4, 0, v4, vcc
	v_mov_b32_e32 v5, 0x7f800000
	v_cmp_nlt_f32_e32 vcc, s3, v3
	s_nop 1
	v_cndmask_b32_e32 v3, v5, v4, vcc
	v_add_f32_e32 v3, 1.0, v3
	v_rcp_f32_e32 v3, v3
	s_nop 0
	v_fma_f32 v3, v3, -2.0, 1.0
.LBB147_44:
	s_andn2_saveexec_b64 s[6:7], s[6:7]
; %bb.45:
	v_mul_f32_e32 v3, v2, v2
	v_mov_b32_e32 v4, 0x3ca908c9
	v_fmac_f32_e32 v4, 0xbbbac73d, v3
	v_fmaak_f32 v4, v3, v4, 0xbd5c1c4e
	v_fmaak_f32 v4, v3, v4, 0x3e088382
	;; [unrolled: 1-line block ×3, first 2 shown]
	v_mul_f32_e64 v4, |v2|, v4
	v_fma_f32 v3, v3, v4, |v2|
; %bb.46:
	s_or_b64 exec, exec, s[6:7]
	s_brev_b32 s3, -2
	v_bfi_b32 v2, s3, v3, v2
	v_mul_f32_e32 v1, 0.5, v1
	v_add_f32_e32 v2, 1.0, v2
	v_mul_f32_e32 v1, v1, v2
	v_mul_f32_e32 v2, v0, v1
.LBB147_47:
	v_mov_b32_e32 v0, v2
.LBB147_48:
	s_load_dwordx2 s[0:1], s[0:1], 0x38
	s_mul_i32 s3, s14, s26
	s_mul_i32 s4, s4, s30
	s_add_i32 s2, s3, s2
	s_add_i32 s2, s2, s4
	s_mov_b32 s3, 0
	s_lshl_b64 s[2:3], s[2:3], 2
	s_waitcnt lgkmcnt(0)
	s_add_u32 s0, s0, s2
	s_addc_u32 s1, s1, s3
	global_store_dword v12, v0, s[0:1]
.LBB147_49:
	s_endpgm
	.section	.rodata,"a",@progbits
	.p2align	6, 0x0
	.amdhsa_kernel _ZL13mul_mat_vec_qIL9ggml_type14ELi1ELb1ELb0EEvPKvS2_PKi31ggml_cuda_mm_fusion_args_devicePfj15HIP_vector_typeIjLj3EEjjjS8_jjjS8_jjjj
		.amdhsa_group_segment_fixed_size 512
		.amdhsa_private_segment_fixed_size 0
		.amdhsa_kernarg_size 144
		.amdhsa_user_sgpr_count 2
		.amdhsa_user_sgpr_dispatch_ptr 0
		.amdhsa_user_sgpr_queue_ptr 0
		.amdhsa_user_sgpr_kernarg_segment_ptr 1
		.amdhsa_user_sgpr_dispatch_id 0
		.amdhsa_user_sgpr_kernarg_preload_length 0
		.amdhsa_user_sgpr_kernarg_preload_offset 0
		.amdhsa_user_sgpr_private_segment_size 0
		.amdhsa_uses_dynamic_stack 0
		.amdhsa_enable_private_segment 0
		.amdhsa_system_sgpr_workgroup_id_x 1
		.amdhsa_system_sgpr_workgroup_id_y 1
		.amdhsa_system_sgpr_workgroup_id_z 1
		.amdhsa_system_sgpr_workgroup_info 0
		.amdhsa_system_vgpr_workitem_id 1
		.amdhsa_next_free_vgpr 44
		.amdhsa_next_free_sgpr 44
		.amdhsa_accum_offset 44
		.amdhsa_reserve_vcc 1
		.amdhsa_float_round_mode_32 0
		.amdhsa_float_round_mode_16_64 0
		.amdhsa_float_denorm_mode_32 3
		.amdhsa_float_denorm_mode_16_64 3
		.amdhsa_dx10_clamp 1
		.amdhsa_ieee_mode 1
		.amdhsa_fp16_overflow 0
		.amdhsa_tg_split 0
		.amdhsa_exception_fp_ieee_invalid_op 0
		.amdhsa_exception_fp_denorm_src 0
		.amdhsa_exception_fp_ieee_div_zero 0
		.amdhsa_exception_fp_ieee_overflow 0
		.amdhsa_exception_fp_ieee_underflow 0
		.amdhsa_exception_fp_ieee_inexact 0
		.amdhsa_exception_int_div_zero 0
	.end_amdhsa_kernel
	.section	.text._ZL13mul_mat_vec_qIL9ggml_type14ELi1ELb1ELb0EEvPKvS2_PKi31ggml_cuda_mm_fusion_args_devicePfj15HIP_vector_typeIjLj3EEjjjS8_jjjS8_jjjj,"axG",@progbits,_ZL13mul_mat_vec_qIL9ggml_type14ELi1ELb1ELb0EEvPKvS2_PKi31ggml_cuda_mm_fusion_args_devicePfj15HIP_vector_typeIjLj3EEjjjS8_jjjS8_jjjj,comdat
.Lfunc_end147:
	.size	_ZL13mul_mat_vec_qIL9ggml_type14ELi1ELb1ELb0EEvPKvS2_PKi31ggml_cuda_mm_fusion_args_devicePfj15HIP_vector_typeIjLj3EEjjjS8_jjjS8_jjjj, .Lfunc_end147-_ZL13mul_mat_vec_qIL9ggml_type14ELi1ELb1ELb0EEvPKvS2_PKi31ggml_cuda_mm_fusion_args_devicePfj15HIP_vector_typeIjLj3EEjjjS8_jjjS8_jjjj
                                        ; -- End function
	.section	.AMDGPU.csdata,"",@progbits
; Kernel info:
; codeLenInByte = 2980
; NumSgprs: 50
; NumVgprs: 44
; NumAgprs: 0
; TotalNumVgprs: 44
; ScratchSize: 0
; MemoryBound: 0
; FloatMode: 240
; IeeeMode: 1
; LDSByteSize: 512 bytes/workgroup (compile time only)
; SGPRBlocks: 6
; VGPRBlocks: 5
; NumSGPRsForWavesPerEU: 50
; NumVGPRsForWavesPerEU: 44
; AccumOffset: 44
; Occupancy: 8
; WaveLimiterHint : 0
; COMPUTE_PGM_RSRC2:SCRATCH_EN: 0
; COMPUTE_PGM_RSRC2:USER_SGPR: 2
; COMPUTE_PGM_RSRC2:TRAP_HANDLER: 0
; COMPUTE_PGM_RSRC2:TGID_X_EN: 1
; COMPUTE_PGM_RSRC2:TGID_Y_EN: 1
; COMPUTE_PGM_RSRC2:TGID_Z_EN: 1
; COMPUTE_PGM_RSRC2:TIDIG_COMP_CNT: 1
; COMPUTE_PGM_RSRC3_GFX90A:ACCUM_OFFSET: 10
; COMPUTE_PGM_RSRC3_GFX90A:TG_SPLIT: 0
	.section	.text._ZL13mul_mat_vec_qIL9ggml_type14ELi1ELb0ELb0EEvPKvS2_PKi31ggml_cuda_mm_fusion_args_devicePfj15HIP_vector_typeIjLj3EEjjjS8_jjjS8_jjjj,"axG",@progbits,_ZL13mul_mat_vec_qIL9ggml_type14ELi1ELb0ELb0EEvPKvS2_PKi31ggml_cuda_mm_fusion_args_devicePfj15HIP_vector_typeIjLj3EEjjjS8_jjjS8_jjjj,comdat
	.globl	_ZL13mul_mat_vec_qIL9ggml_type14ELi1ELb0ELb0EEvPKvS2_PKi31ggml_cuda_mm_fusion_args_devicePfj15HIP_vector_typeIjLj3EEjjjS8_jjjS8_jjjj ; -- Begin function _ZL13mul_mat_vec_qIL9ggml_type14ELi1ELb0ELb0EEvPKvS2_PKi31ggml_cuda_mm_fusion_args_devicePfj15HIP_vector_typeIjLj3EEjjjS8_jjjS8_jjjj
	.p2align	8
	.type	_ZL13mul_mat_vec_qIL9ggml_type14ELi1ELb0ELb0EEvPKvS2_PKi31ggml_cuda_mm_fusion_args_devicePfj15HIP_vector_typeIjLj3EEjjjS8_jjjS8_jjjj,@function
_ZL13mul_mat_vec_qIL9ggml_type14ELi1ELb0ELb0EEvPKvS2_PKi31ggml_cuda_mm_fusion_args_devicePfj15HIP_vector_typeIjLj3EEjjjS8_jjjS8_jjjj: ; @_ZL13mul_mat_vec_qIL9ggml_type14ELi1ELb0ELb0EEvPKvS2_PKi31ggml_cuda_mm_fusion_args_devicePfj15HIP_vector_typeIjLj3EEjjjS8_jjjS8_jjjj
; %bb.0:
	s_load_dwordx2 s[8:9], s[0:1], 0x10
	s_load_dwordx4 s[16:19], s[0:1], 0x40
	s_mov_b32 s20, s3
	s_mov_b64 s[12:13], 0
	s_waitcnt lgkmcnt(0)
	s_cmp_lg_u64 s[8:9], 0
	s_cselect_b64 s[6:7], -1, 0
	s_cmp_eq_u64 s[8:9], 0
	s_cbranch_scc1 .LBB148_5
; %bb.1:
	s_mov_b32 s21, 0
	s_lshl_b64 s[10:11], s[20:21], 2
	s_add_u32 s8, s8, s10
	s_addc_u32 s9, s9, s11
	s_load_dword s5, s[8:9], 0x0
	s_nop 0
	s_load_dwordx4 s[8:11], s[0:1], 0x68
	s_load_dword s21, s[0:1], 0x50
	s_andn2_b64 vcc, exec, s[12:13]
	s_cbranch_vccnz .LBB148_3
.LBB148_2:
	s_load_dwordx2 s[12:13], s[0:1], 0x5c
	s_waitcnt lgkmcnt(0)
	s_mul_hi_u32 s3, s12, s20
	s_add_i32 s3, s20, s3
	s_lshr_b32 s5, s3, s13
.LBB148_3:
	s_load_dword s22, s[0:1], 0x78
	s_andn2_b64 vcc, exec, s[6:7]
	s_cbranch_vccnz .LBB148_6
; %bb.4:
	s_mul_hi_u32 s3, s17, s20
	s_add_i32 s3, s20, s3
	s_lshr_b32 s3, s3, s18
	s_mul_i32 s3, s3, s19
	s_sub_i32 s23, s20, s3
	s_branch .LBB148_7
.LBB148_5:
                                        ; implicit-def: $sgpr5
	s_load_dwordx4 s[8:11], s[0:1], 0x68
	s_load_dword s21, s[0:1], 0x50
	s_branch .LBB148_2
.LBB148_6:
	s_mov_b32 s23, s20
.LBB148_7:
	s_load_dwordx4 s[12:15], s[0:1], 0x80
	v_bfe_u32 v13, v0, 10, 10
	v_and_b32_e32 v12, 0x3ff, v0
	v_lshl_add_u32 v4, v13, 6, v12
	s_lshr_b32 s3, s16, 8
	v_lshrrev_b32_e32 v14, 5, v4
	v_cmp_gt_u32_e32 vcc, s3, v14
	v_mov_b32_e32 v15, 0
	s_and_saveexec_b64 s[6:7], vcc
	s_cbranch_execz .LBB148_11
; %bb.8:
	v_and_b32_e32 v0, 31, v12
	v_add_u32_e32 v1, 0xf0, v0
	v_cmp_gt_u32_e32 vcc, 16, v0
	s_waitcnt lgkmcnt(0)
	s_mul_i32 s5, s5, s8
	s_mul_hi_u32 s8, s11, s4
	v_cndmask_b32_e32 v2, v1, v0, vcc
	v_cmp_lt_u32_e32 vcc, 15, v0
	v_and_b32_e32 v3, 0xf8, v2
	v_lshlrev_b32_e32 v8, 1, v0
	v_cndmask_b32_e64 v5, 0, 1, vcc
	v_lshlrev_b32_e32 v0, 3, v5
	v_and_b32_e32 v6, 7, v12
	s_add_i32 s8, s4, s8
	v_or_b32_e32 v7, v0, v6
	v_cmp_ne_u32_e32 vcc, 0, v3
	s_load_dwordx4 s[16:19], s[0:1], 0x0
	s_lshr_b32 s8, s8, s22
	v_lshlrev_b32_e32 v10, 1, v7
	v_cndmask_b32_e64 v7, 0, 1, vcc
	v_bfe_u32 v2, v2, 2, 6
	s_mul_i32 s8, s8, s12
	v_add_u32_e32 v0, v2, v0
	v_lshlrev_b32_e32 v2, 2, v6
	v_lshrrev_b32_e32 v6, 5, v4
	v_lshl_or_b32 v4, v5, 2, v7
	s_add_i32 s5, s8, s5
	v_mul_hi_u32_u24_e32 v5, 36, v4
	v_mul_u32_u24_e32 v4, 36, v4
	s_movk_i32 s8, 0x120
	s_mul_i32 s15, s2, s21
	s_mul_i32 s11, s4, s13
	s_mul_i32 s12, s23, s9
	v_mad_u64_u32 v[4:5], s[8:9], v6, s8, v[4:5]
	s_add_i32 s5, s5, s15
	s_mul_hi_u32 s8, s11, 36
	s_mul_i32 s11, s11, 36
	s_waitcnt lgkmcnt(0)
	s_add_u32 s11, s18, s11
	s_mul_hi_u32 s9, s12, 36
	s_mul_i32 s12, s12, 36
	s_addc_u32 s13, s19, s8
	s_add_u32 s8, s11, s12
	v_mov_b32_e32 v1, 0
	s_addc_u32 s9, s13, s9
	v_lshlrev_b32_e32 v16, 1, v7
	v_mov_b32_e32 v3, v1
	v_lshl_add_u64 v[4:5], s[8:9], 0, v[4:5]
	s_mov_b64 s[8:9], 0
	s_movk_i32 s11, 0xd2
	v_mov_b64_e32 v[6:7], s[16:17]
	v_lshlrev_b32_e32 v8, 1, v8
	v_lshlrev_b32_e32 v10, 1, v10
	s_mov_b32 s15, 0x30303030
	s_movk_i32 s16, 0x3f00
	s_movk_i32 s17, 0xe000
	s_mov_b64 s[12:13], 0x480
	v_mov_b32_e32 v9, v1
	v_mov_b32_e32 v11, v1
	;; [unrolled: 1-line block ×4, first 2 shown]
.LBB148_9:                              ; =>This Inner Loop Header: Depth=1
	v_add_u32_e32 v18, s5, v14
	v_mad_i64_i32 v[18:19], s[18:19], v18, s11, v[6:7]
	v_lshl_add_u64 v[22:23], v[18:19], 0, v[10:11]
	v_lshl_add_u64 v[20:21], v[18:19], 0, v[8:9]
	global_load_dword v24, v[22:23], off offset:128
	global_load_dword v25, v[20:21], off
	v_lshl_add_u64 v[20:21], v[4:5], 0, v[2:3]
	global_load_dword v22, v[20:21], off offset:4
	global_load_dword v23, v[20:21], off offset:76
	v_lshl_add_u64 v[20:21], v[18:19], 0, v[0:1]
	global_load_sbyte v26, v[20:21], off offset:192
	global_load_sbyte v27, v[20:21], off offset:196
	global_load_dword v28, v[4:5], off
	global_load_dword v29, v[4:5], off offset:72
	global_load_ushort v30, v[18:19], off offset:208
	v_mov_b32_e32 v18, 0
	v_mov_b32_e32 v19, 0
	v_add_u32_e32 v14, 4, v14
	v_cmp_le_u32_e32 vcc, s3, v14
	v_lshl_add_u64 v[4:5], v[4:5], 0, s[12:13]
	s_or_b64 s[8:9], vcc, s[8:9]
	s_waitcnt vmcnt(8)
	v_ashrrev_i32_e32 v20, v16, v24
	s_waitcnt vmcnt(7)
	v_and_b32_e32 v21, 0xf0f0f0f, v25
	v_lshrrev_b32_e32 v24, 4, v25
	v_lshlrev_b32_e32 v25, 4, v20
	v_and_b32_e32 v24, 0xf0f0f0f, v24
	v_and_or_b32 v21, v25, s15, v21
	v_and_or_b32 v20, v20, s15, v24
	v_and_b32_e32 v24, 0x3f00, v21
	v_lshlrev_b16_e32 v25, 8, v21
	v_and_b32_sdwa v31, v21, s16 dst_sel:DWORD dst_unused:UNUSED_PAD src0_sel:WORD_1 src1_sel:DWORD
	v_lshlrev_b16_sdwa v21, v17, v21 dst_sel:DWORD dst_unused:UNUSED_PAD src0_sel:DWORD src1_sel:WORD_1
	v_and_b32_e32 v32, 0x3f00, v20
	v_lshlrev_b16_e32 v33, 8, v20
	v_and_b32_sdwa v34, v20, s16 dst_sel:DWORD dst_unused:UNUSED_PAD src0_sel:WORD_1 src1_sel:DWORD
	v_lshlrev_b16_sdwa v20, v17, v20 dst_sel:DWORD dst_unused:UNUSED_PAD src0_sel:DWORD src1_sel:WORD_1
	v_add_u16_e32 v25, 0xe000, v25
	v_add_u16_e32 v21, 0xe000, v21
	;; [unrolled: 1-line block ×4, first 2 shown]
	v_or_b32_sdwa v24, v24, v25 dst_sel:DWORD dst_unused:UNUSED_PAD src0_sel:DWORD src1_sel:BYTE_1
	v_or_b32_sdwa v21, v31, v21 dst_sel:DWORD dst_unused:UNUSED_PAD src0_sel:DWORD src1_sel:BYTE_1
	;; [unrolled: 1-line block ×4, first 2 shown]
	v_add_u16_e32 v24, 0xe000, v24
	v_add_u16_sdwa v21, v21, s17 dst_sel:WORD_1 dst_unused:UNUSED_PAD src0_sel:DWORD src1_sel:DWORD
	v_add_u16_e32 v25, 0xe000, v25
	v_add_u16_sdwa v20, v20, s17 dst_sel:WORD_1 dst_unused:UNUSED_PAD src0_sel:DWORD src1_sel:DWORD
	v_or_b32_e32 v21, v24, v21
	v_or_b32_e32 v20, v25, v20
	s_waitcnt vmcnt(6)
	v_dot4c_i32_i8_e32 v18, v21, v22
	s_waitcnt vmcnt(5)
	v_dot4c_i32_i8_e32 v19, v20, v23
	s_waitcnt vmcnt(4)
	v_mul_lo_u32 v18, v18, v26
	s_waitcnt vmcnt(3)
	v_mul_lo_u32 v19, v19, v27
	v_cvt_f32_i32_e32 v18, v18
	v_cvt_f32_i32_e32 v19, v19
	s_waitcnt vmcnt(2)
	v_fma_mix_f32 v18, v28, v18, 0 op_sel_hi:[1,0,0]
	s_waitcnt vmcnt(1)
	v_fma_mix_f32 v18, v29, v19, v18 op_sel_hi:[1,0,0]
	;; [unrolled: 2-line block ×3, first 2 shown]
	s_andn2_b64 exec, exec, s[8:9]
	s_cbranch_execnz .LBB148_9
; %bb.10:
	s_or_b64 exec, exec, s[8:9]
.LBB148_11:
	s_or_b64 exec, exec, s[6:7]
	v_cmp_eq_u32_e32 vcc, 0, v13
	v_cmp_ne_u32_e64 s[6:7], 0, v13
	v_lshlrev_b32_e32 v0, 2, v12
	s_waitcnt lgkmcnt(0)
	s_and_saveexec_b64 s[8:9], s[6:7]
	s_cbranch_execz .LBB148_13
; %bb.12:
	v_lshlrev_b32_e32 v1, 8, v13
	s_movk_i32 s3, 0xff00
	v_add3_u32 v1, v1, v0, s3
	ds_write_b32 v1, v15
.LBB148_13:
	s_or_b64 exec, exec, s[8:9]
	s_waitcnt lgkmcnt(0)
	s_barrier
	s_and_saveexec_b64 s[6:7], vcc
	s_cbranch_execz .LBB148_16
; %bb.14:
	v_mbcnt_lo_u32_b32 v1, -1, 0
	ds_read_b32 v0, v0
	v_mbcnt_hi_u32_b32 v1, -1, v1
	v_and_b32_e32 v2, 64, v1
	v_add_u32_e32 v2, 64, v2
	v_xor_b32_e32 v3, 32, v1
	v_cmp_lt_i32_e32 vcc, v3, v2
	s_waitcnt lgkmcnt(0)
	v_add_f32_e32 v0, v15, v0
	s_mov_b32 s3, 0
	v_cndmask_b32_e32 v3, v1, v3, vcc
	v_lshlrev_b32_e32 v3, 2, v3
	ds_bpermute_b32 v3, v3, v0
	s_waitcnt lgkmcnt(0)
	v_add_f32_e32 v0, v0, v3
	v_xor_b32_e32 v3, 16, v1
	v_cmp_lt_i32_e32 vcc, v3, v2
	s_nop 1
	v_cndmask_b32_e32 v3, v1, v3, vcc
	v_lshlrev_b32_e32 v3, 2, v3
	ds_bpermute_b32 v3, v3, v0
	s_waitcnt lgkmcnt(0)
	v_add_f32_e32 v0, v0, v3
	v_xor_b32_e32 v3, 8, v1
	v_cmp_lt_i32_e32 vcc, v3, v2
	s_nop 1
	;; [unrolled: 8-line block ×5, first 2 shown]
	v_cndmask_b32_e32 v1, v1, v3, vcc
	v_lshlrev_b32_e32 v1, 2, v1
	ds_bpermute_b32 v1, v1, v0
	v_cmp_eq_u32_e32 vcc, 0, v12
	s_and_b64 exec, exec, vcc
	s_cbranch_execz .LBB148_16
; %bb.15:
	s_load_dwordx2 s[0:1], s[0:1], 0x38
	s_mul_i32 s5, s20, s10
	s_mul_i32 s4, s4, s14
	s_add_i32 s2, s5, s2
	s_add_i32 s2, s2, s4
	s_lshl_b64 s[2:3], s[2:3], 2
	s_waitcnt lgkmcnt(0)
	s_add_u32 s0, s0, s2
	s_addc_u32 s1, s1, s3
	v_mov_b32_e32 v2, 0
	v_add_f32_e32 v0, v0, v1
	global_store_dword v2, v0, s[0:1]
.LBB148_16:
	s_endpgm
	.section	.rodata,"a",@progbits
	.p2align	6, 0x0
	.amdhsa_kernel _ZL13mul_mat_vec_qIL9ggml_type14ELi1ELb0ELb0EEvPKvS2_PKi31ggml_cuda_mm_fusion_args_devicePfj15HIP_vector_typeIjLj3EEjjjS8_jjjS8_jjjj
		.amdhsa_group_segment_fixed_size 256
		.amdhsa_private_segment_fixed_size 0
		.amdhsa_kernarg_size 144
		.amdhsa_user_sgpr_count 2
		.amdhsa_user_sgpr_dispatch_ptr 0
		.amdhsa_user_sgpr_queue_ptr 0
		.amdhsa_user_sgpr_kernarg_segment_ptr 1
		.amdhsa_user_sgpr_dispatch_id 0
		.amdhsa_user_sgpr_kernarg_preload_length 0
		.amdhsa_user_sgpr_kernarg_preload_offset 0
		.amdhsa_user_sgpr_private_segment_size 0
		.amdhsa_uses_dynamic_stack 0
		.amdhsa_enable_private_segment 0
		.amdhsa_system_sgpr_workgroup_id_x 1
		.amdhsa_system_sgpr_workgroup_id_y 1
		.amdhsa_system_sgpr_workgroup_id_z 1
		.amdhsa_system_sgpr_workgroup_info 0
		.amdhsa_system_vgpr_workitem_id 1
		.amdhsa_next_free_vgpr 35
		.amdhsa_next_free_sgpr 24
		.amdhsa_accum_offset 36
		.amdhsa_reserve_vcc 1
		.amdhsa_float_round_mode_32 0
		.amdhsa_float_round_mode_16_64 0
		.amdhsa_float_denorm_mode_32 3
		.amdhsa_float_denorm_mode_16_64 3
		.amdhsa_dx10_clamp 1
		.amdhsa_ieee_mode 1
		.amdhsa_fp16_overflow 0
		.amdhsa_tg_split 0
		.amdhsa_exception_fp_ieee_invalid_op 0
		.amdhsa_exception_fp_denorm_src 0
		.amdhsa_exception_fp_ieee_div_zero 0
		.amdhsa_exception_fp_ieee_overflow 0
		.amdhsa_exception_fp_ieee_underflow 0
		.amdhsa_exception_fp_ieee_inexact 0
		.amdhsa_exception_int_div_zero 0
	.end_amdhsa_kernel
	.section	.text._ZL13mul_mat_vec_qIL9ggml_type14ELi1ELb0ELb0EEvPKvS2_PKi31ggml_cuda_mm_fusion_args_devicePfj15HIP_vector_typeIjLj3EEjjjS8_jjjS8_jjjj,"axG",@progbits,_ZL13mul_mat_vec_qIL9ggml_type14ELi1ELb0ELb0EEvPKvS2_PKi31ggml_cuda_mm_fusion_args_devicePfj15HIP_vector_typeIjLj3EEjjjS8_jjjS8_jjjj,comdat
.Lfunc_end148:
	.size	_ZL13mul_mat_vec_qIL9ggml_type14ELi1ELb0ELb0EEvPKvS2_PKi31ggml_cuda_mm_fusion_args_devicePfj15HIP_vector_typeIjLj3EEjjjS8_jjjS8_jjjj, .Lfunc_end148-_ZL13mul_mat_vec_qIL9ggml_type14ELi1ELb0ELb0EEvPKvS2_PKi31ggml_cuda_mm_fusion_args_devicePfj15HIP_vector_typeIjLj3EEjjjS8_jjjS8_jjjj
                                        ; -- End function
	.section	.AMDGPU.csdata,"",@progbits
; Kernel info:
; codeLenInByte = 1376
; NumSgprs: 30
; NumVgprs: 35
; NumAgprs: 0
; TotalNumVgprs: 35
; ScratchSize: 0
; MemoryBound: 0
; FloatMode: 240
; IeeeMode: 1
; LDSByteSize: 256 bytes/workgroup (compile time only)
; SGPRBlocks: 3
; VGPRBlocks: 4
; NumSGPRsForWavesPerEU: 30
; NumVGPRsForWavesPerEU: 35
; AccumOffset: 36
; Occupancy: 8
; WaveLimiterHint : 0
; COMPUTE_PGM_RSRC2:SCRATCH_EN: 0
; COMPUTE_PGM_RSRC2:USER_SGPR: 2
; COMPUTE_PGM_RSRC2:TRAP_HANDLER: 0
; COMPUTE_PGM_RSRC2:TGID_X_EN: 1
; COMPUTE_PGM_RSRC2:TGID_Y_EN: 1
; COMPUTE_PGM_RSRC2:TGID_Z_EN: 1
; COMPUTE_PGM_RSRC2:TIDIG_COMP_CNT: 1
; COMPUTE_PGM_RSRC3_GFX90A:ACCUM_OFFSET: 8
; COMPUTE_PGM_RSRC3_GFX90A:TG_SPLIT: 0
	.section	.text._ZL13mul_mat_vec_qIL9ggml_type14ELi2ELb0ELb0EEvPKvS2_PKi31ggml_cuda_mm_fusion_args_devicePfj15HIP_vector_typeIjLj3EEjjjS8_jjjS8_jjjj,"axG",@progbits,_ZL13mul_mat_vec_qIL9ggml_type14ELi2ELb0ELb0EEvPKvS2_PKi31ggml_cuda_mm_fusion_args_devicePfj15HIP_vector_typeIjLj3EEjjjS8_jjjS8_jjjj,comdat
	.globl	_ZL13mul_mat_vec_qIL9ggml_type14ELi2ELb0ELb0EEvPKvS2_PKi31ggml_cuda_mm_fusion_args_devicePfj15HIP_vector_typeIjLj3EEjjjS8_jjjS8_jjjj ; -- Begin function _ZL13mul_mat_vec_qIL9ggml_type14ELi2ELb0ELb0EEvPKvS2_PKi31ggml_cuda_mm_fusion_args_devicePfj15HIP_vector_typeIjLj3EEjjjS8_jjjS8_jjjj
	.p2align	8
	.type	_ZL13mul_mat_vec_qIL9ggml_type14ELi2ELb0ELb0EEvPKvS2_PKi31ggml_cuda_mm_fusion_args_devicePfj15HIP_vector_typeIjLj3EEjjjS8_jjjS8_jjjj,@function
_ZL13mul_mat_vec_qIL9ggml_type14ELi2ELb0ELb0EEvPKvS2_PKi31ggml_cuda_mm_fusion_args_devicePfj15HIP_vector_typeIjLj3EEjjjS8_jjjS8_jjjj: ; @_ZL13mul_mat_vec_qIL9ggml_type14ELi2ELb0ELb0EEvPKvS2_PKi31ggml_cuda_mm_fusion_args_devicePfj15HIP_vector_typeIjLj3EEjjjS8_jjjS8_jjjj
; %bb.0:
	s_load_dwordx2 s[20:21], s[0:1], 0x4
	s_load_dword s7, s[2:3], 0x40
	s_load_dwordx4 s[8:11], s[2:3], 0x50
	s_load_dword s25, s[2:3], 0x60
	s_load_dwordx4 s[12:15], s[2:3], 0x68
	;; [unrolled: 2-line block ×3, first 2 shown]
	s_waitcnt lgkmcnt(0)
	s_lshr_b32 s0, s20, 16
	v_bfe_u32 v24, v0, 10, 10
	v_and_b32_e32 v22, 0x3ff, v0
	s_mul_i32 s0, s0, s21
	v_mul_u32_u24_e32 v1, s21, v24
	v_mad_u32_u24 v1, s0, v22, v1
	v_bfe_u32 v0, v0, 20, 10
	v_add_lshl_u32 v4, v1, v0, 4
	v_mov_b32_e32 v0, 0
	v_lshl_add_u32 v5, v24, 6, v22
	v_mov_b32_e32 v1, v0
	v_mov_b32_e32 v2, v0
	;; [unrolled: 1-line block ×3, first 2 shown]
	s_lshr_b32 s7, s7, 8
	ds_write_b128 v4, v[0:3] offset:1024
	v_lshrrev_b32_e32 v1, 5, v5
	v_add_u32_e32 v23, 0x400, v4
	s_lshl_b32 s4, s4, 1
	v_cmp_gt_u32_e32 vcc, s7, v1
	v_mov_b32_e32 v9, v0
	v_mov_b32_e32 v8, v0
	s_and_saveexec_b64 s[0:1], vcc
	s_cbranch_execz .LBB149_4
; %bb.1:
	s_mul_hi_u32 s11, s11, s5
	s_add_i32 s11, s5, s11
	s_load_dwordx4 s[20:23], s[2:3], 0x0
	s_lshr_b32 s11, s11, s25
	s_mul_i32 s11, s11, s12
	s_mul_hi_u32 s12, s15, s6
	s_add_i32 s12, s6, s12
	s_lshr_b32 s12, s12, s24
	s_mul_i32 s19, s6, s17
	s_mul_i32 s15, s12, s16
	;; [unrolled: 1-line block ×3, first 2 shown]
	s_mul_hi_u32 s12, s19, 36
	s_waitcnt lgkmcnt(0)
	s_add_u32 s16, s22, s16
	s_addc_u32 s17, s23, s12
	s_mul_i32 s12, s5, s13
	v_and_b32_e32 v4, 15, v22
	s_mul_hi_u32 s13, s12, 36
	s_mul_i32 s12, s12, 36
	v_bfe_u32 v2, v22, 4, 1
	v_lshrrev_b16_e32 v3, 3, v4
	s_add_u32 s16, s16, s12
	v_lshl_or_b32 v9, v2, 2, v3
	v_lshlrev_b32_e32 v10, 3, v2
	v_and_b32_e32 v2, 7, v22
	s_addc_u32 s17, s17, s13
	v_or_b32_e32 v6, v10, v2
	v_lshlrev_b32_e32 v8, 1, v6
	v_mad_u64_u32 v[6:7], s[16:17], v9, 36, s[16:17]
	s_movk_i32 s17, 0x120
	v_mov_b64_e32 v[12:13], s[12:13]
	v_mad_u64_u32 v[12:13], s[12:13], v1, s17, v[12:13]
	v_and_b32_e32 v0, 31, v22
	v_mad_u64_u32 v[12:13], s[12:13], s19, 36, v[12:13]
	v_lshl_add_u32 v25, v1, 3, s9
	s_add_i32 s9, s4, 1
	v_lshlrev_b32_e32 v0, 1, v0
	v_mov_b32_e32 v5, 0
	v_lshrrev_b16_e32 v4, 2, v4
	s_mul_i32 s16, s4, s8
	v_mad_u64_u32 v[12:13], s[12:13], v9, 36, v[12:13]
	s_add_i32 s15, s15, s11
	s_mul_i32 s8, s8, s9
	v_lshlrev_b32_e32 v3, 1, v3
	v_or_b32_e32 v4, v10, v4
	v_lshlrev_b32_e32 v10, 2, v2
	v_mov_b32_e32 v11, v5
	v_lshl_add_u64 v[12:13], s[22:23], 0, v[12:13]
	s_add_i32 s11, s15, s16
	s_add_i32 s15, s15, s8
	s_mov_b64 s[8:9], 0
	s_movk_i32 s16, 0xd2
	v_mov_b64_e32 v[14:15], s[20:21]
	v_lshlrev_b32_e32 v16, 1, v0
	v_lshlrev_b32_e32 v18, 1, v8
	s_mov_b32 s17, 0x30303030
	s_movk_i32 s19, 0x3f00
	s_movk_i32 s20, 0xe000
	v_lshlrev_b32_e32 v20, 2, v2
	s_mov_b64 s[12:13], 0x480
	v_mov_b32_e32 v17, v5
	v_mov_b32_e32 v19, v5
	;; [unrolled: 1-line block ×8, first 2 shown]
.LBB149_2:                              ; =>This Inner Loop Header: Depth=1
	v_add_u32_e32 v27, s11, v1
	v_lshl_add_u64 v[28:29], v[12:13], 0, v[10:11]
	global_load_dword v44, v[12:13], off
	global_load_dword v45, v[12:13], off offset:72
	v_add_u32_e32 v32, s15, v1
	v_mad_u64_u32 v[30:31], s[22:23], v25, 36, v[6:7]
	global_load_dword v53, v[28:29], off offset:4
	global_load_dword v54, v[28:29], off offset:76
	v_mad_i64_i32 v[28:29], s[22:23], v27, s16, v[14:15]
	v_mad_i64_i32 v[32:33], s[22:23], v32, s16, v[14:15]
	v_lshl_add_u64 v[34:35], v[30:31], 0, v[20:21]
	v_lshl_add_u64 v[38:39], v[28:29], 0, v[18:19]
	;; [unrolled: 1-line block ×3, first 2 shown]
	global_load_dword v27, v[30:31], off
	v_lshl_add_u64 v[36:37], v[28:29], 0, v[16:17]
	v_lshl_add_u64 v[42:43], v[32:33], 0, v[16:17]
	global_load_dword v55, v[34:35], off offset:76
	global_load_dword v56, v[34:35], off offset:4
	v_lshl_add_u64 v[34:35], v[32:33], 0, v[18:19]
	global_load_dword v57, v[30:31], off offset:72
	global_load_sbyte v58, v[40:41], off offset:192
	global_load_sbyte v59, v[40:41], off offset:196
	global_load_ushort v60, v[32:33], off offset:208
	v_lshl_add_u64 v[30:31], v[32:33], 0, v[4:5]
	global_load_dword v32, v[38:39], off offset:128
	global_load_dword v33, v[36:37], off
	global_load_dword v40, v[34:35], off offset:128
	global_load_dword v41, v[42:43], off
	global_load_ushort v61, v[28:29], off offset:208
	global_load_sbyte v62, v[30:31], off offset:192
	global_load_sbyte v63, v[30:31], off offset:196
	v_mov_b32_e32 v46, 0
	v_mov_b32_e32 v47, 0
	;; [unrolled: 1-line block ×7, first 2 shown]
	v_add_u32_e32 v1, 4, v1
	v_cmp_le_u32_e32 vcc, s7, v1
	v_lshl_add_u64 v[12:13], v[12:13], 0, s[12:13]
	v_add_u32_e32 v25, 32, v25
	s_or_b64 s[8:9], vcc, s[8:9]
	s_waitcnt vmcnt(6)
	v_ashrrev_i32_e32 v28, v3, v32
	s_waitcnt vmcnt(5)
	v_and_b32_e32 v29, 0xf0f0f0f, v33
	v_lshrrev_b32_e32 v30, 4, v33
	s_waitcnt vmcnt(3)
	v_lshrrev_b32_e32 v33, 4, v41
	v_lshlrev_b32_e32 v34, 4, v28
	v_ashrrev_i32_e32 v31, v3, v40
	v_and_b32_e32 v33, 0xf0f0f0f, v33
	v_and_or_b32 v29, v34, s17, v29
	v_and_b32_e32 v32, 0xf0f0f0f, v41
	v_and_b32_e32 v30, 0xf0f0f0f, v30
	v_lshlrev_b32_e32 v35, 4, v31
	v_and_or_b32 v31, v31, s17, v33
	v_lshlrev_b16_e32 v33, 8, v29
	v_and_or_b32 v28, v28, s17, v30
	v_and_or_b32 v30, v35, s17, v32
	v_and_b32_e32 v32, 0x3f00, v29
	v_add_u16_e32 v33, 0xe000, v33
	v_and_b32_sdwa v34, v29, s19 dst_sel:DWORD dst_unused:UNUSED_PAD src0_sel:WORD_1 src1_sel:DWORD
	v_lshlrev_b16_sdwa v29, v26, v29 dst_sel:DWORD dst_unused:UNUSED_PAD src0_sel:DWORD src1_sel:WORD_1
	v_and_b32_e32 v35, 0x3f00, v28
	v_lshlrev_b16_e32 v36, 8, v28
	v_or_b32_sdwa v32, v32, v33 dst_sel:DWORD dst_unused:UNUSED_PAD src0_sel:DWORD src1_sel:BYTE_1
	v_and_b32_sdwa v33, v28, s19 dst_sel:DWORD dst_unused:UNUSED_PAD src0_sel:WORD_1 src1_sel:DWORD
	v_lshlrev_b16_sdwa v28, v26, v28 dst_sel:DWORD dst_unused:UNUSED_PAD src0_sel:DWORD src1_sel:WORD_1
	v_add_u16_e32 v29, 0xe000, v29
	v_add_u16_e32 v36, 0xe000, v36
	;; [unrolled: 1-line block ×3, first 2 shown]
	v_or_b32_sdwa v29, v34, v29 dst_sel:DWORD dst_unused:UNUSED_PAD src0_sel:DWORD src1_sel:BYTE_1
	v_and_b32_e32 v34, 0x3f00, v30
	v_or_b32_sdwa v35, v35, v36 dst_sel:DWORD dst_unused:UNUSED_PAD src0_sel:DWORD src1_sel:BYTE_1
	v_lshlrev_b16_e32 v36, 8, v30
	v_or_b32_sdwa v28, v33, v28 dst_sel:DWORD dst_unused:UNUSED_PAD src0_sel:DWORD src1_sel:BYTE_1
	v_and_b32_sdwa v33, v30, s19 dst_sel:DWORD dst_unused:UNUSED_PAD src0_sel:WORD_1 src1_sel:DWORD
	v_lshlrev_b16_sdwa v30, v26, v30 dst_sel:DWORD dst_unused:UNUSED_PAD src0_sel:DWORD src1_sel:WORD_1
	v_add_u16_e32 v30, 0xe000, v30
	v_add_u16_e32 v36, 0xe000, v36
	v_or_b32_sdwa v30, v33, v30 dst_sel:DWORD dst_unused:UNUSED_PAD src0_sel:DWORD src1_sel:BYTE_1
	v_lshlrev_b16_e32 v33, 8, v31
	v_or_b32_sdwa v34, v34, v36 dst_sel:DWORD dst_unused:UNUSED_PAD src0_sel:DWORD src1_sel:BYTE_1
	v_and_b32_e32 v36, 0x3f00, v31
	v_add_u16_e32 v33, 0xe000, v33
	v_or_b32_sdwa v33, v36, v33 dst_sel:DWORD dst_unused:UNUSED_PAD src0_sel:DWORD src1_sel:BYTE_1
	v_and_b32_sdwa v36, v31, s19 dst_sel:DWORD dst_unused:UNUSED_PAD src0_sel:WORD_1 src1_sel:DWORD
	v_lshlrev_b16_sdwa v31, v26, v31 dst_sel:DWORD dst_unused:UNUSED_PAD src0_sel:DWORD src1_sel:WORD_1
	v_add_u16_e32 v31, 0xe000, v31
	v_add_u16_e32 v32, 0xe000, v32
	v_add_u16_sdwa v29, v29, s20 dst_sel:WORD_1 dst_unused:UNUSED_PAD src0_sel:DWORD src1_sel:DWORD
	v_or_b32_sdwa v31, v36, v31 dst_sel:DWORD dst_unused:UNUSED_PAD src0_sel:DWORD src1_sel:BYTE_1
	v_add_u16_e32 v35, 0xe000, v35
	v_add_u16_sdwa v28, v28, s20 dst_sel:WORD_1 dst_unused:UNUSED_PAD src0_sel:DWORD src1_sel:DWORD
	v_or_b32_e32 v37, v32, v29
	v_add_u16_e32 v29, 0xe000, v34
	v_add_u16_sdwa v30, v30, s20 dst_sel:WORD_1 dst_unused:UNUSED_PAD src0_sel:DWORD src1_sel:DWORD
	v_or_b32_e32 v35, v35, v28
	;; [unrolled: 3-line block ×3, first 2 shown]
	v_mov_b32_e32 v36, 0
	v_or_b32_e32 v38, v32, v31
	v_dot4c_i32_i8_e32 v46, v37, v53
	v_dot4c_i32_i8_e32 v47, v35, v54
	v_dot4c_i32_i8_e32 v48, v34, v53
	v_dot4c_i32_i8_e32 v50, v37, v56
	v_dot4c_i32_i8_e32 v52, v34, v56
	v_dot4c_i32_i8_e32 v49, v38, v54
	v_dot4c_i32_i8_e32 v51, v35, v55
	v_dot4c_i32_i8_e32 v36, v38, v55
	v_mul_lo_u32 v34, v46, v58
	v_mul_lo_u32 v35, v47, v59
	s_waitcnt vmcnt(1)
	v_mul_lo_u32 v37, v48, v62
	v_mul_lo_u32 v38, v50, v58
	;; [unrolled: 1-line block ×3, first 2 shown]
	v_cvt_f32_f16_e32 v28, v44
	v_cvt_f32_f16_e32 v29, v27
	s_waitcnt vmcnt(0)
	v_mul_lo_u32 v39, v49, v63
	v_mul_lo_u32 v40, v51, v59
	v_mul_lo_u32 v42, v36, v63
	v_cvt_f32_i32_e32 v43, v34
	v_cvt_f32_i32_e32 v46, v35
	;; [unrolled: 1-line block ×5, first 2 shown]
	v_cvt_f32_f16_e32 v30, v45
	v_cvt_f32_f16_e32 v31, v57
	v_cvt_f32_i32_e32 v37, v40
	v_cvt_f32_i32_e32 v36, v39
	;; [unrolled: 1-line block ×3, first 2 shown]
	v_cvt_f32_f16_e32 v33, v61
	v_cvt_f32_f16_e32 v32, v60
	v_fma_mix_f32 v40, v44, v43, 0 op_sel_hi:[1,0,0]
	v_pk_fma_f32 v[28:29], v[28:29], v[34:35], 0 op_sel_hi:[1,1,0]
	v_fma_mix_f32 v27, v27, v38, 0 op_sel_hi:[1,0,0]
	v_fma_mix_f32 v34, v45, v46, v40 op_sel_hi:[1,0,0]
	v_pk_fma_f32 v[28:29], v[30:31], v[36:37], v[28:29]
	v_fma_mix_f32 v27, v57, v39, v27 op_sel_hi:[1,0,0]
	v_fma_mix_f32 v2, v34, v61, v2 op_sel_hi:[0,1,0]
	v_pk_fma_f32 v[8:9], v[28:29], v[32:33], v[8:9]
	v_fma_mix_f32 v0, v27, v60, v0 op_sel_hi:[0,1,0]
	s_andn2_b64 exec, exec, s[8:9]
	s_cbranch_execnz .LBB149_2
; %bb.3:
	s_or_b64 exec, exec, s[8:9]
	v_mov_b32_e32 v3, v8
	v_mov_b32_e32 v4, v9
	;; [unrolled: 1-line block ×3, first 2 shown]
	ds_write_b128 v23, v[2:5]
.LBB149_4:
	s_or_b64 exec, exec, s[0:1]
	v_cmp_eq_u32_e32 vcc, 0, v24
	v_cmp_ne_u32_e64 s[0:1], 0, v24
	v_lshlrev_b32_e32 v1, 2, v22
	s_and_saveexec_b64 s[8:9], s[0:1]
	s_cbranch_execz .LBB149_6
; %bb.5:
	v_lshl_or_b32 v3, v24, 10, v1
	v_add_u32_e32 v3, 0xfffffc00, v3
	ds_write2st64_b32 v3, v2, v8 offset1:1
	ds_write2st64_b32 v3, v9, v0 offset0:2 offset1:3
.LBB149_6:
	s_or_b64 exec, exec, s[8:9]
	s_waitcnt lgkmcnt(0)
	s_barrier
	s_and_saveexec_b64 s[0:1], vcc
	s_cbranch_execz .LBB149_11
; %bb.7:
	v_mbcnt_lo_u32_b32 v0, -1, 0
	v_mbcnt_hi_u32_b32 v12, -1, v0
	ds_read2st64_b32 v[2:3], v1 offset1:1
	ds_read_b64 v[4:5], v23
	v_and_b32_e32 v0, 64, v12
	v_add_u32_e32 v13, 64, v0
	v_xor_b32_e32 v0, 32, v12
	v_cmp_lt_i32_e32 vcc, v0, v13
	s_waitcnt lgkmcnt(0)
	v_pk_add_f32 v[4:5], v[2:3], v[4:5]
	v_xor_b32_e32 v2, 16, v12
	v_cndmask_b32_e32 v0, v12, v0, vcc
	v_lshlrev_b32_e32 v0, 2, v0
	ds_bpermute_b32 v6, v0, v4
	ds_bpermute_b32 v7, v0, v5
	v_cmp_lt_i32_e32 vcc, v2, v13
	v_xor_b32_e32 v3, 8, v12
	s_load_dwordx2 s[0:1], s[2:3], 0x38
	v_cndmask_b32_e32 v2, v12, v2, vcc
	v_lshlrev_b32_e32 v2, 2, v2
	s_waitcnt lgkmcnt(0)
	v_pk_add_f32 v[4:5], v[4:5], v[6:7]
	ds_bpermute_b32 v6, v2, v4
	ds_bpermute_b32 v7, v2, v5
	v_cmp_lt_i32_e32 vcc, v3, v13
	s_mul_i32 s2, s5, s14
	s_mul_i32 s6, s6, s18
	v_cndmask_b32_e32 v3, v12, v3, vcc
	v_lshlrev_b32_e32 v3, 2, v3
	s_waitcnt lgkmcnt(0)
	v_pk_add_f32 v[6:7], v[4:5], v[6:7]
	ds_bpermute_b32 v8, v3, v6
	ds_bpermute_b32 v9, v3, v7
	v_xor_b32_e32 v4, 4, v12
	v_cmp_lt_i32_e32 vcc, v4, v13
	v_xor_b32_e32 v5, 2, v12
	s_add_i32 s2, s2, s4
	v_cndmask_b32_e32 v4, v12, v4, vcc
	v_lshlrev_b32_e32 v4, 2, v4
	s_waitcnt lgkmcnt(0)
	v_pk_add_f32 v[6:7], v[6:7], v[8:9]
	ds_bpermute_b32 v8, v4, v6
	ds_bpermute_b32 v9, v4, v7
	v_cmp_lt_i32_e32 vcc, v5, v13
	s_add_i32 s2, s2, s6
	s_mov_b32 s3, 0
	v_cndmask_b32_e32 v5, v12, v5, vcc
	v_lshlrev_b32_e32 v5, 2, v5
	s_waitcnt lgkmcnt(0)
	v_pk_add_f32 v[8:9], v[6:7], v[8:9]
	ds_bpermute_b32 v10, v5, v8
	ds_bpermute_b32 v11, v5, v9
	v_xor_b32_e32 v6, 1, v12
	v_cmp_lt_i32_e32 vcc, v6, v13
	s_lshl_b64 s[2:3], s[2:3], 2
	s_add_u32 s2, s0, s2
	v_cndmask_b32_e32 v6, v12, v6, vcc
	v_lshlrev_b32_e32 v6, 2, v6
	s_waitcnt lgkmcnt(0)
	v_pk_add_f32 v[8:9], v[8:9], v[10:11]
	ds_bpermute_b32 v10, v6, v8
	ds_bpermute_b32 v11, v6, v9
	v_or_b32_e32 v7, s4, v22
	s_addc_u32 s3, s1, s3
	v_cmp_gt_u32_e32 vcc, 2, v22
	v_cmp_gt_u32_e64 s[0:1], s10, v7
	s_and_b64 s[0:1], vcc, s[0:1]
	s_waitcnt lgkmcnt(0)
	v_pk_add_f32 v[8:9], v[8:9], v[10:11]
	ds_write_b64 v23, v[8:9]
	s_and_saveexec_b64 s[4:5], s[0:1]
	s_cbranch_execz .LBB149_9
; %bb.8:
	v_add_u32_e32 v7, v23, v1
	ds_read_b32 v7, v7
	s_waitcnt lgkmcnt(0)
	global_store_dword v1, v7, s[2:3]
.LBB149_9:
	s_or_b64 exec, exec, s[4:5]
	ds_read2st64_b32 v[8:9], v1 offset0:2 offset1:3
	ds_read_b64 v[10:11], v23 offset:8
	s_waitcnt lgkmcnt(0)
	v_pk_add_f32 v[8:9], v[8:9], v[10:11]
	ds_bpermute_b32 v10, v0, v8
	ds_bpermute_b32 v11, v0, v9
	s_waitcnt lgkmcnt(0)
	v_pk_add_f32 v[0:1], v[8:9], v[10:11]
	ds_bpermute_b32 v8, v2, v0
	ds_bpermute_b32 v9, v2, v1
	;; [unrolled: 4-line block ×6, first 2 shown]
	s_waitcnt lgkmcnt(0)
	v_pk_add_f32 v[0:1], v[0:1], v[2:3]
	ds_write_b64 v23, v[0:1] offset:8
	s_and_b64 exec, exec, s[0:1]
	s_cbranch_execz .LBB149_11
; %bb.10:
	v_lshl_add_u32 v0, v22, 2, v23
	ds_read_b32 v2, v0 offset:8
	v_add_u32_e32 v0, s10, v22
	v_mov_b32_e32 v1, 0
	v_lshl_add_u64 v[0:1], v[0:1], 2, s[2:3]
	s_waitcnt lgkmcnt(0)
	global_store_dword v[0:1], v2, off
.LBB149_11:
	s_endpgm
	.section	.rodata,"a",@progbits
	.p2align	6, 0x0
	.amdhsa_kernel _ZL13mul_mat_vec_qIL9ggml_type14ELi2ELb0ELb0EEvPKvS2_PKi31ggml_cuda_mm_fusion_args_devicePfj15HIP_vector_typeIjLj3EEjjjS8_jjjS8_jjjj
		.amdhsa_group_segment_fixed_size 3072
		.amdhsa_private_segment_fixed_size 0
		.amdhsa_kernarg_size 144
		.amdhsa_user_sgpr_count 4
		.amdhsa_user_sgpr_dispatch_ptr 1
		.amdhsa_user_sgpr_queue_ptr 0
		.amdhsa_user_sgpr_kernarg_segment_ptr 1
		.amdhsa_user_sgpr_dispatch_id 0
		.amdhsa_user_sgpr_kernarg_preload_length 0
		.amdhsa_user_sgpr_kernarg_preload_offset 0
		.amdhsa_user_sgpr_private_segment_size 0
		.amdhsa_uses_dynamic_stack 0
		.amdhsa_enable_private_segment 0
		.amdhsa_system_sgpr_workgroup_id_x 1
		.amdhsa_system_sgpr_workgroup_id_y 1
		.amdhsa_system_sgpr_workgroup_id_z 1
		.amdhsa_system_sgpr_workgroup_info 0
		.amdhsa_system_vgpr_workitem_id 2
		.amdhsa_next_free_vgpr 64
		.amdhsa_next_free_sgpr 26
		.amdhsa_accum_offset 64
		.amdhsa_reserve_vcc 1
		.amdhsa_float_round_mode_32 0
		.amdhsa_float_round_mode_16_64 0
		.amdhsa_float_denorm_mode_32 3
		.amdhsa_float_denorm_mode_16_64 3
		.amdhsa_dx10_clamp 1
		.amdhsa_ieee_mode 1
		.amdhsa_fp16_overflow 0
		.amdhsa_tg_split 0
		.amdhsa_exception_fp_ieee_invalid_op 0
		.amdhsa_exception_fp_denorm_src 0
		.amdhsa_exception_fp_ieee_div_zero 0
		.amdhsa_exception_fp_ieee_overflow 0
		.amdhsa_exception_fp_ieee_underflow 0
		.amdhsa_exception_fp_ieee_inexact 0
		.amdhsa_exception_int_div_zero 0
	.end_amdhsa_kernel
	.section	.text._ZL13mul_mat_vec_qIL9ggml_type14ELi2ELb0ELb0EEvPKvS2_PKi31ggml_cuda_mm_fusion_args_devicePfj15HIP_vector_typeIjLj3EEjjjS8_jjjS8_jjjj,"axG",@progbits,_ZL13mul_mat_vec_qIL9ggml_type14ELi2ELb0ELb0EEvPKvS2_PKi31ggml_cuda_mm_fusion_args_devicePfj15HIP_vector_typeIjLj3EEjjjS8_jjjS8_jjjj,comdat
.Lfunc_end149:
	.size	_ZL13mul_mat_vec_qIL9ggml_type14ELi2ELb0ELb0EEvPKvS2_PKi31ggml_cuda_mm_fusion_args_devicePfj15HIP_vector_typeIjLj3EEjjjS8_jjjS8_jjjj, .Lfunc_end149-_ZL13mul_mat_vec_qIL9ggml_type14ELi2ELb0ELb0EEvPKvS2_PKi31ggml_cuda_mm_fusion_args_devicePfj15HIP_vector_typeIjLj3EEjjjS8_jjjS8_jjjj
                                        ; -- End function
	.section	.AMDGPU.csdata,"",@progbits
; Kernel info:
; codeLenInByte = 2240
; NumSgprs: 32
; NumVgprs: 64
; NumAgprs: 0
; TotalNumVgprs: 64
; ScratchSize: 0
; MemoryBound: 0
; FloatMode: 240
; IeeeMode: 1
; LDSByteSize: 3072 bytes/workgroup (compile time only)
; SGPRBlocks: 3
; VGPRBlocks: 7
; NumSGPRsForWavesPerEU: 32
; NumVGPRsForWavesPerEU: 64
; AccumOffset: 64
; Occupancy: 8
; WaveLimiterHint : 0
; COMPUTE_PGM_RSRC2:SCRATCH_EN: 0
; COMPUTE_PGM_RSRC2:USER_SGPR: 4
; COMPUTE_PGM_RSRC2:TRAP_HANDLER: 0
; COMPUTE_PGM_RSRC2:TGID_X_EN: 1
; COMPUTE_PGM_RSRC2:TGID_Y_EN: 1
; COMPUTE_PGM_RSRC2:TGID_Z_EN: 1
; COMPUTE_PGM_RSRC2:TIDIG_COMP_CNT: 2
; COMPUTE_PGM_RSRC3_GFX90A:ACCUM_OFFSET: 15
; COMPUTE_PGM_RSRC3_GFX90A:TG_SPLIT: 0
	.section	.text._ZL13mul_mat_vec_qIL9ggml_type14ELi3ELb0ELb0EEvPKvS2_PKi31ggml_cuda_mm_fusion_args_devicePfj15HIP_vector_typeIjLj3EEjjjS8_jjjS8_jjjj,"axG",@progbits,_ZL13mul_mat_vec_qIL9ggml_type14ELi3ELb0ELb0EEvPKvS2_PKi31ggml_cuda_mm_fusion_args_devicePfj15HIP_vector_typeIjLj3EEjjjS8_jjjS8_jjjj,comdat
	.globl	_ZL13mul_mat_vec_qIL9ggml_type14ELi3ELb0ELb0EEvPKvS2_PKi31ggml_cuda_mm_fusion_args_devicePfj15HIP_vector_typeIjLj3EEjjjS8_jjjS8_jjjj ; -- Begin function _ZL13mul_mat_vec_qIL9ggml_type14ELi3ELb0ELb0EEvPKvS2_PKi31ggml_cuda_mm_fusion_args_devicePfj15HIP_vector_typeIjLj3EEjjjS8_jjjS8_jjjj
	.p2align	8
	.type	_ZL13mul_mat_vec_qIL9ggml_type14ELi3ELb0ELb0EEvPKvS2_PKi31ggml_cuda_mm_fusion_args_devicePfj15HIP_vector_typeIjLj3EEjjjS8_jjjS8_jjjj,@function
_ZL13mul_mat_vec_qIL9ggml_type14ELi3ELb0ELb0EEvPKvS2_PKi31ggml_cuda_mm_fusion_args_devicePfj15HIP_vector_typeIjLj3EEjjjS8_jjjS8_jjjj: ; @_ZL13mul_mat_vec_qIL9ggml_type14ELi3ELb0ELb0EEvPKvS2_PKi31ggml_cuda_mm_fusion_args_devicePfj15HIP_vector_typeIjLj3EEjjjS8_jjjS8_jjjj
; %bb.0:
	v_bfe_u32 v25, v0, 10, 10
	v_and_b32_e32 v24, 0x3ff, v0
	v_mov_b32_e32 v0, 0
	v_lshl_add_u32 v4, v25, 6, v24
	v_mov_b32_e32 v1, v0
	v_mov_b32_e32 v2, v0
	;; [unrolled: 1-line block ×3, first 2 shown]
	s_load_dword s6, s[0:1], 0x40
	s_load_dwordx4 s[8:11], s[0:1], 0x50
	s_load_dword s25, s[0:1], 0x60
	s_load_dwordx4 s[12:15], s[0:1], 0x68
	;; [unrolled: 2-line block ×3, first 2 shown]
	s_lshl_b32 s5, s2, 1
	s_waitcnt lgkmcnt(0)
	s_lshr_b32 s2, s6, 8
	scratch_store_dwordx4 off, v[0:3], off
	v_mov_b32_e32 v10, v0
	v_mov_b32_e32 v11, v0
	v_lshrrev_b32_e32 v3, 5, v4
	v_cmp_gt_u32_e32 vcc, s2, v3
	v_mov_b32_e32 v5, v0
	scratch_store_dwordx2 off, v[0:1], off offset:16
	s_and_saveexec_b64 s[6:7], vcc
	s_cbranch_execz .LBB150_4
; %bb.1:
	s_mul_hi_u32 s11, s11, s3
	s_add_i32 s11, s3, s11
	s_load_dwordx4 s[20:23], s[0:1], 0x0
	s_lshr_b32 s11, s11, s25
	s_mul_i32 s11, s11, s12
	s_mul_hi_u32 s12, s15, s4
	s_add_i32 s12, s4, s12
	s_lshr_b32 s12, s12, s24
	s_mul_i32 s19, s4, s17
	s_mul_i32 s15, s12, s16
	;; [unrolled: 1-line block ×3, first 2 shown]
	s_mul_hi_u32 s12, s19, 36
	s_waitcnt lgkmcnt(0)
	s_add_u32 s16, s22, s16
	s_addc_u32 s17, s23, s12
	s_mul_i32 s12, s3, s13
	s_mul_hi_u32 s13, s12, 36
	s_mul_i32 s12, s12, 36
	v_and_b32_e32 v5, 15, v24
	s_add_u32 s16, s16, s12
	v_bfe_u32 v1, v24, 4, 1
	v_lshrrev_b16_e32 v4, 3, v5
	s_addc_u32 s17, s17, s13
	v_lshl_or_b32 v11, v1, 2, v4
	v_lshlrev_b32_e32 v1, 3, v1
	v_and_b32_e32 v2, 7, v24
	v_mad_u64_u32 v[8:9], s[16:17], v11, 36, s[16:17]
	v_or_b32_e32 v6, v1, v2
	v_lshrrev_b16_e32 v5, 2, v5
	s_movk_i32 s17, 0x120
	v_mov_b64_e32 v[14:15], s[12:13]
	v_lshlrev_b32_e32 v10, 1, v6
	v_or_b32_e32 v6, v1, v5
	v_mad_u64_u32 v[14:15], s[12:13], v3, s17, v[14:15]
	v_lshlrev_b32_e32 v1, 3, v3
	v_and_b32_e32 v0, 31, v24
	v_mad_u64_u32 v[14:15], s[12:13], s19, 36, v[14:15]
	v_lshl_add_u32 v26, s9, 1, v1
	v_add_u32_e32 v27, s9, v1
	s_add_i32 s9, s5, 1
	v_lshlrev_b32_e32 v0, 1, v0
	v_mov_b32_e32 v7, 0
	s_mul_i32 s16, s5, s8
	v_mad_u64_u32 v[14:15], s[12:13], v11, 36, v[14:15]
	s_add_i32 s15, s15, s11
	s_mul_i32 s8, s8, s9
	v_lshlrev_b32_e32 v4, 1, v4
	v_lshlrev_b32_e32 v12, 2, v2
	v_mov_b32_e32 v13, v7
	v_lshl_add_u64 v[14:15], s[22:23], 0, v[14:15]
	s_add_i32 s11, s15, s16
	s_add_i32 s15, s15, s8
	s_mov_b64 s[8:9], 0
	s_movk_i32 s16, 0xd2
	v_mov_b64_e32 v[16:17], s[20:21]
	v_lshlrev_b32_e32 v18, 1, v0
	v_lshlrev_b32_e32 v20, 1, v10
	s_mov_b32 s17, 0x30303030
	s_movk_i32 s19, 0x3f00
	s_movk_i32 s20, 0xe000
	v_lshlrev_b32_e32 v22, 2, v2
	s_mov_b64 s[12:13], 0x480
	v_mov_b32_e32 v19, v7
	v_mov_b32_e32 v21, v7
	;; [unrolled: 1-line block ×10, first 2 shown]
.LBB150_2:                              ; =>This Inner Loop Header: Depth=1
	v_add_u32_e32 v29, s11, v3
	v_lshl_add_u64 v[30:31], v[14:15], 0, v[12:13]
	global_load_dword v50, v[14:15], off
	global_load_dword v51, v[14:15], off offset:72
	v_add_u32_e32 v36, s15, v3
	v_mad_u64_u32 v[32:33], s[22:23], v27, 36, v[8:9]
	v_mad_u64_u32 v[34:35], s[22:23], v26, 36, v[8:9]
	global_load_dword v54, v[30:31], off offset:4
	global_load_dword v55, v[30:31], off offset:76
	v_mad_i64_i32 v[30:31], s[22:23], v29, s16, v[16:17]
	v_mad_i64_i32 v[36:37], s[22:23], v36, s16, v[16:17]
	v_lshl_add_u64 v[38:39], v[32:33], 0, v[22:23]
	v_lshl_add_u64 v[40:41], v[34:35], 0, v[22:23]
	v_lshl_add_u64 v[42:43], v[30:31], 0, v[18:19]
	v_lshl_add_u64 v[44:45], v[30:31], 0, v[20:21]
	v_lshl_add_u64 v[46:47], v[30:31], 0, v[6:7]
	global_load_dword v29, v[32:33], off
	v_lshl_add_u64 v[48:49], v[36:37], 0, v[18:19]
	global_load_dword v56, v[40:41], off offset:4
	global_load_dword v57, v[40:41], off offset:76
	;; [unrolled: 1-line block ×3, first 2 shown]
	global_load_dword v59, v[34:35], off
	global_load_dword v60, v[34:35], off offset:72
	global_load_dword v61, v[38:39], off offset:4
	v_lshl_add_u64 v[34:35], v[36:37], 0, v[20:21]
	global_load_dword v40, v[32:33], off offset:72
	global_load_sbyte v38, v[46:47], off offset:192
	global_load_sbyte v39, v[46:47], off offset:196
	global_load_ushort v41, v[36:37], off offset:208
	v_lshl_add_u64 v[32:33], v[36:37], 0, v[6:7]
	global_load_dword v36, v[44:45], off offset:128
	global_load_dword v37, v[42:43], off
	global_load_dword v46, v[34:35], off offset:128
	global_load_dword v47, v[48:49], off
	global_load_ushort v62, v[30:31], off offset:208
	global_load_sbyte v63, v[32:33], off offset:192
                                        ; kill: killed $vgpr30_vgpr31
                                        ; kill: killed $vgpr44_vgpr45
                                        ; kill: killed $vgpr48_vgpr49
                                        ; kill: killed $vgpr42_vgpr43
                                        ; kill: killed $vgpr34_vgpr35
	s_nop 0
	global_load_sbyte v42, v[32:33], off offset:196
	v_mov_b32_e32 v52, 0
	v_mov_b32_e32 v53, 0
	;; [unrolled: 1-line block ×6, first 2 shown]
	v_add_u32_e32 v3, 4, v3
	v_cmp_le_u32_e32 vcc, s2, v3
	v_lshl_add_u64 v[14:15], v[14:15], 0, s[12:13]
	v_add_u32_e32 v26, 32, v26
	v_add_u32_e32 v27, 32, v27
	s_or_b64 s[8:9], vcc, s[8:9]
	s_waitcnt vmcnt(6)
	v_ashrrev_i32_e32 v30, v4, v36
	s_waitcnt vmcnt(5)
	v_and_b32_e32 v31, 0xf0f0f0f, v37
	v_lshlrev_b32_e32 v36, 4, v30
	s_waitcnt vmcnt(3)
	v_lshrrev_b32_e32 v35, 4, v47
	v_lshrrev_b32_e32 v32, 4, v37
	v_ashrrev_i32_e32 v33, v4, v46
	v_and_b32_e32 v35, 0xf0f0f0f, v35
	v_and_or_b32 v31, v36, s17, v31
	v_and_b32_e32 v34, 0xf0f0f0f, v47
	v_and_b32_e32 v32, 0xf0f0f0f, v32
	v_lshlrev_b32_e32 v37, 4, v33
	v_and_or_b32 v33, v33, s17, v35
	v_lshlrev_b16_e32 v35, 8, v31
	v_and_or_b32 v30, v30, s17, v32
	v_and_or_b32 v32, v37, s17, v34
	v_and_b32_e32 v34, 0x3f00, v31
	v_add_u16_e32 v35, 0xe000, v35
	v_and_b32_sdwa v36, v31, s19 dst_sel:DWORD dst_unused:UNUSED_PAD src0_sel:WORD_1 src1_sel:DWORD
	v_lshlrev_b16_sdwa v31, v28, v31 dst_sel:DWORD dst_unused:UNUSED_PAD src0_sel:DWORD src1_sel:WORD_1
	v_and_b32_e32 v37, 0x3f00, v30
	v_lshlrev_b16_e32 v43, 8, v30
	v_or_b32_sdwa v34, v34, v35 dst_sel:DWORD dst_unused:UNUSED_PAD src0_sel:DWORD src1_sel:BYTE_1
	v_and_b32_sdwa v35, v30, s19 dst_sel:DWORD dst_unused:UNUSED_PAD src0_sel:WORD_1 src1_sel:DWORD
	v_lshlrev_b16_sdwa v30, v28, v30 dst_sel:DWORD dst_unused:UNUSED_PAD src0_sel:DWORD src1_sel:WORD_1
	v_add_u16_e32 v31, 0xe000, v31
	v_add_u16_e32 v43, 0xe000, v43
	;; [unrolled: 1-line block ×3, first 2 shown]
	v_or_b32_sdwa v31, v36, v31 dst_sel:DWORD dst_unused:UNUSED_PAD src0_sel:DWORD src1_sel:BYTE_1
	v_and_b32_e32 v36, 0x3f00, v32
	v_or_b32_sdwa v37, v37, v43 dst_sel:DWORD dst_unused:UNUSED_PAD src0_sel:DWORD src1_sel:BYTE_1
	v_lshlrev_b16_e32 v43, 8, v32
	v_or_b32_sdwa v30, v35, v30 dst_sel:DWORD dst_unused:UNUSED_PAD src0_sel:DWORD src1_sel:BYTE_1
	v_and_b32_sdwa v35, v32, s19 dst_sel:DWORD dst_unused:UNUSED_PAD src0_sel:WORD_1 src1_sel:DWORD
	v_lshlrev_b16_sdwa v32, v28, v32 dst_sel:DWORD dst_unused:UNUSED_PAD src0_sel:DWORD src1_sel:WORD_1
	v_add_u16_e32 v32, 0xe000, v32
	v_add_u16_e32 v43, 0xe000, v43
	v_or_b32_sdwa v32, v35, v32 dst_sel:DWORD dst_unused:UNUSED_PAD src0_sel:DWORD src1_sel:BYTE_1
	v_lshlrev_b16_e32 v35, 8, v33
	v_or_b32_sdwa v36, v36, v43 dst_sel:DWORD dst_unused:UNUSED_PAD src0_sel:DWORD src1_sel:BYTE_1
	v_and_b32_e32 v43, 0x3f00, v33
	v_add_u16_e32 v35, 0xe000, v35
	v_or_b32_sdwa v35, v43, v35 dst_sel:DWORD dst_unused:UNUSED_PAD src0_sel:DWORD src1_sel:BYTE_1
	v_and_b32_sdwa v43, v33, s19 dst_sel:DWORD dst_unused:UNUSED_PAD src0_sel:WORD_1 src1_sel:DWORD
	v_lshlrev_b16_sdwa v33, v28, v33 dst_sel:DWORD dst_unused:UNUSED_PAD src0_sel:DWORD src1_sel:WORD_1
	v_add_u16_e32 v34, 0xe000, v34
	v_add_u16_sdwa v31, v31, s20 dst_sel:WORD_1 dst_unused:UNUSED_PAD src0_sel:DWORD src1_sel:DWORD
	v_add_u16_e32 v33, 0xe000, v33
	v_or_b32_e32 v31, v34, v31
	v_add_u16_e32 v34, 0xe000, v37
	v_add_u16_sdwa v30, v30, s20 dst_sel:WORD_1 dst_unused:UNUSED_PAD src0_sel:DWORD src1_sel:DWORD
	v_or_b32_sdwa v33, v43, v33 dst_sel:DWORD dst_unused:UNUSED_PAD src0_sel:DWORD src1_sel:BYTE_1
	v_or_b32_e32 v34, v34, v30
	v_add_u16_e32 v30, 0xe000, v36
	v_add_u16_sdwa v32, v32, s20 dst_sel:WORD_1 dst_unused:UNUSED_PAD src0_sel:DWORD src1_sel:DWORD
	v_add_u16_sdwa v33, v33, s20 dst_sel:WORD_1 dst_unused:UNUSED_PAD src0_sel:DWORD src1_sel:DWORD
	v_or_b32_e32 v30, v30, v32
	v_add_u16_e32 v32, 0xe000, v35
	v_mov_b32_e32 v43, 0
	v_mov_b32_e32 v37, 0
	v_or_b32_e32 v32, v32, v33
	v_mov_b32_e32 v46, 0
	v_mov_b32_e32 v35, 0
	;; [unrolled: 1-line block ×4, first 2 shown]
	v_dot4c_i32_i8_e32 v52, v31, v54
	v_dot4c_i32_i8_e32 v43, v30, v54
	;; [unrolled: 1-line block ×12, first 2 shown]
	v_mul_lo_u32 v52, v52, v38
	v_mul_lo_u32 v37, v37, v38
	;; [unrolled: 1-line block ×4, first 2 shown]
	s_waitcnt vmcnt(1)
	v_mul_lo_u32 v43, v43, v63
	s_waitcnt vmcnt(0)
	v_mul_lo_u32 v44, v44, v42
	v_mul_lo_u32 v45, v45, v63
	;; [unrolled: 1-line block ×5, first 2 shown]
	v_cvt_f32_f16_e32 v30, v50
	v_cvt_f32_f16_e32 v31, v29
	v_mul_lo_u32 v53, v36, v39
	v_mul_lo_u32 v42, v49, v42
	v_cvt_f32_i32_e32 v49, v52
	v_cvt_f32_i32_e32 v52, v38
	;; [unrolled: 1-line block ×10, first 2 shown]
	v_cvt_f32_f16_e32 v32, v51
	v_cvt_f32_f16_e32 v33, v40
	v_cvt_f32_i32_e32 v39, v53
	v_cvt_f32_i32_e32 v42, v42
	v_cvt_f32_f16_e32 v35, v62
	v_cvt_f32_f16_e32 v34, v41
	v_fma_mix_f32 v48, v50, v49, 0 op_sel_hi:[1,0,0]
	v_pk_fma_f32 v[30:31], v[30:31], v[36:37], 0 op_sel_hi:[1,1,0]
	v_fma_mix_f32 v29, v29, v43, 0 op_sel_hi:[1,0,0]
	v_fma_mix_f32 v36, v59, v45, 0 op_sel_hi:[1,0,0]
	v_fma_mix_f32 v37, v59, v47, 0 op_sel_hi:[1,0,0]
	v_fma_mix_f32 v43, v51, v52, v48 op_sel_hi:[1,0,0]
	v_pk_fma_f32 v[30:31], v[32:33], v[38:39], v[30:31]
	v_fma_mix_f32 v29, v40, v44, v29 op_sel_hi:[1,0,0]
	v_fma_mix_f32 v32, v60, v46, v36 op_sel_hi:[1,0,0]
	;; [unrolled: 1-line block ×4, first 2 shown]
	v_pk_fma_f32 v[10:11], v[30:31], v[34:35], v[10:11]
	v_fma_mix_f32 v5, v29, v41, v5 op_sel_hi:[0,1,0]
	v_fma_mix_f32 v0, v32, v62, v0 op_sel_hi:[0,1,0]
	;; [unrolled: 1-line block ×3, first 2 shown]
	s_andn2_b64 exec, exec, s[8:9]
	s_cbranch_execnz .LBB150_2
; %bb.3:
	s_or_b64 exec, exec, s[8:9]
	v_mov_b32_e32 v3, v10
	v_mov_b32_e32 v4, v11
	scratch_store_dwordx4 off, v[2:5], off
	scratch_store_dwordx2 off, v[0:1], off offset:16
.LBB150_4:
	s_or_b64 exec, exec, s[6:7]
	v_cmp_eq_u32_e32 vcc, 0, v25
	v_cmp_ne_u32_e64 s[6:7], 0, v25
	v_lshlrev_b32_e32 v3, 2, v24
	s_and_saveexec_b64 s[8:9], s[6:7]
	s_cbranch_execz .LBB150_6
; %bb.5:
	v_mul_u32_u24_e32 v4, 0x600, v25
	s_movk_i32 s2, 0xfa00
	v_add3_u32 v4, v4, v3, s2
	ds_write2st64_b32 v4, v2, v10 offset1:1
	ds_write2st64_b32 v4, v11, v5 offset0:2 offset1:3
	ds_write2st64_b32 v4, v0, v1 offset0:4 offset1:5
.LBB150_6:
	s_or_b64 exec, exec, s[8:9]
	s_waitcnt lgkmcnt(0)
	s_barrier
	s_and_saveexec_b64 s[6:7], vcc
	s_cbranch_execz .LBB150_13
; %bb.7:
	scratch_load_dwordx2 v[4:5], off, off
	v_mbcnt_lo_u32_b32 v0, -1, 0
	ds_read2st64_b32 v[6:7], v3 offset1:1
	v_mbcnt_hi_u32_b32 v12, -1, v0
	v_and_b32_e32 v0, 64, v12
	v_xor_b32_e32 v1, 32, v12
	v_add_u32_e32 v13, 64, v0
	v_cmp_lt_i32_e32 vcc, v1, v13
	v_xor_b32_e32 v2, 16, v12
	v_xor_b32_e32 v8, 8, v12
	v_cndmask_b32_e32 v0, v12, v1, vcc
	v_lshlrev_b32_e32 v0, 2, v0
	v_cmp_lt_i32_e32 vcc, v2, v13
	v_xor_b32_e32 v10, 4, v12
	v_xor_b32_e32 v11, 2, v12
	v_cndmask_b32_e32 v1, v12, v2, vcc
	v_lshlrev_b32_e32 v1, 2, v1
	v_cmp_lt_i32_e32 vcc, v8, v13
	v_xor_b32_e32 v14, 1, v12
	s_load_dwordx2 s[0:1], s[0:1], 0x38
	v_cndmask_b32_e32 v2, v12, v8, vcc
	v_lshlrev_b32_e32 v2, 2, v2
	v_cmp_lt_i32_e32 vcc, v10, v13
	s_mul_i32 s2, s3, s14
	s_mul_i32 s4, s4, s18
	s_add_i32 s2, s2, s5
	s_mov_b32 s3, 0
	s_add_i32 s2, s2, s4
	s_lshl_b64 s[2:3], s[2:3], 2
	s_waitcnt lgkmcnt(0)
	s_add_u32 s2, s0, s2
	s_addc_u32 s3, s1, s3
	s_waitcnt vmcnt(0)
	v_pk_add_f32 v[4:5], v[6:7], v[4:5]
	ds_bpermute_b32 v6, v0, v4
	ds_bpermute_b32 v7, v0, v5
	s_waitcnt lgkmcnt(0)
	v_pk_add_f32 v[4:5], v[4:5], v[6:7]
	ds_bpermute_b32 v6, v1, v4
	ds_bpermute_b32 v7, v1, v5
	s_waitcnt lgkmcnt(0)
	v_pk_add_f32 v[6:7], v[4:5], v[6:7]
	ds_bpermute_b32 v8, v2, v6
	ds_bpermute_b32 v9, v2, v7
	v_cndmask_b32_e32 v4, v12, v10, vcc
	v_lshlrev_b32_e32 v4, 2, v4
	v_cmp_lt_i32_e32 vcc, v11, v13
	s_waitcnt lgkmcnt(0)
	v_pk_add_f32 v[6:7], v[6:7], v[8:9]
	ds_bpermute_b32 v8, v4, v6
	ds_bpermute_b32 v9, v4, v7
	v_cndmask_b32_e32 v5, v12, v11, vcc
	v_lshlrev_b32_e32 v5, 2, v5
	v_cmp_lt_i32_e32 vcc, v14, v13
	s_waitcnt lgkmcnt(0)
	v_pk_add_f32 v[8:9], v[6:7], v[8:9]
	ds_bpermute_b32 v10, v5, v8
	ds_bpermute_b32 v11, v5, v9
	v_cndmask_b32_e32 v6, v12, v14, vcc
	v_lshlrev_b32_e32 v6, 2, v6
	v_or_b32_e32 v7, s5, v24
	v_cmp_gt_u32_e32 vcc, 2, v24
	s_waitcnt lgkmcnt(0)
	v_pk_add_f32 v[8:9], v[8:9], v[10:11]
	ds_bpermute_b32 v10, v6, v8
	ds_bpermute_b32 v11, v6, v9
	v_cmp_gt_u32_e64 s[0:1], s10, v7
	s_and_b64 s[0:1], vcc, s[0:1]
	s_waitcnt lgkmcnt(0)
	v_pk_add_f32 v[8:9], v[8:9], v[10:11]
	scratch_store_dwordx2 off, v[8:9], off
	s_and_saveexec_b64 s[4:5], s[0:1]
	s_cbranch_execz .LBB150_9
; %bb.8:
	scratch_load_dword v7, v3, off
	s_waitcnt vmcnt(0)
	global_store_dword v3, v7, s[2:3]
.LBB150_9:
	s_or_b64 exec, exec, s[4:5]
	scratch_load_dwordx2 v[8:9], off, off offset:8
	ds_read2st64_b32 v[10:11], v3 offset0:2 offset1:3
	s_waitcnt vmcnt(0) lgkmcnt(0)
	v_pk_add_f32 v[8:9], v[10:11], v[8:9]
	ds_bpermute_b32 v10, v0, v8
	ds_bpermute_b32 v11, v0, v9
	s_waitcnt lgkmcnt(0)
	v_pk_add_f32 v[8:9], v[8:9], v[10:11]
	ds_bpermute_b32 v10, v1, v8
	ds_bpermute_b32 v11, v1, v9
	s_waitcnt lgkmcnt(0)
	;; [unrolled: 4-line block ×6, first 2 shown]
	v_pk_add_f32 v[8:9], v[8:9], v[10:11]
	scratch_store_dwordx2 off, v[8:9], off offset:8
	s_and_saveexec_b64 s[4:5], s[0:1]
	s_cbranch_execz .LBB150_11
; %bb.10:
	scratch_load_dword v7, v3, off offset:8
	v_add_u32_e32 v8, s10, v24
	v_mov_b32_e32 v9, 0
	v_lshl_add_u64 v[8:9], v[8:9], 2, s[2:3]
	s_waitcnt vmcnt(0)
	global_store_dword v[8:9], v7, off
.LBB150_11:
	s_or_b64 exec, exec, s[4:5]
	scratch_load_dwordx2 v[8:9], off, off offset:16
	ds_read2st64_b32 v[10:11], v3 offset0:4 offset1:5
	s_waitcnt vmcnt(0) lgkmcnt(0)
	v_pk_add_f32 v[8:9], v[10:11], v[8:9]
	ds_bpermute_b32 v10, v0, v8
	ds_bpermute_b32 v11, v0, v9
	s_waitcnt lgkmcnt(0)
	v_pk_add_f32 v[8:9], v[8:9], v[10:11]
	ds_bpermute_b32 v0, v1, v8
	ds_bpermute_b32 v1, v1, v9
	s_waitcnt lgkmcnt(0)
	;; [unrolled: 4-line block ×6, first 2 shown]
	v_pk_add_f32 v[0:1], v[0:1], v[4:5]
	scratch_store_dwordx2 off, v[0:1], off offset:16
	s_and_b64 exec, exec, s[0:1]
	s_cbranch_execz .LBB150_13
; %bb.12:
	scratch_load_dword v2, v3, off offset:16
	v_lshl_or_b32 v0, s10, 1, v24
	v_mov_b32_e32 v1, 0
	v_lshl_add_u64 v[0:1], v[0:1], 2, s[2:3]
	s_waitcnt vmcnt(0)
	global_store_dword v[0:1], v2, off
.LBB150_13:
	s_endpgm
	.section	.rodata,"a",@progbits
	.p2align	6, 0x0
	.amdhsa_kernel _ZL13mul_mat_vec_qIL9ggml_type14ELi3ELb0ELb0EEvPKvS2_PKi31ggml_cuda_mm_fusion_args_devicePfj15HIP_vector_typeIjLj3EEjjjS8_jjjS8_jjjj
		.amdhsa_group_segment_fixed_size 1536
		.amdhsa_private_segment_fixed_size 32
		.amdhsa_kernarg_size 144
		.amdhsa_user_sgpr_count 2
		.amdhsa_user_sgpr_dispatch_ptr 0
		.amdhsa_user_sgpr_queue_ptr 0
		.amdhsa_user_sgpr_kernarg_segment_ptr 1
		.amdhsa_user_sgpr_dispatch_id 0
		.amdhsa_user_sgpr_kernarg_preload_length 0
		.amdhsa_user_sgpr_kernarg_preload_offset 0
		.amdhsa_user_sgpr_private_segment_size 0
		.amdhsa_uses_dynamic_stack 0
		.amdhsa_enable_private_segment 1
		.amdhsa_system_sgpr_workgroup_id_x 1
		.amdhsa_system_sgpr_workgroup_id_y 1
		.amdhsa_system_sgpr_workgroup_id_z 1
		.amdhsa_system_sgpr_workgroup_info 0
		.amdhsa_system_vgpr_workitem_id 1
		.amdhsa_next_free_vgpr 64
		.amdhsa_next_free_sgpr 26
		.amdhsa_accum_offset 64
		.amdhsa_reserve_vcc 1
		.amdhsa_float_round_mode_32 0
		.amdhsa_float_round_mode_16_64 0
		.amdhsa_float_denorm_mode_32 3
		.amdhsa_float_denorm_mode_16_64 3
		.amdhsa_dx10_clamp 1
		.amdhsa_ieee_mode 1
		.amdhsa_fp16_overflow 0
		.amdhsa_tg_split 0
		.amdhsa_exception_fp_ieee_invalid_op 0
		.amdhsa_exception_fp_denorm_src 0
		.amdhsa_exception_fp_ieee_div_zero 0
		.amdhsa_exception_fp_ieee_overflow 0
		.amdhsa_exception_fp_ieee_underflow 0
		.amdhsa_exception_fp_ieee_inexact 0
		.amdhsa_exception_int_div_zero 0
	.end_amdhsa_kernel
	.section	.text._ZL13mul_mat_vec_qIL9ggml_type14ELi3ELb0ELb0EEvPKvS2_PKi31ggml_cuda_mm_fusion_args_devicePfj15HIP_vector_typeIjLj3EEjjjS8_jjjS8_jjjj,"axG",@progbits,_ZL13mul_mat_vec_qIL9ggml_type14ELi3ELb0ELb0EEvPKvS2_PKi31ggml_cuda_mm_fusion_args_devicePfj15HIP_vector_typeIjLj3EEjjjS8_jjjS8_jjjj,comdat
.Lfunc_end150:
	.size	_ZL13mul_mat_vec_qIL9ggml_type14ELi3ELb0ELb0EEvPKvS2_PKi31ggml_cuda_mm_fusion_args_devicePfj15HIP_vector_typeIjLj3EEjjjS8_jjjS8_jjjj, .Lfunc_end150-_ZL13mul_mat_vec_qIL9ggml_type14ELi3ELb0ELb0EEvPKvS2_PKi31ggml_cuda_mm_fusion_args_devicePfj15HIP_vector_typeIjLj3EEjjjS8_jjjS8_jjjj
                                        ; -- End function
	.section	.AMDGPU.csdata,"",@progbits
; Kernel info:
; codeLenInByte = 2664
; NumSgprs: 32
; NumVgprs: 64
; NumAgprs: 0
; TotalNumVgprs: 64
; ScratchSize: 32
; MemoryBound: 0
; FloatMode: 240
; IeeeMode: 1
; LDSByteSize: 1536 bytes/workgroup (compile time only)
; SGPRBlocks: 3
; VGPRBlocks: 7
; NumSGPRsForWavesPerEU: 32
; NumVGPRsForWavesPerEU: 64
; AccumOffset: 64
; Occupancy: 8
; WaveLimiterHint : 0
; COMPUTE_PGM_RSRC2:SCRATCH_EN: 1
; COMPUTE_PGM_RSRC2:USER_SGPR: 2
; COMPUTE_PGM_RSRC2:TRAP_HANDLER: 0
; COMPUTE_PGM_RSRC2:TGID_X_EN: 1
; COMPUTE_PGM_RSRC2:TGID_Y_EN: 1
; COMPUTE_PGM_RSRC2:TGID_Z_EN: 1
; COMPUTE_PGM_RSRC2:TIDIG_COMP_CNT: 1
; COMPUTE_PGM_RSRC3_GFX90A:ACCUM_OFFSET: 15
; COMPUTE_PGM_RSRC3_GFX90A:TG_SPLIT: 0
	.section	.text._ZL13mul_mat_vec_qIL9ggml_type14ELi4ELb0ELb0EEvPKvS2_PKi31ggml_cuda_mm_fusion_args_devicePfj15HIP_vector_typeIjLj3EEjjjS8_jjjS8_jjjj,"axG",@progbits,_ZL13mul_mat_vec_qIL9ggml_type14ELi4ELb0ELb0EEvPKvS2_PKi31ggml_cuda_mm_fusion_args_devicePfj15HIP_vector_typeIjLj3EEjjjS8_jjjS8_jjjj,comdat
	.globl	_ZL13mul_mat_vec_qIL9ggml_type14ELi4ELb0ELb0EEvPKvS2_PKi31ggml_cuda_mm_fusion_args_devicePfj15HIP_vector_typeIjLj3EEjjjS8_jjjS8_jjjj ; -- Begin function _ZL13mul_mat_vec_qIL9ggml_type14ELi4ELb0ELb0EEvPKvS2_PKi31ggml_cuda_mm_fusion_args_devicePfj15HIP_vector_typeIjLj3EEjjjS8_jjjS8_jjjj
	.p2align	8
	.type	_ZL13mul_mat_vec_qIL9ggml_type14ELi4ELb0ELb0EEvPKvS2_PKi31ggml_cuda_mm_fusion_args_devicePfj15HIP_vector_typeIjLj3EEjjjS8_jjjS8_jjjj,@function
_ZL13mul_mat_vec_qIL9ggml_type14ELi4ELb0ELb0EEvPKvS2_PKi31ggml_cuda_mm_fusion_args_devicePfj15HIP_vector_typeIjLj3EEjjjS8_jjjS8_jjjj: ; @_ZL13mul_mat_vec_qIL9ggml_type14ELi4ELb0ELb0EEvPKvS2_PKi31ggml_cuda_mm_fusion_args_devicePfj15HIP_vector_typeIjLj3EEjjjS8_jjjS8_jjjj
; %bb.0:
	s_mov_b32 s20, 0
	s_mov_b32 s21, s20
	v_bfe_u32 v9, v0, 10, 10
	v_and_b32_e32 v8, 0x3ff, v0
	s_mov_b32 s22, s20
	s_mov_b32 s23, s20
	v_mov_b64_e32 v[0:1], s[20:21]
	v_lshl_add_u32 v4, v9, 6, v8
	v_mov_b64_e32 v[2:3], s[22:23]
	s_load_dword s6, s[0:1], 0x40
	s_load_dwordx4 s[8:11], s[0:1], 0x50
	s_load_dword s25, s[0:1], 0x60
	s_load_dwordx4 s[12:15], s[0:1], 0x68
	;; [unrolled: 2-line block ×3, first 2 shown]
	s_lshl_b32 s5, s2, 1
	s_waitcnt lgkmcnt(0)
	s_lshr_b32 s2, s6, 8
	scratch_store_dwordx4 off, v[0:3], off offset:16
	scratch_store_dwordx4 off, v[0:3], off
	v_mov_b32_e32 v11, 0
	v_mov_b32_e32 v12, 0
	v_lshrrev_b32_e32 v1, 5, v4
	v_cmp_gt_u32_e32 vcc, s2, v1
	v_mov_b32_e32 v3, 0
	v_mov_b32_e32 v4, 0
	;; [unrolled: 1-line block ×6, first 2 shown]
	s_and_saveexec_b64 s[6:7], vcc
	s_cbranch_execz .LBB151_4
; %bb.1:
	s_mul_hi_u32 s11, s11, s3
	s_add_i32 s11, s3, s11
	s_load_dwordx4 s[20:23], s[0:1], 0x0
	s_lshr_b32 s11, s11, s25
	s_mul_i32 s11, s11, s12
	s_mul_hi_u32 s12, s15, s4
	s_add_i32 s12, s4, s12
	s_lshr_b32 s12, s12, s24
	s_mul_i32 s19, s4, s17
	s_mul_i32 s15, s12, s16
	;; [unrolled: 1-line block ×3, first 2 shown]
	s_mul_hi_u32 s12, s19, 36
	s_waitcnt lgkmcnt(0)
	s_add_u32 s16, s22, s16
	s_addc_u32 s17, s23, s12
	s_mul_i32 s12, s3, s13
	s_mul_hi_u32 s13, s12, 36
	s_mul_i32 s12, s12, 36
	v_and_b32_e32 v3, 15, v8
	s_add_u32 s16, s16, s12
	v_bfe_u32 v2, v8, 4, 1
	v_lshrrev_b16_e32 v5, 3, v3
	s_addc_u32 s17, s17, s13
	v_lshl_or_b32 v6, v2, 2, v5
	v_lshlrev_b32_e32 v2, 3, v2
	v_and_b32_e32 v4, 7, v8
	v_mad_u64_u32 v[16:17], s[16:17], v6, 36, s[16:17]
	v_lshrrev_b16_e32 v3, 2, v3
	v_or_b32_e32 v7, v2, v4
	v_or_b32_e32 v14, v2, v3
	s_movk_i32 s17, 0x120
	v_mov_b64_e32 v[2:3], s[12:13]
	v_mad_u64_u32 v[2:3], s[12:13], v1, s17, v[2:3]
	v_mad_u64_u32 v[2:3], s[12:13], s19, 36, v[2:3]
	;; [unrolled: 1-line block ×3, first 2 shown]
	v_lshlrev_b32_e32 v12, 3, v1
	v_and_b32_e32 v0, 31, v8
	v_lshl_add_u64 v[20:21], s[22:23], 0, v[2:3]
	v_lshl_add_u32 v6, s9, 1, v12
	v_mad_u64_u32 v[2:3], s[12:13], s9, 3, v[12:13]
	v_add_u32_e32 v30, s9, v12
	s_add_i32 s9, s5, 1
	v_lshlrev_b32_e32 v0, 1, v0
	v_mov_b32_e32 v15, 0
	v_lshlrev_b32_e32 v10, 1, v7
	s_mul_i32 s16, s5, s8
	s_add_i32 s15, s15, s11
	s_mul_i32 s8, s8, s9
	v_lshlrev_b32_e32 v5, 1, v5
	v_lshlrev_b32_e32 v18, 2, v4
	v_mov_b32_e32 v19, v15
	s_add_i32 s11, s15, s16
	s_add_i32 s15, s15, s8
	s_mov_b64 s[8:9], 0
	s_movk_i32 s16, 0xd2
	v_mov_b64_e32 v[22:23], s[20:21]
	v_lshlrev_b32_e32 v24, 1, v0
	v_lshlrev_b32_e32 v26, 1, v10
	s_mov_b32 s17, 0x30303030
	s_movk_i32 s19, 0x3f00
	s_movk_i32 s20, 0xe000
	v_lshlrev_b32_e32 v28, 2, v4
	s_mov_b64 s[12:13], 0x480
	v_mov_b32_e32 v25, v15
	v_mov_b32_e32 v27, v15
	;; [unrolled: 1-line block ×12, first 2 shown]
.LBB151_2:                              ; =>This Inner Loop Header: Depth=1
	v_add_u32_e32 v38, s11, v1
	v_lshl_add_u64 v[32:33], v[20:21], 0, v[18:19]
	v_mad_u64_u32 v[34:35], s[22:23], v30, 36, v[16:17]
	global_load_dword v50, v[32:33], off offset:4
	global_load_dword v51, v[32:33], off offset:76
	v_mad_i64_i32 v[32:33], s[22:23], v38, s16, v[22:23]
	v_add_u32_e32 v39, s15, v1
	v_mad_u64_u32 v[36:37], s[22:23], v6, 36, v[16:17]
	v_lshl_add_u64 v[40:41], v[34:35], 0, v[28:29]
	v_lshl_add_u64 v[46:47], v[32:33], 0, v[26:27]
	v_mad_i64_i32 v[38:39], s[22:23], v39, s16, v[22:23]
	global_load_dword v52, v[34:35], off
	v_lshl_add_u64 v[42:43], v[36:37], 0, v[28:29]
	v_lshl_add_u64 v[48:49], v[32:33], 0, v[14:15]
	global_load_dword v53, v[40:41], off offset:76
	global_load_dword v54, v[36:37], off
	global_load_dword v55, v[42:43], off offset:76
	global_load_dword v56, v[36:37], off offset:72
	;; [unrolled: 1-line block ×4, first 2 shown]
	s_nop 0
	global_load_dword v40, v[46:47], off offset:128
	global_load_sbyte v41, v[48:49], off offset:192
	global_load_sbyte v59, v[48:49], off offset:196
	global_load_ushort v60, v[38:39], off offset:208
	v_lshl_add_u64 v[44:45], v[32:33], 0, v[24:25]
	v_lshl_add_u64 v[36:37], v[38:39], 0, v[24:25]
	;; [unrolled: 1-line block ×4, first 2 shown]
	global_load_dword v46, v[44:45], off
	global_load_dword v47, v[34:35], off offset:128
	global_load_dword v48, v[36:37], off
	global_load_sbyte v49, v[38:39], off offset:192
	global_load_ushort v61, v[32:33], off offset:208
	global_load_sbyte v62, v[38:39], off offset:196
	v_add_u32_e32 v1, 4, v1
	v_cmp_le_u32_e32 vcc, s2, v1
	v_add_u32_e32 v6, 32, v6
	v_add_u32_e32 v30, 32, v30
	s_or_b64 s[8:9], vcc, s[8:9]
	s_waitcnt vmcnt(9)
	v_ashrrev_i32_e32 v36, v5, v40
	global_load_dword v40, v[20:21], off
	global_load_dword v44, v[20:21], off offset:72
	v_lshlrev_b32_e32 v34, 4, v36
	s_waitcnt vmcnt(7)
	v_and_b32_e32 v32, 0xf0f0f0f, v46
	s_waitcnt vmcnt(6)
	v_ashrrev_i32_e32 v37, v5, v47
	s_waitcnt vmcnt(5)
	v_and_b32_e32 v33, 0xf0f0f0f, v48
	v_lshlrev_b32_e32 v35, 4, v37
	v_and_or_b32 v32, v34, s17, v32
	v_and_or_b32 v33, v35, s17, v33
	v_lshlrev_b16_e32 v35, 8, v32
	v_and_b32_e32 v34, 0x3f00, v32
	v_add_u16_e32 v35, 0xe000, v35
	v_or_b32_sdwa v34, v34, v35 dst_sel:DWORD dst_unused:UNUSED_PAD src0_sel:DWORD src1_sel:BYTE_1
	v_and_b32_sdwa v35, v32, s19 dst_sel:DWORD dst_unused:UNUSED_PAD src0_sel:WORD_1 src1_sel:DWORD
	v_lshlrev_b16_sdwa v32, v31, v32 dst_sel:DWORD dst_unused:UNUSED_PAD src0_sel:DWORD src1_sel:WORD_1
	v_add_u16_e32 v32, 0xe000, v32
	v_or_b32_sdwa v32, v35, v32 dst_sel:DWORD dst_unused:UNUSED_PAD src0_sel:DWORD src1_sel:BYTE_1
	v_lshlrev_b16_e32 v35, 8, v33
	v_add_u16_e32 v35, 0xe000, v35
	v_and_b32_e32 v38, 0x3f00, v33
	v_or_b32_sdwa v35, v38, v35 dst_sel:DWORD dst_unused:UNUSED_PAD src0_sel:DWORD src1_sel:BYTE_1
	v_and_b32_sdwa v38, v33, s19 dst_sel:DWORD dst_unused:UNUSED_PAD src0_sel:WORD_1 src1_sel:DWORD
	v_lshlrev_b16_sdwa v33, v31, v33 dst_sel:DWORD dst_unused:UNUSED_PAD src0_sel:DWORD src1_sel:WORD_1
	v_add_u16_e32 v33, 0xe000, v33
	v_or_b32_sdwa v33, v38, v33 dst_sel:DWORD dst_unused:UNUSED_PAD src0_sel:DWORD src1_sel:BYTE_1
	v_add_u16_e32 v34, 0xe000, v34
	v_add_u16_sdwa v32, v32, s20 dst_sel:WORD_1 dst_unused:UNUSED_PAD src0_sel:DWORD src1_sel:DWORD
	v_add_u16_sdwa v33, v33, s20 dst_sel:WORD_1 dst_unused:UNUSED_PAD src0_sel:DWORD src1_sel:DWORD
	v_or_b32_e32 v38, v34, v32
	v_add_u16_e32 v34, 0xe000, v35
	v_mov_b32_e32 v32, 0
	v_or_b32_e32 v39, v34, v33
	v_mov_b32_e32 v33, 0
	v_dot4c_i32_i8_e32 v32, v39, v50
	v_dot4c_i32_i8_e32 v33, v38, v57
	v_cvt_f32_f16_e32 v35, v52
	global_load_dword v42, v[42:43], off offset:4
	s_waitcnt vmcnt(5)
	v_mul_lo_u32 v32, v32, v49
	v_mul_lo_u32 v33, v33, v41
	v_cvt_f32_i32_e32 v33, v33
	v_cvt_f32_i32_e32 v32, v32
	v_lshl_add_u64 v[20:21], v[20:21], 0, s[12:13]
	s_waitcnt vmcnt(2)
	v_cvt_f32_f16_e32 v34, v40
	v_pk_fma_f32 v[32:33], v[34:35], v[32:33], 0 op_sel_hi:[1,1,0]
	v_lshrrev_b32_e32 v34, 4, v46
	v_and_b32_e32 v34, 0xf0f0f0f, v34
	v_and_or_b32 v34, v36, s17, v34
	v_lshrrev_b32_e32 v35, 4, v48
	v_and_b32_e32 v35, 0xf0f0f0f, v35
	v_lshlrev_b16_e32 v36, 8, v34
	v_and_or_b32 v35, v37, s17, v35
	v_add_u16_e32 v36, 0xe000, v36
	v_and_b32_e32 v37, 0x3f00, v34
	v_or_b32_sdwa v36, v37, v36 dst_sel:DWORD dst_unused:UNUSED_PAD src0_sel:DWORD src1_sel:BYTE_1
	v_and_b32_sdwa v37, v34, s19 dst_sel:DWORD dst_unused:UNUSED_PAD src0_sel:WORD_1 src1_sel:DWORD
	v_lshlrev_b16_sdwa v34, v31, v34 dst_sel:DWORD dst_unused:UNUSED_PAD src0_sel:DWORD src1_sel:WORD_1
	v_add_u16_e32 v34, 0xe000, v34
	v_or_b32_sdwa v34, v37, v34 dst_sel:DWORD dst_unused:UNUSED_PAD src0_sel:DWORD src1_sel:BYTE_1
	v_lshlrev_b16_e32 v37, 8, v35
	v_add_u16_e32 v37, 0xe000, v37
	v_and_b32_e32 v45, 0x3f00, v35
	v_or_b32_sdwa v37, v45, v37 dst_sel:DWORD dst_unused:UNUSED_PAD src0_sel:DWORD src1_sel:BYTE_1
	v_and_b32_sdwa v45, v35, s19 dst_sel:DWORD dst_unused:UNUSED_PAD src0_sel:WORD_1 src1_sel:DWORD
	v_lshlrev_b16_sdwa v35, v31, v35 dst_sel:DWORD dst_unused:UNUSED_PAD src0_sel:DWORD src1_sel:WORD_1
	v_add_u16_e32 v35, 0xe000, v35
	v_or_b32_sdwa v35, v45, v35 dst_sel:DWORD dst_unused:UNUSED_PAD src0_sel:DWORD src1_sel:BYTE_1
	v_add_u16_e32 v36, 0xe000, v36
	v_add_u16_sdwa v34, v34, s20 dst_sel:WORD_1 dst_unused:UNUSED_PAD src0_sel:DWORD src1_sel:DWORD
	v_add_u16_sdwa v35, v35, s20 dst_sel:WORD_1 dst_unused:UNUSED_PAD src0_sel:DWORD src1_sel:DWORD
	v_or_b32_e32 v45, v36, v34
	v_add_u16_e32 v34, 0xe000, v37
	v_or_b32_e32 v46, v34, v35
	v_mov_b32_e32 v34, 0
	v_mov_b32_e32 v35, 0
	v_dot4c_i32_i8_e32 v34, v46, v51
	v_dot4c_i32_i8_e32 v35, v45, v53
	s_waitcnt vmcnt(1)
	v_cvt_f32_f16_e32 v36, v44
	v_cvt_f32_f16_e32 v37, v58
	v_mul_lo_u32 v34, v34, v62
	v_mul_lo_u32 v35, v35, v59
	v_cvt_f32_i32_e32 v35, v35
	v_cvt_f32_i32_e32 v34, v34
	v_mov_b32_e32 v48, 0
	s_waitcnt vmcnt(0)
	v_dot4c_i32_i8_e32 v48, v38, v42
	v_pk_fma_f32 v[32:33], v[36:37], v[34:35], v[32:33]
	v_mad_u64_u32 v[34:35], s[22:23], v2, 36, v[16:17]
	v_lshl_add_u64 v[36:37], v[34:35], 0, v[28:29]
	global_load_dword v43, v[36:37], off offset:4
	global_load_dword v47, v[36:37], off offset:76
	v_mov_b32_e32 v36, 0
	v_dot4c_i32_i8_e32 v36, v38, v50
	v_mov_b32_e32 v50, 0
	v_dot4c_i32_i8_e32 v50, v39, v42
	v_mov_b32_e32 v42, 0
	v_mov_b32_e32 v37, 0
	v_dot4c_i32_i8_e32 v37, v39, v57
	global_load_dword v57, v[34:35], off offset:72
	v_add_u32_e32 v2, 32, v2
	s_waitcnt vmcnt(2)
	v_dot4c_i32_i8_e32 v42, v38, v43
	v_mov_b32_e32 v38, 0
	v_dot4c_i32_i8_e32 v38, v39, v43
	v_mov_b32_e32 v39, 0
	v_mov_b32_e32 v43, 0
	v_dot4c_i32_i8_e32 v39, v45, v51
	v_dot4c_i32_i8_e32 v43, v46, v53
	v_mov_b32_e32 v51, 0
	v_mov_b32_e32 v53, 0
	v_dot4c_i32_i8_e32 v51, v45, v55
	v_dot4c_i32_i8_e32 v53, v46, v55
	v_mov_b32_e32 v55, 0
	s_waitcnt vmcnt(1)
	v_dot4c_i32_i8_e32 v55, v45, v47
	v_mov_b32_e32 v45, 0
	v_dot4c_i32_i8_e32 v45, v46, v47
	global_load_dword v46, v[34:35], off
	v_mul_lo_u32 v34, v36, v41
	v_mul_lo_u32 v35, v42, v41
	;; [unrolled: 1-line block ×3, first 2 shown]
	v_cvt_f32_i32_e32 v39, v34
	v_mul_lo_u32 v47, v48, v41
	v_mul_lo_u32 v41, v37, v49
	;; [unrolled: 1-line block ×6, first 2 shown]
	v_fma_mix_f32 v50, v40, v39, 0 op_sel_hi:[1,0,0]
	v_cvt_f32_i32_e32 v40, v41
	v_cvt_f32_i32_e32 v41, v47
	v_cvt_f32_i32_e32 v35, v35
	v_cvt_f32_i32_e32 v34, v37
	v_cvt_f32_i32_e32 v37, v36
	v_cvt_f32_i32_e32 v36, v38
	v_cvt_f32_f16_e32 v38, v54
	v_mul_lo_u32 v48, v51, v59
	v_mul_lo_u32 v43, v43, v62
	;; [unrolled: 1-line block ×3, first 2 shown]
	v_cvt_f32_i32_e32 v49, v49
	v_fma_mix_f32 v47, v52, v40, 0 op_sel_hi:[1,0,0]
	v_fma_mix_f32 v51, v54, v41, 0 op_sel_hi:[1,0,0]
	s_waitcnt vmcnt(1)
	v_cvt_f32_f16_e32 v41, v57
	v_cvt_f32_f16_e32 v40, v56
	v_cvt_f32_i32_e32 v42, v42
	v_cvt_f32_i32_e32 v43, v43
	;; [unrolled: 1-line block ×4, first 2 shown]
	v_fma_mix_f32 v42, v44, v42, v50 op_sel_hi:[1,0,0]
	v_fma_mix_f32 v43, v58, v43, v47 op_sel_hi:[1,0,0]
	;; [unrolled: 1-line block ×6, first 2 shown]
	s_waitcnt vmcnt(0)
	v_cvt_f32_f16_e32 v39, v46
	v_fma_mix_f32 v46, v46, v49, 0 op_sel_hi:[1,0,0]
	v_pk_fma_f32 v[34:35], v[38:39], v[34:35], 0 op_sel_hi:[1,1,0]
	v_cvt_f32_f16_e32 v39, v61
	v_cvt_f32_f16_e32 v38, v60
	v_pk_fma_f32 v[34:35], v[40:41], v[36:37], v[34:35]
	v_fma_mix_f32 v36, v57, v45, v46 op_sel_hi:[1,0,0]
	v_pk_fma_f32 v[12:13], v[32:33], v[38:39], v[12:13]
	v_pk_fma_f32 v[10:11], v[34:35], v[38:39], v[10:11]
	v_fma_mix_f32 v3, v36, v60, v3 op_sel_hi:[0,1,0]
	s_andn2_b64 exec, exec, s[8:9]
	s_cbranch_execnz .LBB151_2
; %bb.3:
	s_or_b64 exec, exec, s[8:9]
	v_mov_b32_e32 v5, v12
	v_mov_b32_e32 v6, v13
	v_mov_b32_e32 v1, v10
	v_mov_b32_e32 v2, v11
	scratch_store_dwordx4 off, v[4:7], off
	scratch_store_dwordx4 off, v[0:3], off offset:16
.LBB151_4:
	s_or_b64 exec, exec, s[6:7]
	v_cmp_eq_u32_e32 vcc, 0, v9
	v_cmp_ne_u32_e64 s[6:7], 0, v9
	v_lshlrev_b32_e32 v1, 2, v8
	s_and_saveexec_b64 s[8:9], s[6:7]
	s_cbranch_execz .LBB151_6
; %bb.5:
	v_lshlrev_b32_e32 v2, 11, v9
	s_movk_i32 s2, 0xf800
	v_add3_u32 v2, v2, v1, s2
	ds_write2st64_b32 v2, v4, v12 offset1:1
	ds_write2st64_b32 v2, v13, v7 offset0:2 offset1:3
	ds_write2st64_b32 v2, v0, v10 offset0:4 offset1:5
	;; [unrolled: 1-line block ×3, first 2 shown]
.LBB151_6:
	s_or_b64 exec, exec, s[8:9]
	s_waitcnt lgkmcnt(0)
	s_barrier
	s_and_saveexec_b64 s[6:7], vcc
	s_cbranch_execz .LBB151_15
; %bb.7:
	scratch_load_dwordx2 v[2:3], off, off
	v_mbcnt_lo_u32_b32 v0, -1, 0
	ds_read2st64_b32 v[4:5], v1 offset1:1
	v_mbcnt_hi_u32_b32 v9, -1, v0
	v_and_b32_e32 v0, 64, v9
	v_xor_b32_e32 v6, 32, v9
	v_add_u32_e32 v14, 64, v0
	v_cmp_lt_i32_e32 vcc, v6, v14
	v_xor_b32_e32 v10, 16, v9
	v_xor_b32_e32 v11, 8, v9
	v_cndmask_b32_e32 v0, v9, v6, vcc
	v_lshlrev_b32_e32 v0, 2, v0
	v_cmp_lt_i32_e32 vcc, v10, v14
	v_xor_b32_e32 v12, 4, v9
	v_xor_b32_e32 v13, 2, v9
	;; [unrolled: 1-line block ×3, first 2 shown]
	s_load_dwordx2 s[0:1], s[0:1], 0x38
	s_mul_i32 s2, s3, s14
	s_mul_i32 s4, s4, s18
	s_add_i32 s2, s2, s5
	s_mov_b32 s3, 0
	s_add_i32 s2, s2, s4
	s_lshl_b64 s[2:3], s[2:3], 2
	s_waitcnt lgkmcnt(0)
	s_add_u32 s2, s0, s2
	s_addc_u32 s3, s1, s3
	s_waitcnt vmcnt(0)
	v_pk_add_f32 v[4:5], v[4:5], v[2:3]
	ds_bpermute_b32 v6, v0, v4
	ds_bpermute_b32 v7, v0, v5
	v_cndmask_b32_e32 v2, v9, v10, vcc
	v_lshlrev_b32_e32 v2, 2, v2
	v_cmp_lt_i32_e32 vcc, v11, v14
	s_waitcnt lgkmcnt(0)
	v_pk_add_f32 v[4:5], v[4:5], v[6:7]
	ds_bpermute_b32 v6, v2, v4
	ds_bpermute_b32 v7, v2, v5
	v_cndmask_b32_e32 v3, v9, v11, vcc
	v_lshlrev_b32_e32 v3, 2, v3
	v_cmp_lt_i32_e32 vcc, v12, v14
	s_waitcnt lgkmcnt(0)
	;; [unrolled: 7-line block ×4, first 2 shown]
	v_pk_add_f32 v[10:11], v[6:7], v[10:11]
	ds_bpermute_b32 v12, v5, v10
	ds_bpermute_b32 v13, v5, v11
	v_cndmask_b32_e32 v6, v9, v15, vcc
	v_lshlrev_b32_e32 v6, 2, v6
	v_or_b32_e32 v7, s5, v8
	v_cmp_gt_u32_e32 vcc, 2, v8
	s_waitcnt lgkmcnt(0)
	v_pk_add_f32 v[10:11], v[10:11], v[12:13]
	ds_bpermute_b32 v12, v6, v10
	ds_bpermute_b32 v13, v6, v11
	v_cmp_gt_u32_e64 s[0:1], s10, v7
	s_and_b64 s[0:1], vcc, s[0:1]
	s_waitcnt lgkmcnt(0)
	v_pk_add_f32 v[10:11], v[10:11], v[12:13]
	scratch_store_dwordx2 off, v[10:11], off
	s_and_saveexec_b64 s[4:5], s[0:1]
	s_cbranch_execz .LBB151_9
; %bb.8:
	scratch_load_dword v7, v1, off
	s_waitcnt vmcnt(0)
	global_store_dword v1, v7, s[2:3]
.LBB151_9:
	s_or_b64 exec, exec, s[4:5]
	scratch_load_dwordx2 v[10:11], off, off offset:8
	ds_read2st64_b32 v[12:13], v1 offset0:2 offset1:3
	s_waitcnt vmcnt(0) lgkmcnt(0)
	v_pk_add_f32 v[10:11], v[12:13], v[10:11]
	ds_bpermute_b32 v12, v0, v10
	ds_bpermute_b32 v13, v0, v11
	s_waitcnt lgkmcnt(0)
	v_pk_add_f32 v[10:11], v[10:11], v[12:13]
	ds_bpermute_b32 v12, v2, v10
	ds_bpermute_b32 v13, v2, v11
	s_waitcnt lgkmcnt(0)
	;; [unrolled: 4-line block ×6, first 2 shown]
	v_pk_add_f32 v[10:11], v[10:11], v[12:13]
	scratch_store_dwordx2 off, v[10:11], off offset:8
	s_and_saveexec_b64 s[4:5], s[0:1]
	s_cbranch_execz .LBB151_11
; %bb.10:
	scratch_load_dword v7, v1, off offset:8
	v_add_u32_e32 v10, s10, v8
	v_mov_b32_e32 v11, 0
	v_lshl_add_u64 v[10:11], v[10:11], 2, s[2:3]
	s_waitcnt vmcnt(0)
	global_store_dword v[10:11], v7, off
.LBB151_11:
	s_or_b64 exec, exec, s[4:5]
	scratch_load_dwordx2 v[10:11], off, off offset:16
	ds_read2st64_b32 v[12:13], v1 offset0:4 offset1:5
	s_waitcnt vmcnt(0) lgkmcnt(0)
	v_pk_add_f32 v[10:11], v[12:13], v[10:11]
	ds_bpermute_b32 v12, v0, v10
	ds_bpermute_b32 v13, v0, v11
	s_waitcnt lgkmcnt(0)
	v_pk_add_f32 v[10:11], v[10:11], v[12:13]
	ds_bpermute_b32 v12, v2, v10
	ds_bpermute_b32 v13, v2, v11
	s_waitcnt lgkmcnt(0)
	;; [unrolled: 4-line block ×6, first 2 shown]
	v_pk_add_f32 v[10:11], v[10:11], v[12:13]
	scratch_store_dwordx2 off, v[10:11], off offset:16
	s_and_saveexec_b64 s[4:5], s[0:1]
	s_cbranch_execz .LBB151_13
; %bb.12:
	scratch_load_dword v7, v1, off offset:16
	v_lshl_or_b32 v10, s10, 1, v8
	v_mov_b32_e32 v11, 0
	v_lshl_add_u64 v[10:11], v[10:11], 2, s[2:3]
	s_waitcnt vmcnt(0)
	global_store_dword v[10:11], v7, off
.LBB151_13:
	s_or_b64 exec, exec, s[4:5]
	scratch_load_dwordx2 v[10:11], off, off offset:24
	ds_read2st64_b32 v[12:13], v1 offset0:6 offset1:7
	s_waitcnt vmcnt(0) lgkmcnt(0)
	v_pk_add_f32 v[10:11], v[12:13], v[10:11]
	ds_bpermute_b32 v12, v0, v10
	ds_bpermute_b32 v13, v0, v11
	s_waitcnt lgkmcnt(0)
	v_pk_add_f32 v[10:11], v[10:11], v[12:13]
	ds_bpermute_b32 v12, v2, v10
	ds_bpermute_b32 v13, v2, v11
	s_waitcnt lgkmcnt(0)
	;; [unrolled: 4-line block ×6, first 2 shown]
	v_pk_add_f32 v[2:3], v[2:3], v[4:5]
	scratch_store_dwordx2 off, v[2:3], off offset:24
	s_and_b64 exec, exec, s[0:1]
	s_cbranch_execz .LBB151_15
; %bb.14:
	scratch_load_dword v2, v1, off offset:24
	v_mad_u64_u32 v[0:1], s[0:1], s10, 3, v[8:9]
	v_mov_b32_e32 v1, 0
	v_lshl_add_u64 v[0:1], v[0:1], 2, s[2:3]
	s_waitcnt vmcnt(0)
	global_store_dword v[0:1], v2, off
.LBB151_15:
	s_endpgm
	.section	.rodata,"a",@progbits
	.p2align	6, 0x0
	.amdhsa_kernel _ZL13mul_mat_vec_qIL9ggml_type14ELi4ELb0ELb0EEvPKvS2_PKi31ggml_cuda_mm_fusion_args_devicePfj15HIP_vector_typeIjLj3EEjjjS8_jjjS8_jjjj
		.amdhsa_group_segment_fixed_size 2048
		.amdhsa_private_segment_fixed_size 48
		.amdhsa_kernarg_size 144
		.amdhsa_user_sgpr_count 2
		.amdhsa_user_sgpr_dispatch_ptr 0
		.amdhsa_user_sgpr_queue_ptr 0
		.amdhsa_user_sgpr_kernarg_segment_ptr 1
		.amdhsa_user_sgpr_dispatch_id 0
		.amdhsa_user_sgpr_kernarg_preload_length 0
		.amdhsa_user_sgpr_kernarg_preload_offset 0
		.amdhsa_user_sgpr_private_segment_size 0
		.amdhsa_uses_dynamic_stack 0
		.amdhsa_enable_private_segment 1
		.amdhsa_system_sgpr_workgroup_id_x 1
		.amdhsa_system_sgpr_workgroup_id_y 1
		.amdhsa_system_sgpr_workgroup_id_z 1
		.amdhsa_system_sgpr_workgroup_info 0
		.amdhsa_system_vgpr_workitem_id 1
		.amdhsa_next_free_vgpr 63
		.amdhsa_next_free_sgpr 26
		.amdhsa_accum_offset 64
		.amdhsa_reserve_vcc 1
		.amdhsa_float_round_mode_32 0
		.amdhsa_float_round_mode_16_64 0
		.amdhsa_float_denorm_mode_32 3
		.amdhsa_float_denorm_mode_16_64 3
		.amdhsa_dx10_clamp 1
		.amdhsa_ieee_mode 1
		.amdhsa_fp16_overflow 0
		.amdhsa_tg_split 0
		.amdhsa_exception_fp_ieee_invalid_op 0
		.amdhsa_exception_fp_denorm_src 0
		.amdhsa_exception_fp_ieee_div_zero 0
		.amdhsa_exception_fp_ieee_overflow 0
		.amdhsa_exception_fp_ieee_underflow 0
		.amdhsa_exception_fp_ieee_inexact 0
		.amdhsa_exception_int_div_zero 0
	.end_amdhsa_kernel
	.section	.text._ZL13mul_mat_vec_qIL9ggml_type14ELi4ELb0ELb0EEvPKvS2_PKi31ggml_cuda_mm_fusion_args_devicePfj15HIP_vector_typeIjLj3EEjjjS8_jjjS8_jjjj,"axG",@progbits,_ZL13mul_mat_vec_qIL9ggml_type14ELi4ELb0ELb0EEvPKvS2_PKi31ggml_cuda_mm_fusion_args_devicePfj15HIP_vector_typeIjLj3EEjjjS8_jjjS8_jjjj,comdat
.Lfunc_end151:
	.size	_ZL13mul_mat_vec_qIL9ggml_type14ELi4ELb0ELb0EEvPKvS2_PKi31ggml_cuda_mm_fusion_args_devicePfj15HIP_vector_typeIjLj3EEjjjS8_jjjS8_jjjj, .Lfunc_end151-_ZL13mul_mat_vec_qIL9ggml_type14ELi4ELb0ELb0EEvPKvS2_PKi31ggml_cuda_mm_fusion_args_devicePfj15HIP_vector_typeIjLj3EEjjjS8_jjjS8_jjjj
                                        ; -- End function
	.section	.AMDGPU.csdata,"",@progbits
; Kernel info:
; codeLenInByte = 3176
; NumSgprs: 32
; NumVgprs: 63
; NumAgprs: 0
; TotalNumVgprs: 63
; ScratchSize: 48
; MemoryBound: 0
; FloatMode: 240
; IeeeMode: 1
; LDSByteSize: 2048 bytes/workgroup (compile time only)
; SGPRBlocks: 3
; VGPRBlocks: 7
; NumSGPRsForWavesPerEU: 32
; NumVGPRsForWavesPerEU: 63
; AccumOffset: 64
; Occupancy: 8
; WaveLimiterHint : 0
; COMPUTE_PGM_RSRC2:SCRATCH_EN: 1
; COMPUTE_PGM_RSRC2:USER_SGPR: 2
; COMPUTE_PGM_RSRC2:TRAP_HANDLER: 0
; COMPUTE_PGM_RSRC2:TGID_X_EN: 1
; COMPUTE_PGM_RSRC2:TGID_Y_EN: 1
; COMPUTE_PGM_RSRC2:TGID_Z_EN: 1
; COMPUTE_PGM_RSRC2:TIDIG_COMP_CNT: 1
; COMPUTE_PGM_RSRC3_GFX90A:ACCUM_OFFSET: 15
; COMPUTE_PGM_RSRC3_GFX90A:TG_SPLIT: 0
	.section	.text._ZL13mul_mat_vec_qIL9ggml_type14ELi5ELb0ELb0EEvPKvS2_PKi31ggml_cuda_mm_fusion_args_devicePfj15HIP_vector_typeIjLj3EEjjjS8_jjjS8_jjjj,"axG",@progbits,_ZL13mul_mat_vec_qIL9ggml_type14ELi5ELb0ELb0EEvPKvS2_PKi31ggml_cuda_mm_fusion_args_devicePfj15HIP_vector_typeIjLj3EEjjjS8_jjjS8_jjjj,comdat
	.globl	_ZL13mul_mat_vec_qIL9ggml_type14ELi5ELb0ELb0EEvPKvS2_PKi31ggml_cuda_mm_fusion_args_devicePfj15HIP_vector_typeIjLj3EEjjjS8_jjjS8_jjjj ; -- Begin function _ZL13mul_mat_vec_qIL9ggml_type14ELi5ELb0ELb0EEvPKvS2_PKi31ggml_cuda_mm_fusion_args_devicePfj15HIP_vector_typeIjLj3EEjjjS8_jjjS8_jjjj
	.p2align	8
	.type	_ZL13mul_mat_vec_qIL9ggml_type14ELi5ELb0ELb0EEvPKvS2_PKi31ggml_cuda_mm_fusion_args_devicePfj15HIP_vector_typeIjLj3EEjjjS8_jjjS8_jjjj,@function
_ZL13mul_mat_vec_qIL9ggml_type14ELi5ELb0ELb0EEvPKvS2_PKi31ggml_cuda_mm_fusion_args_devicePfj15HIP_vector_typeIjLj3EEjjjS8_jjjS8_jjjj: ; @_ZL13mul_mat_vec_qIL9ggml_type14ELi5ELb0ELb0EEvPKvS2_PKi31ggml_cuda_mm_fusion_args_devicePfj15HIP_vector_typeIjLj3EEjjjS8_jjjS8_jjjj
; %bb.0:
	s_mov_b32 s20, 0
	s_mov_b32 s21, s20
	v_bfe_u32 v9, v0, 10, 10
	v_and_b32_e32 v8, 0x3ff, v0
	v_mov_b32_e32 v11, 0
	s_mov_b32 s22, s20
	s_mov_b32 s23, s20
	v_mov_b64_e32 v[0:1], s[20:21]
	s_load_dword s5, s[0:1], 0x40
	s_load_dwordx4 s[8:11], s[0:1], 0x50
	s_load_dword s25, s[0:1], 0x60
	s_load_dwordx4 s[12:15], s[0:1], 0x68
	;; [unrolled: 2-line block ×3, first 2 shown]
	v_lshl_or_b32 v4, v9, 6, v8
	v_mov_b32_e32 v10, v11
	v_mov_b64_e32 v[2:3], s[22:23]
	s_waitcnt lgkmcnt(0)
	s_lshr_b32 s5, s5, 8
	scratch_store_dwordx2 off, v[10:11], off offset:32
	scratch_store_dwordx4 off, v[0:3], off offset:16
	scratch_store_dwordx4 off, v[0:3], off
	s_lshl_b32 s2, s2, 1
	s_nop 0
	v_lshrrev_b32_e32 v1, 5, v4
	v_cmp_gt_u32_e32 vcc, s5, v1
	s_and_saveexec_b64 s[6:7], vcc
	s_cbranch_execz .LBB152_4
; %bb.1:
	s_mul_hi_u32 s11, s11, s3
	s_add_i32 s11, s3, s11
	s_load_dwordx4 s[20:23], s[0:1], 0x0
	s_lshr_b32 s11, s11, s25
	s_mul_i32 s11, s11, s12
	s_mul_hi_u32 s12, s15, s4
	s_add_i32 s12, s4, s12
	s_lshr_b32 s12, s12, s24
	s_mul_i32 s19, s4, s17
	s_mul_i32 s15, s12, s16
	;; [unrolled: 1-line block ×3, first 2 shown]
	s_mul_hi_u32 s12, s19, 36
	s_waitcnt lgkmcnt(0)
	s_add_u32 s16, s22, s16
	s_addc_u32 s17, s23, s12
	s_mul_i32 s12, s3, s13
	s_mul_hi_u32 s13, s12, 36
	s_mul_i32 s12, s12, 36
	v_and_b32_e32 v3, 15, v8
	s_add_u32 s16, s16, s12
	v_bfe_u32 v2, v8, 4, 1
	v_lshrrev_b16_e32 v5, 3, v3
	s_addc_u32 s17, s17, s13
	v_lshl_or_b32 v7, v2, 2, v5
	v_lshlrev_b32_e32 v10, 3, v2
	v_and_b32_e32 v4, 7, v8
	v_lshrrev_b16_e32 v3, 2, v3
	v_or_b32_e32 v2, v10, v4
	v_mad_u64_u32 v[12:13], s[16:17], v7, 36, s[16:17]
	v_or_b32_e32 v10, v10, v3
	v_lshl_add_u32 v3, v9, 6, v8
	v_lshrrev_b32_e32 v3, 5, v3
	s_movk_i32 s17, 0x120
	v_mov_b64_e32 v[16:17], s[12:13]
	v_mad_u64_u32 v[16:17], s[12:13], v3, s17, v[16:17]
	v_mad_u64_u32 v[16:17], s[12:13], s19, 36, v[16:17]
	v_mad_u64_u32 v[16:17], s[12:13], v7, 36, v[16:17]
	v_and_b32_e32 v0, 31, v8
	s_add_i32 s13, s2, 1
	v_lshlrev_b32_e32 v0, 1, v0
	v_lshlrev_b32_e32 v6, 1, v2
	s_mul_i32 s16, s2, s8
	s_add_i32 s12, s15, s11
	s_mul_i32 s8, s8, s13
	v_lshlrev_b32_e32 v2, 1, v5
	v_lshlrev_b32_e32 v14, 2, v4
	v_mov_b32_e32 v15, v11
	v_lshl_add_u64 v[16:17], s[22:23], 0, v[16:17]
	s_add_i32 s11, s12, s16
	s_lshl_b32 s15, s9, 1
	v_lshlrev_b32_e32 v5, 3, v1
	s_mul_i32 s19, s9, 3
	s_lshl_b32 s22, s9, 2
	s_add_i32 s8, s12, s8
	s_mov_b64 s[12:13], 0
	s_movk_i32 s23, 0xd2
	v_mov_b64_e32 v[20:21], s[20:21]
	v_lshlrev_b32_e32 v22, 1, v0
	v_lshlrev_b32_e32 v24, 1, v6
	s_mov_b32 s20, 0x30303030
	s_movk_i32 s21, 0x3f00
	s_movk_i32 s24, 0xe000
	v_lshlrev_b32_e32 v26, 2, v4
	s_mov_b64 s[16:17], 0x240
	v_mov_b32_e32 v23, v11
	v_mov_b32_e32 v25, v11
	;; [unrolled: 1-line block ×14, first 2 shown]
.LBB152_2:                              ; =>This Inner Loop Header: Depth=1
	v_add_u32_e32 v34, s11, v1
	v_lshl_add_u64 v[32:33], v[16:17], 0, v[14:15]
	global_load_dword v42, v[32:33], off offset:4
	global_load_dword v43, v[16:17], off
	global_load_dword v44, v[32:33], off offset:76
	global_load_dword v45, v[16:17], off offset:72
	v_mad_i64_i32 v[32:33], s[26:27], v34, s23, v[20:21]
	v_lshl_add_u64 v[36:37], v[32:33], 0, v[24:25]
	global_load_dword v36, v[36:37], off offset:128
	v_lshl_add_u64 v[34:35], v[32:33], 0, v[22:23]
	global_load_dword v39, v[34:35], off
	v_mov_b32_e32 v54, 0
	global_load_ushort v34, v[32:33], off offset:208
	v_mov_b32_e32 v52, 0
	v_mov_b32_e32 v58, 0
	;; [unrolled: 1-line block ×3, first 2 shown]
	v_lshl_add_u64 v[16:17], v[16:17], 0, s[16:17]
	s_waitcnt vmcnt(2)
	v_ashrrev_i32_e32 v38, v2, v36
	v_lshl_add_u64 v[36:37], v[32:33], 0, v[10:11]
	global_load_sbyte v35, v[36:37], off offset:192
	global_load_sbyte v47, v[36:37], off offset:196
	s_waitcnt vmcnt(3)
	v_lshrrev_b32_e32 v36, 4, v39
	v_and_b32_e32 v36, 0xf0f0f0f, v36
	v_and_or_b32 v36, v38, s20, v36
	v_lshlrev_b32_e32 v40, 4, v38
	v_lshlrev_b16_e32 v38, 8, v36
	v_and_b32_e32 v37, 0x3f00, v36
	v_add_u16_e32 v38, 0xe000, v38
	v_or_b32_sdwa v37, v37, v38 dst_sel:DWORD dst_unused:UNUSED_PAD src0_sel:DWORD src1_sel:BYTE_1
	v_and_b32_sdwa v38, v36, s21 dst_sel:DWORD dst_unused:UNUSED_PAD src0_sel:WORD_1 src1_sel:DWORD
	v_lshlrev_b16_sdwa v36, v6, v36 dst_sel:DWORD dst_unused:UNUSED_PAD src0_sel:DWORD src1_sel:WORD_1
	v_and_b32_e32 v32, 0xf0f0f0f, v39
	v_add_u16_e32 v36, 0xe000, v36
	v_and_or_b32 v32, v40, s20, v32
	v_or_b32_sdwa v36, v38, v36 dst_sel:DWORD dst_unused:UNUSED_PAD src0_sel:DWORD src1_sel:BYTE_1
	v_lshlrev_b16_e32 v41, 8, v32
	v_add_u16_e32 v37, 0xe000, v37
	v_add_u16_sdwa v36, v36, s24 dst_sel:WORD_1 dst_unused:UNUSED_PAD src0_sel:DWORD src1_sel:DWORD
	v_and_b32_e32 v40, 0x3f00, v32
	v_add_u16_e32 v41, 0xe000, v41
	v_or_b32_e32 v48, v37, v36
	v_mov_b32_e32 v36, 0
	v_or_b32_sdwa v40, v40, v41 dst_sel:DWORD dst_unused:UNUSED_PAD src0_sel:DWORD src1_sel:BYTE_1
	v_and_b32_sdwa v41, v32, s21 dst_sel:DWORD dst_unused:UNUSED_PAD src0_sel:WORD_1 src1_sel:DWORD
	v_lshlrev_b16_sdwa v32, v6, v32 dst_sel:DWORD dst_unused:UNUSED_PAD src0_sel:DWORD src1_sel:WORD_1
	v_dot4c_i32_i8_e32 v36, v48, v44
	v_add_u16_e32 v32, 0xe000, v32
	v_or_b32_sdwa v32, v41, v32 dst_sel:DWORD dst_unused:UNUSED_PAD src0_sel:DWORD src1_sel:BYTE_1
	v_add_u16_e32 v40, 0xe000, v40
	v_add_u16_sdwa v32, v32, s24 dst_sel:WORD_1 dst_unused:UNUSED_PAD src0_sel:DWORD src1_sel:DWORD
	s_waitcnt vmcnt(2)
	v_cvt_f32_f16_e32 v33, v34
	v_or_b32_e32 v46, v40, v32
	v_mov_b32_e32 v32, 0
	v_dot4c_i32_i8_e32 v32, v46, v42
	s_waitcnt vmcnt(0)
	v_mul_lo_u32 v36, v36, v47
	v_cvt_f32_i32_e32 v49, v36
	v_add_u32_e32 v36, s8, v1
	v_mad_i64_i32 v[36:37], s[26:27], v36, s23, v[20:21]
	v_lshl_add_u64 v[40:41], v[36:37], 0, v[24:25]
	v_lshl_add_u64 v[38:39], v[36:37], 0, v[22:23]
	global_load_dword v40, v[40:41], off offset:128
	v_mul_lo_u32 v32, v32, v35
	global_load_dword v41, v[38:39], off
	global_load_ushort v50, v[36:37], off offset:208
	v_lshl_add_u64 v[38:39], v[36:37], 0, v[10:11]
	v_cvt_f32_i32_e32 v32, v32
	v_add_u32_e32 v1, 2, v1
	v_cmp_le_u32_e32 vcc, s5, v1
	s_or_b64 s[12:13], vcc, s[12:13]
	v_fma_mix_f32 v32, v43, v32, 0 op_sel_hi:[1,0,0]
	s_waitcnt vmcnt(2)
	v_ashrrev_i32_e32 v40, v2, v40
	v_lshlrev_b32_e32 v37, 4, v40
	s_waitcnt vmcnt(1)
	v_and_b32_e32 v36, 0xf0f0f0f, v41
	v_and_or_b32 v36, v37, s20, v36
	v_lshlrev_b16_e32 v51, 8, v36
	v_and_b32_e32 v37, 0x3f00, v36
	v_add_u16_e32 v51, 0xe000, v51
	v_or_b32_sdwa v37, v37, v51 dst_sel:DWORD dst_unused:UNUSED_PAD src0_sel:DWORD src1_sel:BYTE_1
	v_and_b32_sdwa v51, v36, s21 dst_sel:DWORD dst_unused:UNUSED_PAD src0_sel:WORD_1 src1_sel:DWORD
	v_lshlrev_b16_sdwa v36, v6, v36 dst_sel:DWORD dst_unused:UNUSED_PAD src0_sel:DWORD src1_sel:WORD_1
	v_add_u16_e32 v36, 0xe000, v36
	v_or_b32_sdwa v36, v51, v36 dst_sel:DWORD dst_unused:UNUSED_PAD src0_sel:DWORD src1_sel:BYTE_1
	v_add_u16_e32 v37, 0xe000, v37
	v_add_u16_sdwa v36, v36, s24 dst_sel:WORD_1 dst_unused:UNUSED_PAD src0_sel:DWORD src1_sel:DWORD
	v_fma_mix_f32 v32, v45, v49, v32 op_sel_hi:[1,0,0]
	v_or_b32_e32 v51, v37, v36
	v_lshrrev_b32_e32 v36, 4, v41
	v_and_b32_e32 v36, 0xf0f0f0f, v36
	v_and_or_b32 v36, v40, s20, v36
	v_lshlrev_b16_e32 v40, 8, v36
	v_and_b32_e32 v37, 0x3f00, v36
	v_add_u16_e32 v40, 0xe000, v40
	v_or_b32_sdwa v37, v37, v40 dst_sel:DWORD dst_unused:UNUSED_PAD src0_sel:DWORD src1_sel:BYTE_1
	v_and_b32_sdwa v40, v36, s21 dst_sel:DWORD dst_unused:UNUSED_PAD src0_sel:WORD_1 src1_sel:DWORD
	v_lshlrev_b16_sdwa v36, v6, v36 dst_sel:DWORD dst_unused:UNUSED_PAD src0_sel:DWORD src1_sel:WORD_1
	v_add_u16_e32 v36, 0xe000, v36
	v_or_b32_sdwa v36, v40, v36 dst_sel:DWORD dst_unused:UNUSED_PAD src0_sel:DWORD src1_sel:BYTE_1
	v_add_u16_e32 v37, 0xe000, v37
	v_add_u16_sdwa v36, v36, s24 dst_sel:WORD_1 dst_unused:UNUSED_PAD src0_sel:DWORD src1_sel:DWORD
	v_dot4c_i32_i8_e32 v52, v51, v42
	v_or_b32_e32 v53, v37, v36
	v_add_u32_e32 v36, s9, v5
	v_mad_u64_u32 v[36:37], s[26:27], v36, 36, v[12:13]
	v_lshl_add_u64 v[40:41], v[36:37], 0, v[26:27]
	v_dot4c_i32_i8_e32 v54, v53, v44
	global_load_dword v44, v[40:41], off offset:4
	global_load_dword v55, v[36:37], off
	global_load_dword v56, v[40:41], off offset:76
	global_load_dword v57, v[36:37], off offset:72
	v_cvt_f32_f16_e32 v40, v45
	global_load_sbyte v45, v[38:39], off offset:192
	v_mov_b32_e32 v42, 0
	v_cvt_f32_f16_e32 v36, v43
	v_fma_mix_f32 v4, v32, v34, v4 op_sel_hi:[0,1,0]
	s_waitcnt vmcnt(5)
	v_cvt_f32_f16_e32 v32, v50
	s_waitcnt vmcnt(4)
	v_dot4c_i32_i8_e32 v42, v46, v44
	s_nop 2
	v_mul_lo_u32 v42, v42, v35
	s_waitcnt vmcnt(3)
	v_cvt_f32_f16_e32 v37, v55
	v_cvt_f32_i32_e32 v43, v42
	s_waitcnt vmcnt(2)
	v_dot4c_i32_i8_e32 v58, v48, v56
	s_waitcnt vmcnt(0)
	v_mul_lo_u32 v49, v52, v45
	v_cvt_f32_i32_e32 v42, v49
	v_cvt_f32_f16_e32 v41, v57
	v_pk_fma_f32 v[36:37], v[36:37], v[42:43], 0 op_sel_hi:[1,1,0]
	global_load_sbyte v42, v[38:39], off offset:196
	v_mul_lo_u32 v39, v58, v47
	v_cvt_f32_i32_e32 v39, v39
	s_waitcnt vmcnt(0)
	v_mul_lo_u32 v38, v54, v42
	v_cvt_f32_i32_e32 v38, v38
	v_mov_b32_e32 v54, 0
	v_pk_fma_f32 v[36:37], v[40:41], v[38:39], v[36:37]
	s_nop 0
	v_pk_fma_f32 v[30:31], v[36:37], v[32:33], v[30:31]
	v_mov_b32_e32 v36, 0
	v_dot4c_i32_i8_e32 v36, v51, v44
	v_mov_b32_e32 v37, 0
	v_dot4c_i32_i8_e32 v37, v53, v56
	s_nop 0
	v_mul_lo_u32 v36, v36, v45
	v_cvt_f32_i32_e32 v36, v36
	v_mul_lo_u32 v37, v37, v42
	v_cvt_f32_i32_e32 v37, v37
	v_fma_mix_f32 v36, v55, v36, 0 op_sel_hi:[1,0,0]
	v_mov_b32_e32 v55, 0
	v_fma_mix_f32 v36, v57, v37, v36 op_sel_hi:[1,0,0]
	s_nop 0
	v_fma_mix_f32 v7, v36, v50, v7 op_sel_hi:[0,1,0]
	v_add_u32_e32 v36, s15, v5
	v_mad_u64_u32 v[36:37], s[26:27], v36, 36, v[12:13]
	v_lshl_add_u64 v[38:39], v[36:37], 0, v[26:27]
	global_load_dword v40, v[38:39], off offset:4
	global_load_dword v41, v[36:37], off
	global_load_dword v43, v[38:39], off offset:76
	global_load_dword v44, v[36:37], off offset:72
	v_mov_b32_e32 v36, 0
	s_waitcnt vmcnt(3)
	v_dot4c_i32_i8_e32 v36, v46, v40
	s_nop 2
	v_mul_lo_u32 v36, v36, v35
	v_cvt_f32_i32_e32 v49, v36
	v_mov_b32_e32 v36, 0
	s_waitcnt vmcnt(1)
	v_dot4c_i32_i8_e32 v36, v48, v43
	v_dot4c_i32_i8_e32 v55, v53, v43
	v_dot4c_i32_i8_e32 v54, v51, v40
	v_mov_b32_e32 v40, 0
	v_mul_lo_u32 v36, v36, v47
	v_cvt_f32_i32_e32 v52, v36
	v_add_u32_e32 v36, s19, v5
	v_mad_u64_u32 v[36:37], s[26:27], v36, 36, v[12:13]
	v_lshl_add_u64 v[38:39], v[36:37], 0, v[26:27]
	global_load_dword v43, v[38:39], off offset:4
	global_load_dword v56, v[36:37], off
	global_load_dword v57, v[38:39], off offset:76
	global_load_dword v58, v[36:37], off offset:72
	v_cvt_f32_f16_e32 v36, v41
	v_fma_mix_f32 v41, v41, v49, 0 op_sel_hi:[1,0,0]
	s_waitcnt vmcnt(4)
	v_cvt_f32_f16_e32 v38, v44
	v_fma_mix_f32 v41, v44, v52, v41 op_sel_hi:[1,0,0]
	v_mul_lo_u32 v44, v54, v45
	v_fma_mix_f32 v0, v41, v34, v0 op_sel_hi:[0,1,0]
	s_waitcnt vmcnt(3)
	v_dot4c_i32_i8_e32 v40, v46, v43
	s_nop 2
	v_mul_lo_u32 v40, v40, v35
	s_waitcnt vmcnt(2)
	v_cvt_f32_f16_e32 v37, v56
	v_cvt_f32_i32_e32 v41, v40
	v_cvt_f32_i32_e32 v40, v44
	s_waitcnt vmcnt(1)
	v_dot4c_i32_i8_e32 v59, v48, v57
	s_waitcnt vmcnt(0)
	v_cvt_f32_f16_e32 v39, v58
	v_pk_fma_f32 v[36:37], v[36:37], v[40:41], 0 op_sel_hi:[1,1,0]
	v_mul_lo_u32 v40, v55, v42
	v_mul_lo_u32 v41, v59, v47
	v_cvt_f32_i32_e32 v41, v41
	v_cvt_f32_i32_e32 v40, v40
	v_pk_fma_f32 v[36:37], v[38:39], v[40:41], v[36:37]
	s_nop 0
	v_pk_fma_f32 v[28:29], v[36:37], v[32:33], v[28:29]
	v_mov_b32_e32 v32, 0
	v_dot4c_i32_i8_e32 v32, v51, v43
	v_mov_b32_e32 v33, 0
	v_dot4c_i32_i8_e32 v33, v53, v57
	s_nop 0
	v_mul_lo_u32 v32, v32, v45
	v_cvt_f32_i32_e32 v32, v32
	v_mul_lo_u32 v33, v33, v42
	v_cvt_f32_i32_e32 v33, v33
	v_fma_mix_f32 v32, v56, v32, 0 op_sel_hi:[1,0,0]
	s_nop 0
	v_fma_mix_f32 v32, v58, v33, v32 op_sel_hi:[1,0,0]
	s_nop 0
	v_fma_mix_f32 v3, v32, v50, v3 op_sel_hi:[0,1,0]
	v_add_u32_e32 v32, s22, v5
	v_mad_u64_u32 v[32:33], s[26:27], v32, 36, v[12:13]
	v_lshl_add_u64 v[36:37], v[32:33], 0, v[26:27]
	global_load_dword v38, v[36:37], off offset:4
	global_load_dword v39, v[32:33], off
	global_load_dword v40, v[36:37], off offset:76
	global_load_dword v41, v[32:33], off offset:72
	v_mov_b32_e32 v32, 0
	v_mov_b32_e32 v33, 0
	v_add_u32_e32 v5, 16, v5
	s_waitcnt vmcnt(3)
	v_dot4c_i32_i8_e32 v32, v46, v38
	s_nop 2
	v_mul_lo_u32 v32, v32, v35
	s_waitcnt vmcnt(1)
	v_dot4c_i32_i8_e32 v33, v48, v40
	v_cvt_f32_i32_e32 v32, v32
	v_fma_mix_f32 v32, v39, v32, 0 op_sel_hi:[1,0,0]
	s_nop 0
	v_mul_lo_u32 v33, v33, v47
	v_cvt_f32_i32_e32 v33, v33
	s_waitcnt vmcnt(0)
	v_fma_mix_f32 v32, v41, v33, v32 op_sel_hi:[1,0,0]
	s_nop 0
	v_fma_mix_f32 v18, v32, v34, v18 op_sel_hi:[0,1,0]
	v_mov_b32_e32 v32, 0
	v_dot4c_i32_i8_e32 v32, v51, v38
	v_mov_b32_e32 v33, 0
	v_dot4c_i32_i8_e32 v33, v53, v40
	s_nop 0
	v_mul_lo_u32 v32, v32, v45
	v_cvt_f32_i32_e32 v32, v32
	v_mul_lo_u32 v33, v33, v42
	v_cvt_f32_i32_e32 v33, v33
	v_fma_mix_f32 v32, v39, v32, 0 op_sel_hi:[1,0,0]
	s_nop 0
	v_fma_mix_f32 v32, v41, v33, v32 op_sel_hi:[1,0,0]
	s_nop 0
	v_fma_mix_f32 v19, v32, v50, v19 op_sel_hi:[0,1,0]
	s_andn2_b64 exec, exec, s[12:13]
	s_cbranch_execnz .LBB152_2
; %bb.3:
	s_or_b64 exec, exec, s[12:13]
	v_mov_b32_e32 v5, v30
	v_mov_b32_e32 v6, v31
	;; [unrolled: 1-line block ×4, first 2 shown]
	scratch_store_dwordx4 off, v[4:7], off
	scratch_store_dwordx4 off, v[0:3], off offset:16
	scratch_store_dwordx2 off, v[18:19], off offset:32
.LBB152_4:
	s_or_b64 exec, exec, s[6:7]
	s_mov_b32 s5, 0
	v_cmp_eq_u32_e32 vcc, 0, v9
	s_waitcnt lgkmcnt(0)
	; wave barrier
	s_and_saveexec_b64 s[6:7], vcc
	s_cbranch_execz .LBB152_15
; %bb.5:
	scratch_load_dwordx2 v[2:3], off, off
	v_mbcnt_lo_u32_b32 v0, -1, 0
	v_mbcnt_hi_u32_b32 v9, -1, v0
	s_load_dwordx2 s[6:7], s[0:1], 0x38
	s_mul_i32 s0, s3, s14
	v_or_b32_e32 v1, s2, v8
	v_and_b32_e32 v0, 64, v9
	s_mul_i32 s4, s4, s18
	s_add_i32 s2, s0, s2
	v_cmp_gt_u32_e64 s[0:1], s10, v1
	v_xor_b32_e32 v1, 32, v9
	v_add_u32_e32 v14, 64, v0
	s_add_i32 s4, s2, s4
	v_cmp_lt_i32_e64 s[2:3], v1, v14
	v_cmp_gt_u32_e32 vcc, 2, v8
	s_nop 0
	v_cndmask_b32_e64 v0, v9, v1, s[2:3]
	v_lshlrev_b32_e32 v0, 2, v0
	v_xor_b32_e32 v1, 16, v9
	v_cmp_lt_i32_e64 s[2:3], v1, v14
	s_waitcnt vmcnt(0)
	ds_bpermute_b32 v4, v0, v2
	ds_bpermute_b32 v5, v0, v3
	v_cndmask_b32_e64 v1, v9, v1, s[2:3]
	v_lshlrev_b32_e32 v1, 2, v1
	s_waitcnt lgkmcnt(0)
	v_pk_add_f32 v[4:5], v[2:3], v[4:5]
	ds_bpermute_b32 v6, v1, v4
	ds_bpermute_b32 v7, v1, v5
	v_xor_b32_e32 v2, 8, v9
	v_cmp_lt_i32_e64 s[2:3], v2, v14
	v_xor_b32_e32 v3, 4, v9
	s_waitcnt lgkmcnt(0)
	v_pk_add_f32 v[4:5], v[4:5], v[6:7]
	v_cndmask_b32_e64 v2, v9, v2, s[2:3]
	v_lshlrev_b32_e32 v2, 2, v2
	ds_bpermute_b32 v6, v2, v4
	ds_bpermute_b32 v7, v2, v5
	v_cmp_lt_i32_e64 s[2:3], v3, v14
	s_waitcnt lgkmcnt(0)
	v_pk_add_f32 v[6:7], v[4:5], v[6:7]
	v_cndmask_b32_e64 v3, v9, v3, s[2:3]
	v_lshlrev_b32_e32 v3, 2, v3
	ds_bpermute_b32 v10, v3, v6
	ds_bpermute_b32 v11, v3, v7
	v_xor_b32_e32 v4, 2, v9
	v_cmp_lt_i32_e64 s[2:3], v4, v14
	v_xor_b32_e32 v5, 1, v9
	s_waitcnt lgkmcnt(0)
	v_pk_add_f32 v[10:11], v[6:7], v[10:11]
	v_cndmask_b32_e64 v4, v9, v4, s[2:3]
	v_lshlrev_b32_e32 v4, 2, v4
	ds_bpermute_b32 v12, v4, v10
	ds_bpermute_b32 v13, v4, v11
	v_cmp_lt_i32_e64 s[2:3], v5, v14
	s_waitcnt lgkmcnt(0)
	v_pk_add_f32 v[10:11], v[10:11], v[12:13]
	v_cndmask_b32_e64 v5, v9, v5, s[2:3]
	v_lshlrev_b32_e32 v6, 2, v5
	ds_bpermute_b32 v12, v6, v10
	ds_bpermute_b32 v13, v6, v11
	s_lshl_b64 s[2:3], s[4:5], 2
	s_add_u32 s2, s6, s2
	s_addc_u32 s3, s7, s3
	s_and_b64 s[0:1], vcc, s[0:1]
	s_waitcnt lgkmcnt(0)
	v_pk_add_f32 v[10:11], v[10:11], v[12:13]
	v_lshlrev_b32_e32 v5, 2, v8
	scratch_store_dwordx2 off, v[10:11], off
	s_and_saveexec_b64 s[4:5], s[0:1]
	s_cbranch_execz .LBB152_7
; %bb.6:
	scratch_load_dword v7, v5, off
	s_waitcnt vmcnt(0)
	global_store_dword v5, v7, s[2:3]
.LBB152_7:
	s_or_b64 exec, exec, s[4:5]
	scratch_load_dwordx2 v[10:11], off, off offset:8
	s_waitcnt vmcnt(0)
	ds_bpermute_b32 v12, v0, v10
	ds_bpermute_b32 v13, v0, v11
	s_waitcnt lgkmcnt(0)
	v_pk_add_f32 v[10:11], v[10:11], v[12:13]
	ds_bpermute_b32 v12, v1, v10
	ds_bpermute_b32 v13, v1, v11
	s_waitcnt lgkmcnt(0)
	v_pk_add_f32 v[10:11], v[10:11], v[12:13]
	;; [unrolled: 4-line block ×6, first 2 shown]
	scratch_store_dwordx2 off, v[10:11], off offset:8
	s_and_saveexec_b64 s[4:5], s[0:1]
	s_cbranch_execz .LBB152_9
; %bb.8:
	scratch_load_dword v7, v5, off offset:8
	v_add_u32_e32 v10, s10, v8
	v_mov_b32_e32 v11, 0
	v_lshl_add_u64 v[10:11], v[10:11], 2, s[2:3]
	s_waitcnt vmcnt(0)
	global_store_dword v[10:11], v7, off
.LBB152_9:
	s_or_b64 exec, exec, s[4:5]
	scratch_load_dwordx2 v[10:11], off, off offset:16
	s_waitcnt vmcnt(0)
	ds_bpermute_b32 v12, v0, v10
	ds_bpermute_b32 v13, v0, v11
	s_waitcnt lgkmcnt(0)
	v_pk_add_f32 v[10:11], v[10:11], v[12:13]
	ds_bpermute_b32 v12, v1, v10
	ds_bpermute_b32 v13, v1, v11
	s_waitcnt lgkmcnt(0)
	v_pk_add_f32 v[10:11], v[10:11], v[12:13]
	;; [unrolled: 4-line block ×6, first 2 shown]
	scratch_store_dwordx2 off, v[10:11], off offset:16
	s_and_saveexec_b64 s[4:5], s[0:1]
	s_cbranch_execz .LBB152_11
; %bb.10:
	scratch_load_dword v7, v5, off offset:16
	v_lshl_or_b32 v10, s10, 1, v8
	v_mov_b32_e32 v11, 0
	v_lshl_add_u64 v[10:11], v[10:11], 2, s[2:3]
	s_waitcnt vmcnt(0)
	global_store_dword v[10:11], v7, off
.LBB152_11:
	s_or_b64 exec, exec, s[4:5]
	scratch_load_dwordx2 v[10:11], off, off offset:24
	s_waitcnt vmcnt(0)
	ds_bpermute_b32 v12, v0, v10
	ds_bpermute_b32 v13, v0, v11
	s_waitcnt lgkmcnt(0)
	v_pk_add_f32 v[10:11], v[10:11], v[12:13]
	ds_bpermute_b32 v12, v1, v10
	ds_bpermute_b32 v13, v1, v11
	s_waitcnt lgkmcnt(0)
	v_pk_add_f32 v[10:11], v[10:11], v[12:13]
	;; [unrolled: 4-line block ×6, first 2 shown]
	scratch_store_dwordx2 off, v[10:11], off offset:24
	s_and_saveexec_b64 s[4:5], s[0:1]
	s_cbranch_execz .LBB152_13
; %bb.12:
	scratch_load_dword v7, v5, off offset:24
	v_mad_u64_u32 v[10:11], s[6:7], s10, 3, v[8:9]
	v_mov_b32_e32 v11, 0
	v_lshl_add_u64 v[10:11], v[10:11], 2, s[2:3]
	s_waitcnt vmcnt(0)
	global_store_dword v[10:11], v7, off
.LBB152_13:
	s_or_b64 exec, exec, s[4:5]
	scratch_load_dwordx2 v[10:11], off, off offset:32
	s_waitcnt vmcnt(0)
	ds_bpermute_b32 v12, v0, v10
	ds_bpermute_b32 v13, v0, v11
	s_waitcnt lgkmcnt(0)
	v_pk_add_f32 v[10:11], v[10:11], v[12:13]
	ds_bpermute_b32 v0, v1, v10
	ds_bpermute_b32 v1, v1, v11
	s_waitcnt lgkmcnt(0)
	v_pk_add_f32 v[0:1], v[10:11], v[0:1]
	;; [unrolled: 4-line block ×6, first 2 shown]
	scratch_store_dwordx2 off, v[0:1], off offset:32
	s_and_b64 exec, exec, s[0:1]
	s_cbranch_execz .LBB152_15
; %bb.14:
	scratch_load_dword v2, v5, off offset:32
	v_lshl_or_b32 v0, s10, 2, v8
	v_mov_b32_e32 v1, 0
	v_lshl_add_u64 v[0:1], v[0:1], 2, s[2:3]
	s_waitcnt vmcnt(0)
	global_store_dword v[0:1], v2, off
.LBB152_15:
	s_endpgm
	.section	.rodata,"a",@progbits
	.p2align	6, 0x0
	.amdhsa_kernel _ZL13mul_mat_vec_qIL9ggml_type14ELi5ELb0ELb0EEvPKvS2_PKi31ggml_cuda_mm_fusion_args_devicePfj15HIP_vector_typeIjLj3EEjjjS8_jjjS8_jjjj
		.amdhsa_group_segment_fixed_size 0
		.amdhsa_private_segment_fixed_size 48
		.amdhsa_kernarg_size 144
		.amdhsa_user_sgpr_count 2
		.amdhsa_user_sgpr_dispatch_ptr 0
		.amdhsa_user_sgpr_queue_ptr 0
		.amdhsa_user_sgpr_kernarg_segment_ptr 1
		.amdhsa_user_sgpr_dispatch_id 0
		.amdhsa_user_sgpr_kernarg_preload_length 0
		.amdhsa_user_sgpr_kernarg_preload_offset 0
		.amdhsa_user_sgpr_private_segment_size 0
		.amdhsa_uses_dynamic_stack 0
		.amdhsa_enable_private_segment 1
		.amdhsa_system_sgpr_workgroup_id_x 1
		.amdhsa_system_sgpr_workgroup_id_y 1
		.amdhsa_system_sgpr_workgroup_id_z 1
		.amdhsa_system_sgpr_workgroup_info 0
		.amdhsa_system_vgpr_workitem_id 1
		.amdhsa_next_free_vgpr 60
		.amdhsa_next_free_sgpr 28
		.amdhsa_accum_offset 60
		.amdhsa_reserve_vcc 1
		.amdhsa_float_round_mode_32 0
		.amdhsa_float_round_mode_16_64 0
		.amdhsa_float_denorm_mode_32 3
		.amdhsa_float_denorm_mode_16_64 3
		.amdhsa_dx10_clamp 1
		.amdhsa_ieee_mode 1
		.amdhsa_fp16_overflow 0
		.amdhsa_tg_split 0
		.amdhsa_exception_fp_ieee_invalid_op 0
		.amdhsa_exception_fp_denorm_src 0
		.amdhsa_exception_fp_ieee_div_zero 0
		.amdhsa_exception_fp_ieee_overflow 0
		.amdhsa_exception_fp_ieee_underflow 0
		.amdhsa_exception_fp_ieee_inexact 0
		.amdhsa_exception_int_div_zero 0
	.end_amdhsa_kernel
	.section	.text._ZL13mul_mat_vec_qIL9ggml_type14ELi5ELb0ELb0EEvPKvS2_PKi31ggml_cuda_mm_fusion_args_devicePfj15HIP_vector_typeIjLj3EEjjjS8_jjjS8_jjjj,"axG",@progbits,_ZL13mul_mat_vec_qIL9ggml_type14ELi5ELb0ELb0EEvPKvS2_PKi31ggml_cuda_mm_fusion_args_devicePfj15HIP_vector_typeIjLj3EEjjjS8_jjjS8_jjjj,comdat
.Lfunc_end152:
	.size	_ZL13mul_mat_vec_qIL9ggml_type14ELi5ELb0ELb0EEvPKvS2_PKi31ggml_cuda_mm_fusion_args_devicePfj15HIP_vector_typeIjLj3EEjjjS8_jjjS8_jjjj, .Lfunc_end152-_ZL13mul_mat_vec_qIL9ggml_type14ELi5ELb0ELb0EEvPKvS2_PKi31ggml_cuda_mm_fusion_args_devicePfj15HIP_vector_typeIjLj3EEjjjS8_jjjS8_jjjj
                                        ; -- End function
	.section	.AMDGPU.csdata,"",@progbits
; Kernel info:
; codeLenInByte = 3616
; NumSgprs: 34
; NumVgprs: 60
; NumAgprs: 0
; TotalNumVgprs: 60
; ScratchSize: 48
; MemoryBound: 0
; FloatMode: 240
; IeeeMode: 1
; LDSByteSize: 0 bytes/workgroup (compile time only)
; SGPRBlocks: 4
; VGPRBlocks: 7
; NumSGPRsForWavesPerEU: 34
; NumVGPRsForWavesPerEU: 60
; AccumOffset: 60
; Occupancy: 8
; WaveLimiterHint : 0
; COMPUTE_PGM_RSRC2:SCRATCH_EN: 1
; COMPUTE_PGM_RSRC2:USER_SGPR: 2
; COMPUTE_PGM_RSRC2:TRAP_HANDLER: 0
; COMPUTE_PGM_RSRC2:TGID_X_EN: 1
; COMPUTE_PGM_RSRC2:TGID_Y_EN: 1
; COMPUTE_PGM_RSRC2:TGID_Z_EN: 1
; COMPUTE_PGM_RSRC2:TIDIG_COMP_CNT: 1
; COMPUTE_PGM_RSRC3_GFX90A:ACCUM_OFFSET: 14
; COMPUTE_PGM_RSRC3_GFX90A:TG_SPLIT: 0
	.section	.text._ZL13mul_mat_vec_qIL9ggml_type14ELi6ELb0ELb0EEvPKvS2_PKi31ggml_cuda_mm_fusion_args_devicePfj15HIP_vector_typeIjLj3EEjjjS8_jjjS8_jjjj,"axG",@progbits,_ZL13mul_mat_vec_qIL9ggml_type14ELi6ELb0ELb0EEvPKvS2_PKi31ggml_cuda_mm_fusion_args_devicePfj15HIP_vector_typeIjLj3EEjjjS8_jjjS8_jjjj,comdat
	.globl	_ZL13mul_mat_vec_qIL9ggml_type14ELi6ELb0ELb0EEvPKvS2_PKi31ggml_cuda_mm_fusion_args_devicePfj15HIP_vector_typeIjLj3EEjjjS8_jjjS8_jjjj ; -- Begin function _ZL13mul_mat_vec_qIL9ggml_type14ELi6ELb0ELb0EEvPKvS2_PKi31ggml_cuda_mm_fusion_args_devicePfj15HIP_vector_typeIjLj3EEjjjS8_jjjS8_jjjj
	.p2align	8
	.type	_ZL13mul_mat_vec_qIL9ggml_type14ELi6ELb0ELb0EEvPKvS2_PKi31ggml_cuda_mm_fusion_args_devicePfj15HIP_vector_typeIjLj3EEjjjS8_jjjS8_jjjj,@function
_ZL13mul_mat_vec_qIL9ggml_type14ELi6ELb0ELb0EEvPKvS2_PKi31ggml_cuda_mm_fusion_args_devicePfj15HIP_vector_typeIjLj3EEjjjS8_jjjS8_jjjj: ; @_ZL13mul_mat_vec_qIL9ggml_type14ELi6ELb0ELb0EEvPKvS2_PKi31ggml_cuda_mm_fusion_args_devicePfj15HIP_vector_typeIjLj3EEjjjS8_jjjS8_jjjj
; %bb.0:
	s_mov_b32 s20, 0
	s_mov_b32 s21, s20
	v_bfe_u32 v13, v0, 10, 10
	v_and_b32_e32 v12, 0x3ff, v0
	s_mov_b32 s22, s20
	s_mov_b32 s23, s20
	v_mov_b64_e32 v[0:1], s[20:21]
	s_load_dword s5, s[0:1], 0x40
	s_load_dwordx4 s[8:11], s[0:1], 0x50
	s_load_dword s25, s[0:1], 0x60
	s_load_dwordx4 s[12:15], s[0:1], 0x68
	s_load_dword s24, s[0:1], 0x78
	s_load_dwordx4 s[16:19], s[0:1], 0x80
	v_lshl_or_b32 v4, v13, 6, v12
	v_mov_b64_e32 v[2:3], s[22:23]
	s_waitcnt lgkmcnt(0)
	s_lshr_b32 s5, s5, 8
	scratch_store_dwordx4 off, v[0:3], off offset:32
	scratch_store_dwordx4 off, v[0:3], off offset:16
	scratch_store_dwordx4 off, v[0:3], off
	s_lshl_b32 s2, s2, 1
	s_nop 0
	v_lshrrev_b32_e32 v1, 5, v4
	v_cmp_gt_u32_e32 vcc, s5, v1
	s_and_saveexec_b64 s[6:7], vcc
	s_cbranch_execz .LBB153_4
; %bb.1:
	s_mul_hi_u32 s11, s11, s3
	s_add_i32 s11, s3, s11
	s_load_dwordx4 s[20:23], s[0:1], 0x0
	s_lshr_b32 s11, s11, s25
	s_mul_i32 s11, s11, s12
	s_mul_hi_u32 s12, s15, s4
	s_add_i32 s12, s4, s12
	s_lshr_b32 s12, s12, s24
	s_mul_i32 s19, s4, s17
	s_mul_i32 s15, s12, s16
	;; [unrolled: 1-line block ×3, first 2 shown]
	s_mul_hi_u32 s12, s19, 36
	s_waitcnt lgkmcnt(0)
	s_add_u32 s16, s22, s16
	s_addc_u32 s17, s23, s12
	s_mul_i32 s12, s3, s13
	s_mul_hi_u32 s13, s12, 36
	s_mul_i32 s12, s12, 36
	v_and_b32_e32 v3, 15, v12
	s_add_u32 s16, s16, s12
	v_bfe_u32 v2, v12, 4, 1
	v_lshrrev_b16_e32 v5, 3, v3
	s_addc_u32 s17, s17, s13
	v_lshl_or_b32 v7, v2, 2, v5
	v_lshlrev_b32_e32 v8, 3, v2
	v_lshrrev_b16_e32 v3, 2, v3
	v_and_b32_e32 v4, 7, v12
	v_mad_u64_u32 v[16:17], s[16:17], v7, 36, s[16:17]
	v_or_b32_e32 v14, v8, v3
	v_lshl_add_u32 v3, v13, 6, v12
	v_or_b32_e32 v2, v8, v4
	v_lshrrev_b32_e32 v3, 5, v3
	s_movk_i32 s17, 0x120
	v_mov_b64_e32 v[8:9], s[12:13]
	v_mad_u64_u32 v[8:9], s[12:13], v3, s17, v[8:9]
	v_mad_u64_u32 v[8:9], s[12:13], s19, 36, v[8:9]
	;; [unrolled: 1-line block ×3, first 2 shown]
	v_and_b32_e32 v0, 31, v12
	s_add_i32 s13, s2, 1
	v_lshlrev_b32_e32 v0, 1, v0
	v_mov_b32_e32 v15, 0
	v_lshlrev_b32_e32 v6, 1, v2
	s_mul_i32 s16, s2, s8
	s_add_i32 s12, s15, s11
	s_mul_i32 s8, s8, s13
	v_lshlrev_b32_e32 v2, 1, v5
	v_lshlrev_b32_e32 v18, 2, v4
	v_mov_b32_e32 v19, v15
	v_lshl_add_u64 v[20:21], s[22:23], 0, v[8:9]
	s_add_i32 s11, s12, s16
	s_lshl_b32 s15, s9, 1
	v_lshlrev_b32_e32 v5, 3, v1
	s_mul_i32 s19, s9, 3
	s_lshl_b32 s22, s9, 2
	s_mul_i32 s23, s9, 5
	s_add_i32 s8, s12, s8
	s_mov_b64 s[12:13], 0
	s_movk_i32 s24, 0xd2
	v_mov_b64_e32 v[22:23], s[20:21]
	v_lshlrev_b32_e32 v24, 1, v0
	v_lshlrev_b32_e32 v26, 1, v6
	s_mov_b32 s20, 0x30303030
	s_movk_i32 s21, 0x3f00
	s_movk_i32 s25, 0xe000
	v_lshlrev_b32_e32 v28, 2, v4
	s_mov_b64 s[16:17], 0x240
	v_mov_b32_e32 v25, v15
	v_mov_b32_e32 v27, v15
	;; [unrolled: 1-line block ×16, first 2 shown]
.LBB153_2:                              ; =>This Inner Loop Header: Depth=1
	v_add_u32_e32 v9, s11, v1
	v_lshl_add_u64 v[36:37], v[20:21], 0, v[18:19]
	global_load_dword v48, v[36:37], off offset:4
	global_load_dword v50, v[20:21], off
	global_load_dword v49, v[36:37], off offset:76
	global_load_dword v51, v[20:21], off offset:72
	v_mad_i64_i32 v[36:37], s[26:27], v9, s24, v[22:23]
	v_lshl_add_u64 v[40:41], v[36:37], 0, v[26:27]
	v_lshl_add_u64 v[38:39], v[36:37], 0, v[24:25]
	global_load_dword v9, v[40:41], off offset:128
	v_lshl_add_u64 v[42:43], v[36:37], 0, v[14:15]
	global_load_dword v41, v[38:39], off
	global_load_ushort v10, v[36:37], off offset:208
	v_mov_b32_e32 v54, 0
	global_load_sbyte v38, v[42:43], off offset:192
	v_mov_b32_e32 v59, 0
	v_mov_b32_e32 v60, 0
	;; [unrolled: 1-line block ×3, first 2 shown]
	v_lshl_add_u64 v[20:21], v[20:21], 0, s[16:17]
	s_waitcnt vmcnt(3)
	v_ashrrev_i32_e32 v9, v2, v9
	v_lshlrev_b32_e32 v39, 4, v9
	s_waitcnt vmcnt(2)
	v_and_b32_e32 v36, 0xf0f0f0f, v41
	v_and_or_b32 v36, v39, s20, v36
	v_lshlrev_b16_e32 v40, 8, v36
	v_and_b32_e32 v39, 0x3f00, v36
	v_add_u16_e32 v40, 0xe000, v40
	v_or_b32_sdwa v39, v39, v40 dst_sel:DWORD dst_unused:UNUSED_PAD src0_sel:DWORD src1_sel:BYTE_1
	v_and_b32_sdwa v40, v36, s21 dst_sel:DWORD dst_unused:UNUSED_PAD src0_sel:WORD_1 src1_sel:DWORD
	v_lshlrev_b16_sdwa v36, v6, v36 dst_sel:DWORD dst_unused:UNUSED_PAD src0_sel:DWORD src1_sel:WORD_1
	v_add_u16_e32 v36, 0xe000, v36
	v_or_b32_sdwa v36, v40, v36 dst_sel:DWORD dst_unused:UNUSED_PAD src0_sel:DWORD src1_sel:BYTE_1
	v_add_u16_e32 v39, 0xe000, v39
	v_add_u16_sdwa v36, v36, s25 dst_sel:WORD_1 dst_unused:UNUSED_PAD src0_sel:DWORD src1_sel:DWORD
	v_lshrrev_b32_e32 v41, 4, v41
	v_or_b32_e32 v40, v39, v36
	global_load_sbyte v39, v[42:43], off offset:196
	v_and_b32_e32 v41, 0xf0f0f0f, v41
	v_and_or_b32 v9, v9, s20, v41
	v_lshlrev_b16_e32 v42, 8, v9
	v_and_b32_e32 v41, 0x3f00, v9
	v_add_u16_e32 v42, 0xe000, v42
	v_or_b32_sdwa v41, v41, v42 dst_sel:DWORD dst_unused:UNUSED_PAD src0_sel:DWORD src1_sel:BYTE_1
	v_and_b32_sdwa v42, v9, s21 dst_sel:DWORD dst_unused:UNUSED_PAD src0_sel:WORD_1 src1_sel:DWORD
	v_lshlrev_b16_sdwa v9, v6, v9 dst_sel:DWORD dst_unused:UNUSED_PAD src0_sel:DWORD src1_sel:WORD_1
	v_add_u16_e32 v9, 0xe000, v9
	v_or_b32_sdwa v9, v42, v9 dst_sel:DWORD dst_unused:UNUSED_PAD src0_sel:DWORD src1_sel:BYTE_1
	v_add_u16_e32 v41, 0xe000, v41
	v_add_u16_sdwa v9, v9, s25 dst_sel:WORD_1 dst_unused:UNUSED_PAD src0_sel:DWORD src1_sel:DWORD
	v_mov_b32_e32 v36, 0
	v_or_b32_e32 v41, v41, v9
	v_mov_b32_e32 v9, 0
	v_dot4c_i32_i8_e32 v9, v41, v49
	v_dot4c_i32_i8_e32 v36, v40, v48
	s_waitcnt vmcnt(2)
	v_cvt_f32_f16_e32 v37, v10
	s_waitcnt vmcnt(0)
	v_mul_lo_u32 v9, v9, v39
	v_cvt_f32_i32_e32 v52, v9
	v_add_u32_e32 v9, s8, v1
	v_mad_i64_i32 v[42:43], s[26:27], v9, s24, v[22:23]
	v_lshl_add_u64 v[46:47], v[42:43], 0, v[26:27]
	v_lshl_add_u64 v[44:45], v[42:43], 0, v[24:25]
	global_load_dword v9, v[46:47], off offset:128
	v_mul_lo_u32 v36, v36, v38
	global_load_dword v47, v[44:45], off
	v_cvt_f32_i32_e32 v36, v36
	v_add_u32_e32 v1, 2, v1
	v_cmp_le_u32_e32 vcc, s5, v1
	s_or_b64 s[12:13], vcc, s[12:13]
	v_fma_mix_f32 v36, v50, v36, 0 op_sel_hi:[1,0,0]
	s_waitcnt vmcnt(1)
	v_ashrrev_i32_e32 v46, v2, v9
	global_load_ushort v9, v[42:43], off offset:208
	v_lshl_add_u64 v[44:45], v[42:43], 0, v[14:15]
	s_waitcnt vmcnt(1)
	v_and_b32_e32 v42, 0xf0f0f0f, v47
	v_lshlrev_b32_e32 v43, 4, v46
	v_and_or_b32 v42, v43, s20, v42
	v_lshlrev_b16_e32 v53, 8, v42
	v_and_b32_e32 v43, 0x3f00, v42
	v_add_u16_e32 v53, 0xe000, v53
	v_or_b32_sdwa v43, v43, v53 dst_sel:DWORD dst_unused:UNUSED_PAD src0_sel:DWORD src1_sel:BYTE_1
	v_and_b32_sdwa v53, v42, s21 dst_sel:DWORD dst_unused:UNUSED_PAD src0_sel:WORD_1 src1_sel:DWORD
	v_lshlrev_b16_sdwa v42, v6, v42 dst_sel:DWORD dst_unused:UNUSED_PAD src0_sel:DWORD src1_sel:WORD_1
	v_add_u16_e32 v42, 0xe000, v42
	v_or_b32_sdwa v42, v53, v42 dst_sel:DWORD dst_unused:UNUSED_PAD src0_sel:DWORD src1_sel:BYTE_1
	v_add_u16_e32 v43, 0xe000, v43
	v_add_u16_sdwa v42, v42, s25 dst_sel:WORD_1 dst_unused:UNUSED_PAD src0_sel:DWORD src1_sel:DWORD
	v_mov_b32_e32 v53, 0
	v_or_b32_e32 v43, v43, v42
	v_lshrrev_b32_e32 v42, 4, v47
	v_and_b32_e32 v42, 0xf0f0f0f, v42
	v_and_or_b32 v42, v46, s20, v42
	v_lshlrev_b16_e32 v47, 8, v42
	v_and_b32_e32 v46, 0x3f00, v42
	v_add_u16_e32 v47, 0xe000, v47
	v_or_b32_sdwa v46, v46, v47 dst_sel:DWORD dst_unused:UNUSED_PAD src0_sel:DWORD src1_sel:BYTE_1
	v_and_b32_sdwa v47, v42, s21 dst_sel:DWORD dst_unused:UNUSED_PAD src0_sel:WORD_1 src1_sel:DWORD
	v_lshlrev_b16_sdwa v42, v6, v42 dst_sel:DWORD dst_unused:UNUSED_PAD src0_sel:DWORD src1_sel:WORD_1
	v_add_u16_e32 v42, 0xe000, v42
	v_or_b32_sdwa v42, v47, v42 dst_sel:DWORD dst_unused:UNUSED_PAD src0_sel:DWORD src1_sel:BYTE_1
	v_add_u16_e32 v46, 0xe000, v46
	v_add_u16_sdwa v42, v42, s25 dst_sel:WORD_1 dst_unused:UNUSED_PAD src0_sel:DWORD src1_sel:DWORD
	v_dot4c_i32_i8_e32 v53, v43, v48
	v_or_b32_e32 v42, v46, v42
	v_add_u32_e32 v46, s9, v5
	v_mad_u64_u32 v[46:47], s[26:27], v46, 36, v[16:17]
	v_dot4c_i32_i8_e32 v54, v42, v49
	v_lshl_add_u64 v[48:49], v[46:47], 0, v[28:29]
	global_load_dword v55, v[48:49], off offset:4
	global_load_dword v56, v[46:47], off
	global_load_dword v57, v[48:49], off offset:76
	global_load_dword v58, v[46:47], off offset:72
	v_fma_mix_f32 v36, v51, v52, v36 op_sel_hi:[1,0,0]
	global_load_sbyte v52, v[44:45], off offset:192
	v_cvt_f32_f16_e32 v46, v50
	v_cvt_f32_f16_e32 v48, v51
	v_fma_mix_f32 v8, v36, v10, v8 op_sel_hi:[0,1,0]
	s_waitcnt vmcnt(5)
	v_cvt_f32_f16_e32 v36, v9
	s_waitcnt vmcnt(4)
	v_dot4c_i32_i8_e32 v59, v40, v55
	s_nop 2
	v_mul_lo_u32 v51, v59, v38
	s_waitcnt vmcnt(3)
	v_cvt_f32_f16_e32 v47, v56
	v_cvt_f32_i32_e32 v51, v51
	s_waitcnt vmcnt(2)
	v_dot4c_i32_i8_e32 v60, v41, v57
	s_waitcnt vmcnt(0)
	v_mul_lo_u32 v50, v53, v52
	v_cvt_f32_i32_e32 v50, v50
	v_cvt_f32_f16_e32 v49, v58
	v_pk_fma_f32 v[46:47], v[46:47], v[50:51], 0 op_sel_hi:[1,1,0]
	global_load_sbyte v50, v[44:45], off offset:196
	v_mul_lo_u32 v45, v60, v39
	v_cvt_f32_i32_e32 v45, v45
	s_waitcnt vmcnt(0)
	v_mul_lo_u32 v44, v54, v50
	v_cvt_f32_i32_e32 v44, v44
	v_pk_fma_f32 v[44:45], v[48:49], v[44:45], v[46:47]
	s_nop 0
	v_pk_fma_f32 v[34:35], v[44:45], v[36:37], v[34:35]
	v_mov_b32_e32 v44, 0
	v_dot4c_i32_i8_e32 v44, v43, v55
	v_mov_b32_e32 v45, 0
	v_dot4c_i32_i8_e32 v45, v42, v57
	v_mov_b32_e32 v57, 0
	v_mul_lo_u32 v44, v44, v52
	v_cvt_f32_i32_e32 v44, v44
	v_mul_lo_u32 v45, v45, v50
	v_cvt_f32_i32_e32 v45, v45
	v_fma_mix_f32 v44, v56, v44, 0 op_sel_hi:[1,0,0]
	v_mov_b32_e32 v56, 0
	v_fma_mix_f32 v44, v58, v45, v44 op_sel_hi:[1,0,0]
	s_nop 0
	v_fma_mix_f32 v11, v44, v9, v11 op_sel_hi:[0,1,0]
	v_add_u32_e32 v44, s15, v5
	v_mad_u64_u32 v[44:45], s[26:27], v44, 36, v[16:17]
	v_lshl_add_u64 v[46:47], v[44:45], 0, v[28:29]
	global_load_dword v48, v[46:47], off offset:4
	global_load_dword v49, v[44:45], off
	global_load_dword v51, v[46:47], off offset:76
	global_load_dword v53, v[44:45], off offset:72
	v_mov_b32_e32 v44, 0
	s_waitcnt vmcnt(3)
	v_dot4c_i32_i8_e32 v44, v40, v48
	s_nop 2
	v_mul_lo_u32 v44, v44, v38
	v_cvt_f32_i32_e32 v54, v44
	v_mov_b32_e32 v44, 0
	s_waitcnt vmcnt(1)
	v_dot4c_i32_i8_e32 v44, v41, v51
	v_dot4c_i32_i8_e32 v57, v42, v51
	;; [unrolled: 1-line block ×3, first 2 shown]
	v_mov_b32_e32 v48, 0
	v_mul_lo_u32 v44, v44, v39
	v_cvt_f32_i32_e32 v55, v44
	v_add_u32_e32 v44, s19, v5
	v_mad_u64_u32 v[44:45], s[26:27], v44, 36, v[16:17]
	v_lshl_add_u64 v[46:47], v[44:45], 0, v[28:29]
	global_load_dword v51, v[46:47], off offset:4
	global_load_dword v58, v[44:45], off
	global_load_dword v59, v[46:47], off offset:76
	global_load_dword v60, v[44:45], off offset:72
	v_cvt_f32_f16_e32 v44, v49
	v_fma_mix_f32 v49, v49, v54, 0 op_sel_hi:[1,0,0]
	s_waitcnt vmcnt(4)
	v_cvt_f32_f16_e32 v46, v53
	v_fma_mix_f32 v49, v53, v55, v49 op_sel_hi:[1,0,0]
	v_mul_lo_u32 v53, v56, v52
	v_fma_mix_f32 v4, v49, v10, v4 op_sel_hi:[0,1,0]
	v_mov_b32_e32 v56, 0
	s_waitcnt vmcnt(3)
	v_dot4c_i32_i8_e32 v48, v40, v51
	s_nop 2
	v_mul_lo_u32 v48, v48, v38
	s_waitcnt vmcnt(2)
	v_cvt_f32_f16_e32 v45, v58
	v_cvt_f32_i32_e32 v49, v48
	v_cvt_f32_i32_e32 v48, v53
	s_waitcnt vmcnt(1)
	v_dot4c_i32_i8_e32 v61, v41, v59
	s_waitcnt vmcnt(0)
	v_cvt_f32_f16_e32 v47, v60
	v_pk_fma_f32 v[44:45], v[44:45], v[48:49], 0 op_sel_hi:[1,1,0]
	v_mul_lo_u32 v48, v57, v50
	v_mul_lo_u32 v49, v61, v39
	v_cvt_f32_i32_e32 v49, v49
	v_cvt_f32_i32_e32 v48, v48
	v_pk_fma_f32 v[44:45], v[46:47], v[48:49], v[44:45]
	s_nop 0
	v_pk_fma_f32 v[32:33], v[44:45], v[36:37], v[32:33]
	v_mov_b32_e32 v44, 0
	v_dot4c_i32_i8_e32 v44, v43, v51
	v_mov_b32_e32 v45, 0
	v_dot4c_i32_i8_e32 v45, v42, v59
	s_nop 0
	v_mul_lo_u32 v44, v44, v52
	v_cvt_f32_i32_e32 v44, v44
	v_mul_lo_u32 v45, v45, v50
	v_cvt_f32_i32_e32 v45, v45
	v_fma_mix_f32 v44, v58, v44, 0 op_sel_hi:[1,0,0]
	s_nop 0
	v_fma_mix_f32 v44, v60, v45, v44 op_sel_hi:[1,0,0]
	s_nop 0
	v_fma_mix_f32 v7, v44, v9, v7 op_sel_hi:[0,1,0]
	v_add_u32_e32 v44, s22, v5
	v_mad_u64_u32 v[44:45], s[26:27], v44, 36, v[16:17]
	v_lshl_add_u64 v[46:47], v[44:45], 0, v[28:29]
	global_load_dword v48, v[46:47], off offset:4
	global_load_dword v49, v[44:45], off
	global_load_dword v51, v[46:47], off offset:76
	global_load_dword v53, v[44:45], off offset:72
	v_mov_b32_e32 v44, 0
	v_mov_b32_e32 v60, 0
	s_waitcnt vmcnt(3)
	v_dot4c_i32_i8_e32 v44, v40, v48
	s_nop 2
	v_mul_lo_u32 v44, v44, v38
	v_cvt_f32_i32_e32 v54, v44
	v_mov_b32_e32 v44, 0
	s_waitcnt vmcnt(1)
	v_dot4c_i32_i8_e32 v44, v41, v51
	v_dot4c_i32_i8_e32 v56, v43, v48
	v_mov_b32_e32 v48, 0
	v_dot4c_i32_i8_e32 v48, v42, v51
	v_mul_lo_u32 v44, v44, v39
	v_cvt_f32_i32_e32 v55, v44
	v_add_u32_e32 v44, s23, v5
	v_mad_u64_u32 v[44:45], s[26:27], v44, 36, v[16:17]
	v_lshl_add_u64 v[46:47], v[44:45], 0, v[28:29]
	global_load_dword v51, v[46:47], off offset:4
	global_load_dword v57, v[44:45], off
	global_load_dword v58, v[46:47], off offset:76
	global_load_dword v59, v[44:45], off offset:72
	v_mov_b32_e32 v46, 0
	v_fma_mix_f32 v47, v49, v54, 0 op_sel_hi:[1,0,0]
	s_waitcnt vmcnt(4)
	v_cvt_f32_f16_e32 v44, v53
	v_fma_mix_f32 v47, v53, v55, v47 op_sel_hi:[1,0,0]
	v_add_u32_e32 v5, 16, v5
	v_fma_mix_f32 v0, v47, v10, v0 op_sel_hi:[0,1,0]
	v_mul_lo_u32 v10, v56, v52
	s_waitcnt vmcnt(3)
	v_dot4c_i32_i8_e32 v46, v40, v51
	s_nop 2
	v_mul_lo_u32 v38, v46, v38
	s_waitcnt vmcnt(1)
	v_dot4c_i32_i8_e32 v60, v41, v58
	v_cvt_f32_f16_e32 v41, v57
	v_cvt_f32_f16_e32 v40, v49
	v_cvt_f32_i32_e32 v47, v38
	v_cvt_f32_i32_e32 v46, v10
	v_mul_lo_u32 v10, v48, v50
	v_mul_lo_u32 v38, v60, v39
	s_waitcnt vmcnt(0)
	v_cvt_f32_f16_e32 v45, v59
	v_cvt_f32_i32_e32 v39, v38
	v_cvt_f32_i32_e32 v38, v10
	v_pk_fma_f32 v[40:41], v[40:41], v[46:47], 0 op_sel_hi:[1,1,0]
	v_mov_b32_e32 v10, 0
	v_dot4c_i32_i8_e32 v10, v43, v51
	v_pk_fma_f32 v[38:39], v[44:45], v[38:39], v[40:41]
	s_nop 0
	v_pk_fma_f32 v[30:31], v[38:39], v[36:37], v[30:31]
	v_mov_b32_e32 v36, 0
	v_mul_lo_u32 v10, v10, v52
	v_dot4c_i32_i8_e32 v36, v42, v58
	v_cvt_f32_i32_e32 v10, v10
	v_fma_mix_f32 v10, v57, v10, 0 op_sel_hi:[1,0,0]
	s_nop 0
	v_mul_lo_u32 v36, v36, v50
	v_cvt_f32_i32_e32 v36, v36
	v_fma_mix_f32 v10, v59, v36, v10 op_sel_hi:[1,0,0]
	s_nop 0
	v_fma_mix_f32 v3, v10, v9, v3 op_sel_hi:[0,1,0]
	s_andn2_b64 exec, exec, s[12:13]
	s_cbranch_execnz .LBB153_2
; %bb.3:
	s_or_b64 exec, exec, s[12:13]
	v_mov_b32_e32 v9, v34
	v_mov_b32_e32 v10, v35
	;; [unrolled: 1-line block ×6, first 2 shown]
	scratch_store_dwordx4 off, v[8:11], off
	scratch_store_dwordx4 off, v[4:7], off offset:16
	scratch_store_dwordx4 off, v[0:3], off offset:32
.LBB153_4:
	s_or_b64 exec, exec, s[6:7]
	s_mov_b32 s5, 0
	v_cmp_eq_u32_e32 vcc, 0, v13
	s_waitcnt lgkmcnt(0)
	; wave barrier
	s_and_saveexec_b64 s[6:7], vcc
	s_cbranch_execz .LBB153_17
; %bb.5:
	scratch_load_dwordx2 v[2:3], off, off
	v_mbcnt_lo_u32_b32 v0, -1, 0
	v_mbcnt_hi_u32_b32 v13, -1, v0
	s_load_dwordx2 s[6:7], s[0:1], 0x38
	s_mul_i32 s0, s3, s14
	v_or_b32_e32 v1, s2, v12
	v_and_b32_e32 v0, 64, v13
	s_mul_i32 s4, s4, s18
	s_add_i32 s2, s0, s2
	v_cmp_gt_u32_e64 s[0:1], s10, v1
	v_xor_b32_e32 v1, 32, v13
	v_add_u32_e32 v14, 64, v0
	s_add_i32 s4, s2, s4
	v_cmp_lt_i32_e64 s[2:3], v1, v14
	v_cmp_gt_u32_e32 vcc, 2, v12
	s_nop 0
	v_cndmask_b32_e64 v0, v13, v1, s[2:3]
	v_lshlrev_b32_e32 v0, 2, v0
	v_xor_b32_e32 v1, 16, v13
	v_cmp_lt_i32_e64 s[2:3], v1, v14
	s_waitcnt vmcnt(0)
	ds_bpermute_b32 v4, v0, v2
	ds_bpermute_b32 v5, v0, v3
	v_cndmask_b32_e64 v1, v13, v1, s[2:3]
	v_lshlrev_b32_e32 v1, 2, v1
	s_waitcnt lgkmcnt(0)
	v_pk_add_f32 v[4:5], v[2:3], v[4:5]
	ds_bpermute_b32 v6, v1, v4
	ds_bpermute_b32 v7, v1, v5
	v_xor_b32_e32 v2, 8, v13
	v_cmp_lt_i32_e64 s[2:3], v2, v14
	v_xor_b32_e32 v3, 4, v13
	s_waitcnt lgkmcnt(0)
	v_pk_add_f32 v[4:5], v[4:5], v[6:7]
	v_cndmask_b32_e64 v2, v13, v2, s[2:3]
	v_lshlrev_b32_e32 v2, 2, v2
	ds_bpermute_b32 v6, v2, v4
	ds_bpermute_b32 v7, v2, v5
	v_cmp_lt_i32_e64 s[2:3], v3, v14
	s_waitcnt lgkmcnt(0)
	v_pk_add_f32 v[6:7], v[4:5], v[6:7]
	v_cndmask_b32_e64 v3, v13, v3, s[2:3]
	v_lshlrev_b32_e32 v3, 2, v3
	ds_bpermute_b32 v8, v3, v6
	ds_bpermute_b32 v9, v3, v7
	v_xor_b32_e32 v4, 2, v13
	v_cmp_lt_i32_e64 s[2:3], v4, v14
	v_xor_b32_e32 v5, 1, v13
	s_waitcnt lgkmcnt(0)
	v_pk_add_f32 v[8:9], v[6:7], v[8:9]
	v_cndmask_b32_e64 v4, v13, v4, s[2:3]
	v_lshlrev_b32_e32 v4, 2, v4
	ds_bpermute_b32 v10, v4, v8
	ds_bpermute_b32 v11, v4, v9
	v_cmp_lt_i32_e64 s[2:3], v5, v14
	s_waitcnt lgkmcnt(0)
	v_pk_add_f32 v[8:9], v[8:9], v[10:11]
	v_cndmask_b32_e64 v5, v13, v5, s[2:3]
	v_lshlrev_b32_e32 v6, 2, v5
	ds_bpermute_b32 v10, v6, v8
	ds_bpermute_b32 v11, v6, v9
	s_lshl_b64 s[2:3], s[4:5], 2
	s_add_u32 s2, s6, s2
	s_addc_u32 s3, s7, s3
	s_and_b64 s[0:1], vcc, s[0:1]
	s_waitcnt lgkmcnt(0)
	v_pk_add_f32 v[8:9], v[8:9], v[10:11]
	v_lshlrev_b32_e32 v5, 2, v12
	scratch_store_dwordx2 off, v[8:9], off
	s_and_saveexec_b64 s[4:5], s[0:1]
	s_cbranch_execz .LBB153_7
; %bb.6:
	scratch_load_dword v7, v5, off
	s_waitcnt vmcnt(0)
	global_store_dword v5, v7, s[2:3]
.LBB153_7:
	s_or_b64 exec, exec, s[4:5]
	scratch_load_dwordx2 v[8:9], off, off offset:8
	s_waitcnt vmcnt(0)
	ds_bpermute_b32 v10, v0, v8
	ds_bpermute_b32 v11, v0, v9
	s_waitcnt lgkmcnt(0)
	v_pk_add_f32 v[8:9], v[8:9], v[10:11]
	ds_bpermute_b32 v10, v1, v8
	ds_bpermute_b32 v11, v1, v9
	s_waitcnt lgkmcnt(0)
	v_pk_add_f32 v[8:9], v[8:9], v[10:11]
	;; [unrolled: 4-line block ×6, first 2 shown]
	scratch_store_dwordx2 off, v[8:9], off offset:8
	s_and_saveexec_b64 s[4:5], s[0:1]
	s_cbranch_execz .LBB153_9
; %bb.8:
	scratch_load_dword v7, v5, off offset:8
	v_add_u32_e32 v8, s10, v12
	v_mov_b32_e32 v9, 0
	v_lshl_add_u64 v[8:9], v[8:9], 2, s[2:3]
	s_waitcnt vmcnt(0)
	global_store_dword v[8:9], v7, off
.LBB153_9:
	s_or_b64 exec, exec, s[4:5]
	scratch_load_dwordx2 v[8:9], off, off offset:16
	s_waitcnt vmcnt(0)
	ds_bpermute_b32 v10, v0, v8
	ds_bpermute_b32 v11, v0, v9
	s_waitcnt lgkmcnt(0)
	v_pk_add_f32 v[8:9], v[8:9], v[10:11]
	ds_bpermute_b32 v10, v1, v8
	ds_bpermute_b32 v11, v1, v9
	s_waitcnt lgkmcnt(0)
	v_pk_add_f32 v[8:9], v[8:9], v[10:11]
	;; [unrolled: 4-line block ×6, first 2 shown]
	scratch_store_dwordx2 off, v[8:9], off offset:16
	s_and_saveexec_b64 s[4:5], s[0:1]
	s_cbranch_execz .LBB153_11
; %bb.10:
	scratch_load_dword v7, v5, off offset:16
	v_lshl_or_b32 v8, s10, 1, v12
	v_mov_b32_e32 v9, 0
	v_lshl_add_u64 v[8:9], v[8:9], 2, s[2:3]
	s_waitcnt vmcnt(0)
	global_store_dword v[8:9], v7, off
.LBB153_11:
	s_or_b64 exec, exec, s[4:5]
	scratch_load_dwordx2 v[8:9], off, off offset:24
	s_waitcnt vmcnt(0)
	ds_bpermute_b32 v10, v0, v8
	ds_bpermute_b32 v11, v0, v9
	s_waitcnt lgkmcnt(0)
	v_pk_add_f32 v[8:9], v[8:9], v[10:11]
	ds_bpermute_b32 v10, v1, v8
	ds_bpermute_b32 v11, v1, v9
	s_waitcnt lgkmcnt(0)
	v_pk_add_f32 v[8:9], v[8:9], v[10:11]
	;; [unrolled: 4-line block ×6, first 2 shown]
	scratch_store_dwordx2 off, v[8:9], off offset:24
	s_and_saveexec_b64 s[4:5], s[0:1]
	s_cbranch_execz .LBB153_13
; %bb.12:
	scratch_load_dword v7, v5, off offset:24
	v_mad_u64_u32 v[8:9], s[6:7], s10, 3, v[12:13]
	v_mov_b32_e32 v9, 0
	v_lshl_add_u64 v[8:9], v[8:9], 2, s[2:3]
	s_waitcnt vmcnt(0)
	global_store_dword v[8:9], v7, off
.LBB153_13:
	s_or_b64 exec, exec, s[4:5]
	scratch_load_dwordx2 v[8:9], off, off offset:32
	s_waitcnt vmcnt(0)
	ds_bpermute_b32 v10, v0, v8
	ds_bpermute_b32 v11, v0, v9
	s_waitcnt lgkmcnt(0)
	v_pk_add_f32 v[8:9], v[8:9], v[10:11]
	ds_bpermute_b32 v10, v1, v8
	ds_bpermute_b32 v11, v1, v9
	s_waitcnt lgkmcnt(0)
	v_pk_add_f32 v[8:9], v[8:9], v[10:11]
	;; [unrolled: 4-line block ×6, first 2 shown]
	scratch_store_dwordx2 off, v[8:9], off offset:32
	s_and_saveexec_b64 s[4:5], s[0:1]
	s_cbranch_execz .LBB153_15
; %bb.14:
	scratch_load_dword v7, v5, off offset:32
	v_lshl_or_b32 v8, s10, 2, v12
	v_mov_b32_e32 v9, 0
	v_lshl_add_u64 v[8:9], v[8:9], 2, s[2:3]
	s_waitcnt vmcnt(0)
	global_store_dword v[8:9], v7, off
.LBB153_15:
	s_or_b64 exec, exec, s[4:5]
	scratch_load_dwordx2 v[8:9], off, off offset:40
	s_waitcnt vmcnt(0)
	ds_bpermute_b32 v10, v0, v8
	ds_bpermute_b32 v11, v0, v9
	s_waitcnt lgkmcnt(0)
	v_pk_add_f32 v[8:9], v[8:9], v[10:11]
	ds_bpermute_b32 v0, v1, v8
	ds_bpermute_b32 v1, v1, v9
	s_waitcnt lgkmcnt(0)
	v_pk_add_f32 v[0:1], v[8:9], v[0:1]
	;; [unrolled: 4-line block ×6, first 2 shown]
	scratch_store_dwordx2 off, v[0:1], off offset:40
	s_and_b64 exec, exec, s[0:1]
	s_cbranch_execz .LBB153_17
; %bb.16:
	scratch_load_dword v2, v5, off offset:40
	v_mad_u64_u32 v[0:1], s[0:1], s10, 5, v[12:13]
	v_mov_b32_e32 v1, 0
	v_lshl_add_u64 v[0:1], v[0:1], 2, s[2:3]
	s_waitcnt vmcnt(0)
	global_store_dword v[0:1], v2, off
.LBB153_17:
	s_endpgm
	.section	.rodata,"a",@progbits
	.p2align	6, 0x0
	.amdhsa_kernel _ZL13mul_mat_vec_qIL9ggml_type14ELi6ELb0ELb0EEvPKvS2_PKi31ggml_cuda_mm_fusion_args_devicePfj15HIP_vector_typeIjLj3EEjjjS8_jjjS8_jjjj
		.amdhsa_group_segment_fixed_size 0
		.amdhsa_private_segment_fixed_size 64
		.amdhsa_kernarg_size 144
		.amdhsa_user_sgpr_count 2
		.amdhsa_user_sgpr_dispatch_ptr 0
		.amdhsa_user_sgpr_queue_ptr 0
		.amdhsa_user_sgpr_kernarg_segment_ptr 1
		.amdhsa_user_sgpr_dispatch_id 0
		.amdhsa_user_sgpr_kernarg_preload_length 0
		.amdhsa_user_sgpr_kernarg_preload_offset 0
		.amdhsa_user_sgpr_private_segment_size 0
		.amdhsa_uses_dynamic_stack 0
		.amdhsa_enable_private_segment 1
		.amdhsa_system_sgpr_workgroup_id_x 1
		.amdhsa_system_sgpr_workgroup_id_y 1
		.amdhsa_system_sgpr_workgroup_id_z 1
		.amdhsa_system_sgpr_workgroup_info 0
		.amdhsa_system_vgpr_workitem_id 1
		.amdhsa_next_free_vgpr 62
		.amdhsa_next_free_sgpr 28
		.amdhsa_accum_offset 64
		.amdhsa_reserve_vcc 1
		.amdhsa_float_round_mode_32 0
		.amdhsa_float_round_mode_16_64 0
		.amdhsa_float_denorm_mode_32 3
		.amdhsa_float_denorm_mode_16_64 3
		.amdhsa_dx10_clamp 1
		.amdhsa_ieee_mode 1
		.amdhsa_fp16_overflow 0
		.amdhsa_tg_split 0
		.amdhsa_exception_fp_ieee_invalid_op 0
		.amdhsa_exception_fp_denorm_src 0
		.amdhsa_exception_fp_ieee_div_zero 0
		.amdhsa_exception_fp_ieee_overflow 0
		.amdhsa_exception_fp_ieee_underflow 0
		.amdhsa_exception_fp_ieee_inexact 0
		.amdhsa_exception_int_div_zero 0
	.end_amdhsa_kernel
	.section	.text._ZL13mul_mat_vec_qIL9ggml_type14ELi6ELb0ELb0EEvPKvS2_PKi31ggml_cuda_mm_fusion_args_devicePfj15HIP_vector_typeIjLj3EEjjjS8_jjjS8_jjjj,"axG",@progbits,_ZL13mul_mat_vec_qIL9ggml_type14ELi6ELb0ELb0EEvPKvS2_PKi31ggml_cuda_mm_fusion_args_devicePfj15HIP_vector_typeIjLj3EEjjjS8_jjjS8_jjjj,comdat
.Lfunc_end153:
	.size	_ZL13mul_mat_vec_qIL9ggml_type14ELi6ELb0ELb0EEvPKvS2_PKi31ggml_cuda_mm_fusion_args_devicePfj15HIP_vector_typeIjLj3EEjjjS8_jjjS8_jjjj, .Lfunc_end153-_ZL13mul_mat_vec_qIL9ggml_type14ELi6ELb0ELb0EEvPKvS2_PKi31ggml_cuda_mm_fusion_args_devicePfj15HIP_vector_typeIjLj3EEjjjS8_jjjS8_jjjj
                                        ; -- End function
	.section	.AMDGPU.csdata,"",@progbits
; Kernel info:
; codeLenInByte = 4048
; NumSgprs: 34
; NumVgprs: 62
; NumAgprs: 0
; TotalNumVgprs: 62
; ScratchSize: 64
; MemoryBound: 0
; FloatMode: 240
; IeeeMode: 1
; LDSByteSize: 0 bytes/workgroup (compile time only)
; SGPRBlocks: 4
; VGPRBlocks: 7
; NumSGPRsForWavesPerEU: 34
; NumVGPRsForWavesPerEU: 62
; AccumOffset: 64
; Occupancy: 8
; WaveLimiterHint : 0
; COMPUTE_PGM_RSRC2:SCRATCH_EN: 1
; COMPUTE_PGM_RSRC2:USER_SGPR: 2
; COMPUTE_PGM_RSRC2:TRAP_HANDLER: 0
; COMPUTE_PGM_RSRC2:TGID_X_EN: 1
; COMPUTE_PGM_RSRC2:TGID_Y_EN: 1
; COMPUTE_PGM_RSRC2:TGID_Z_EN: 1
; COMPUTE_PGM_RSRC2:TIDIG_COMP_CNT: 1
; COMPUTE_PGM_RSRC3_GFX90A:ACCUM_OFFSET: 15
; COMPUTE_PGM_RSRC3_GFX90A:TG_SPLIT: 0
	.section	.text._ZL13mul_mat_vec_qIL9ggml_type14ELi7ELb0ELb0EEvPKvS2_PKi31ggml_cuda_mm_fusion_args_devicePfj15HIP_vector_typeIjLj3EEjjjS8_jjjS8_jjjj,"axG",@progbits,_ZL13mul_mat_vec_qIL9ggml_type14ELi7ELb0ELb0EEvPKvS2_PKi31ggml_cuda_mm_fusion_args_devicePfj15HIP_vector_typeIjLj3EEjjjS8_jjjS8_jjjj,comdat
	.globl	_ZL13mul_mat_vec_qIL9ggml_type14ELi7ELb0ELb0EEvPKvS2_PKi31ggml_cuda_mm_fusion_args_devicePfj15HIP_vector_typeIjLj3EEjjjS8_jjjS8_jjjj ; -- Begin function _ZL13mul_mat_vec_qIL9ggml_type14ELi7ELb0ELb0EEvPKvS2_PKi31ggml_cuda_mm_fusion_args_devicePfj15HIP_vector_typeIjLj3EEjjjS8_jjjS8_jjjj
	.p2align	8
	.type	_ZL13mul_mat_vec_qIL9ggml_type14ELi7ELb0ELb0EEvPKvS2_PKi31ggml_cuda_mm_fusion_args_devicePfj15HIP_vector_typeIjLj3EEjjjS8_jjjS8_jjjj,@function
_ZL13mul_mat_vec_qIL9ggml_type14ELi7ELb0ELb0EEvPKvS2_PKi31ggml_cuda_mm_fusion_args_devicePfj15HIP_vector_typeIjLj3EEjjjS8_jjjS8_jjjj: ; @_ZL13mul_mat_vec_qIL9ggml_type14ELi7ELb0ELb0EEvPKvS2_PKi31ggml_cuda_mm_fusion_args_devicePfj15HIP_vector_typeIjLj3EEjjjS8_jjjS8_jjjj
; %bb.0:
	s_mov_b32 s20, 0
	s_mov_b32 s21, s20
	v_bfe_u32 v13, v0, 10, 10
	v_and_b32_e32 v12, 0x3ff, v0
	v_mov_b32_e32 v15, 0
	s_mov_b32 s22, s20
	s_mov_b32 s23, s20
	v_mov_b64_e32 v[0:1], s[20:21]
	s_load_dword s5, s[0:1], 0x40
	s_load_dwordx4 s[8:11], s[0:1], 0x50
	s_load_dword s25, s[0:1], 0x60
	s_load_dwordx4 s[12:15], s[0:1], 0x68
	;; [unrolled: 2-line block ×3, first 2 shown]
	v_lshl_or_b32 v4, v13, 6, v12
	v_mov_b32_e32 v14, v15
	v_mov_b64_e32 v[2:3], s[22:23]
	s_waitcnt lgkmcnt(0)
	s_lshr_b32 s5, s5, 8
	scratch_store_dwordx2 off, v[14:15], off offset:48
	scratch_store_dwordx4 off, v[0:3], off offset:32
	scratch_store_dwordx4 off, v[0:3], off offset:16
	scratch_store_dwordx4 off, v[0:3], off
	s_lshl_b32 s2, s2, 1
	s_nop 0
	v_lshrrev_b32_e32 v1, 5, v4
	v_cmp_gt_u32_e32 vcc, s5, v1
	s_and_saveexec_b64 s[6:7], vcc
	s_cbranch_execz .LBB154_4
; %bb.1:
	s_mul_hi_u32 s11, s11, s3
	s_add_i32 s11, s3, s11
	s_load_dwordx4 s[20:23], s[0:1], 0x0
	s_lshr_b32 s11, s11, s25
	s_mul_i32 s11, s11, s12
	s_mul_hi_u32 s12, s15, s4
	s_add_i32 s12, s4, s12
	s_lshr_b32 s12, s12, s24
	s_mul_i32 s19, s4, s17
	s_mul_i32 s15, s12, s16
	;; [unrolled: 1-line block ×3, first 2 shown]
	s_mul_hi_u32 s12, s19, 36
	s_waitcnt lgkmcnt(0)
	s_add_u32 s16, s22, s16
	s_addc_u32 s17, s23, s12
	s_mul_i32 s12, s3, s13
	s_mul_hi_u32 s13, s12, 36
	s_mul_i32 s12, s12, 36
	v_and_b32_e32 v3, 15, v12
	s_add_u32 s16, s16, s12
	v_bfe_u32 v2, v12, 4, 1
	v_lshrrev_b16_e32 v5, 3, v3
	s_addc_u32 s17, s17, s13
	v_lshl_or_b32 v7, v2, 2, v5
	v_lshlrev_b32_e32 v8, 3, v2
	v_lshrrev_b16_e32 v3, 2, v3
	v_and_b32_e32 v4, 7, v12
	v_mad_u64_u32 v[16:17], s[16:17], v7, 36, s[16:17]
	v_or_b32_e32 v14, v8, v3
	v_lshl_add_u32 v3, v13, 6, v12
	v_or_b32_e32 v2, v8, v4
	v_lshrrev_b32_e32 v3, 5, v3
	s_movk_i32 s17, 0x120
	v_mov_b64_e32 v[8:9], s[12:13]
	v_mad_u64_u32 v[8:9], s[12:13], v3, s17, v[8:9]
	v_mad_u64_u32 v[8:9], s[12:13], s19, 36, v[8:9]
	;; [unrolled: 1-line block ×3, first 2 shown]
	v_and_b32_e32 v0, 31, v12
	s_add_i32 s13, s2, 1
	v_lshlrev_b32_e32 v0, 1, v0
	v_lshlrev_b32_e32 v6, 1, v2
	s_mul_i32 s16, s2, s8
	s_add_i32 s12, s15, s11
	s_mul_i32 s8, s8, s13
	v_lshlrev_b32_e32 v2, 1, v5
	v_lshlrev_b32_e32 v18, 2, v4
	v_mov_b32_e32 v19, v15
	v_lshl_add_u64 v[20:21], s[22:23], 0, v[8:9]
	s_add_i32 s11, s12, s16
	s_lshl_b32 s15, s9, 1
	v_lshlrev_b32_e32 v5, 3, v1
	s_mul_i32 s19, s9, 3
	s_lshl_b32 s22, s9, 2
	s_mul_i32 s23, s9, 5
	s_mul_i32 s24, s9, 6
	s_add_i32 s8, s12, s8
	s_mov_b64 s[12:13], 0
	s_movk_i32 s25, 0xd2
	v_mov_b64_e32 v[24:25], s[20:21]
	v_lshlrev_b32_e32 v26, 1, v0
	v_lshlrev_b32_e32 v28, 1, v6
	s_mov_b32 s20, 0x30303030
	s_movk_i32 s21, 0x3f00
	s_movk_i32 s26, 0xe000
	v_lshlrev_b32_e32 v30, 2, v4
	s_mov_b64 s[16:17], 0x240
	v_mov_b32_e32 v27, v15
	v_mov_b32_e32 v29, v15
	;; [unrolled: 1-line block ×18, first 2 shown]
.LBB154_2:                              ; =>This Inner Loop Header: Depth=1
	v_add_u32_e32 v9, s11, v1
	v_lshl_add_u64 v[38:39], v[20:21], 0, v[18:19]
	global_load_dword v50, v[38:39], off offset:4
	global_load_dword v52, v[20:21], off
	global_load_dword v51, v[38:39], off offset:76
	global_load_dword v54, v[20:21], off offset:72
	v_mad_i64_i32 v[38:39], s[28:29], v9, s25, v[24:25]
	v_lshl_add_u64 v[42:43], v[38:39], 0, v[28:29]
	global_load_dword v9, v[42:43], off offset:128
	v_lshl_add_u64 v[40:41], v[38:39], 0, v[26:27]
	global_load_dword v44, v[40:41], off
	v_mov_b32_e32 v56, 0
	v_mov_b32_e32 v57, 0
	;; [unrolled: 1-line block ×4, first 2 shown]
	v_lshl_add_u64 v[20:21], v[20:21], 0, s[16:17]
	s_waitcnt vmcnt(1)
	v_ashrrev_i32_e32 v43, v2, v9
	global_load_ushort v9, v[38:39], off offset:208
	v_lshl_add_u64 v[40:41], v[38:39], 0, v[14:15]
	global_load_sbyte v10, v[40:41], off offset:192
	s_waitcnt vmcnt(2)
	v_and_b32_e32 v38, 0xf0f0f0f, v44
	global_load_sbyte v41, v[40:41], off offset:196
	v_lshrrev_b32_e32 v40, 4, v44
	v_and_b32_e32 v40, 0xf0f0f0f, v40
	v_and_or_b32 v40, v43, s20, v40
	v_lshlrev_b16_e32 v44, 8, v40
	v_lshlrev_b32_e32 v42, 4, v43
	v_and_b32_e32 v43, 0x3f00, v40
	v_add_u16_e32 v44, 0xe000, v44
	v_or_b32_sdwa v43, v43, v44 dst_sel:DWORD dst_unused:UNUSED_PAD src0_sel:DWORD src1_sel:BYTE_1
	v_and_b32_sdwa v44, v40, s21 dst_sel:DWORD dst_unused:UNUSED_PAD src0_sel:WORD_1 src1_sel:DWORD
	v_lshlrev_b16_sdwa v40, v6, v40 dst_sel:DWORD dst_unused:UNUSED_PAD src0_sel:DWORD src1_sel:WORD_1
	v_add_u16_e32 v40, 0xe000, v40
	v_or_b32_sdwa v40, v44, v40 dst_sel:DWORD dst_unused:UNUSED_PAD src0_sel:DWORD src1_sel:BYTE_1
	v_and_or_b32 v38, v42, s20, v38
	v_add_u16_e32 v43, 0xe000, v43
	v_add_u16_sdwa v40, v40, s26 dst_sel:WORD_1 dst_unused:UNUSED_PAD src0_sel:DWORD src1_sel:DWORD
	v_lshlrev_b16_e32 v45, 8, v38
	v_or_b32_e32 v43, v43, v40
	v_mov_b32_e32 v40, 0
	v_and_b32_e32 v42, 0x3f00, v38
	v_add_u16_e32 v45, 0xe000, v45
	v_dot4c_i32_i8_e32 v40, v43, v51
	v_or_b32_sdwa v42, v42, v45 dst_sel:DWORD dst_unused:UNUSED_PAD src0_sel:DWORD src1_sel:BYTE_1
	v_and_b32_sdwa v45, v38, s21 dst_sel:DWORD dst_unused:UNUSED_PAD src0_sel:WORD_1 src1_sel:DWORD
	v_lshlrev_b16_sdwa v38, v6, v38 dst_sel:DWORD dst_unused:UNUSED_PAD src0_sel:DWORD src1_sel:WORD_1
	v_add_u16_e32 v38, 0xe000, v38
	v_or_b32_sdwa v38, v45, v38 dst_sel:DWORD dst_unused:UNUSED_PAD src0_sel:DWORD src1_sel:BYTE_1
	v_add_u16_e32 v42, 0xe000, v42
	v_add_u16_sdwa v38, v38, s26 dst_sel:WORD_1 dst_unused:UNUSED_PAD src0_sel:DWORD src1_sel:DWORD
	s_waitcnt vmcnt(2)
	v_cvt_f32_f16_e32 v39, v9
	v_or_b32_e32 v42, v42, v38
	v_mov_b32_e32 v38, 0
	v_dot4c_i32_i8_e32 v38, v42, v50
	s_waitcnt vmcnt(0)
	v_mul_lo_u32 v40, v40, v41
	v_cvt_f32_i32_e32 v55, v40
	v_add_u32_e32 v40, s8, v1
	v_mad_i64_i32 v[44:45], s[28:29], v40, s25, v[24:25]
	v_lshl_add_u64 v[48:49], v[44:45], 0, v[28:29]
	v_lshl_add_u64 v[46:47], v[44:45], 0, v[26:27]
	global_load_dword v40, v[48:49], off offset:128
	v_mul_lo_u32 v38, v38, v10
	global_load_dword v46, v[46:47], off
	v_lshl_add_u64 v[48:49], v[44:45], 0, v[14:15]
	v_cvt_f32_i32_e32 v38, v38
	v_add_u32_e32 v1, 2, v1
	v_cmp_le_u32_e32 vcc, s5, v1
	s_or_b64 s[12:13], vcc, s[12:13]
	v_fma_mix_f32 v38, v52, v38, 0 op_sel_hi:[1,0,0]
	s_waitcnt vmcnt(1)
	v_ashrrev_i32_e32 v53, v2, v40
	global_load_ushort v40, v[44:45], off offset:208
	s_waitcnt vmcnt(1)
	v_and_b32_e32 v44, 0xf0f0f0f, v46
	v_lshlrev_b32_e32 v45, 4, v53
	v_and_or_b32 v44, v45, s20, v44
	v_lshlrev_b16_e32 v47, 8, v44
	v_and_b32_e32 v45, 0x3f00, v44
	v_add_u16_e32 v47, 0xe000, v47
	v_or_b32_sdwa v45, v45, v47 dst_sel:DWORD dst_unused:UNUSED_PAD src0_sel:DWORD src1_sel:BYTE_1
	v_and_b32_sdwa v47, v44, s21 dst_sel:DWORD dst_unused:UNUSED_PAD src0_sel:WORD_1 src1_sel:DWORD
	v_lshlrev_b16_sdwa v44, v6, v44 dst_sel:DWORD dst_unused:UNUSED_PAD src0_sel:DWORD src1_sel:WORD_1
	v_add_u16_e32 v44, 0xe000, v44
	v_or_b32_sdwa v44, v47, v44 dst_sel:DWORD dst_unused:UNUSED_PAD src0_sel:DWORD src1_sel:BYTE_1
	v_add_u16_e32 v45, 0xe000, v45
	v_add_u16_sdwa v44, v44, s26 dst_sel:WORD_1 dst_unused:UNUSED_PAD src0_sel:DWORD src1_sel:DWORD
	v_fma_mix_f32 v38, v54, v55, v38 op_sel_hi:[1,0,0]
	v_or_b32_e32 v45, v45, v44
	v_lshrrev_b32_e32 v44, 4, v46
	v_and_b32_e32 v44, 0xf0f0f0f, v44
	v_and_or_b32 v44, v53, s20, v44
	v_lshlrev_b16_e32 v47, 8, v44
	v_and_b32_e32 v46, 0x3f00, v44
	v_add_u16_e32 v47, 0xe000, v47
	v_or_b32_sdwa v46, v46, v47 dst_sel:DWORD dst_unused:UNUSED_PAD src0_sel:DWORD src1_sel:BYTE_1
	v_and_b32_sdwa v47, v44, s21 dst_sel:DWORD dst_unused:UNUSED_PAD src0_sel:WORD_1 src1_sel:DWORD
	v_lshlrev_b16_sdwa v44, v6, v44 dst_sel:DWORD dst_unused:UNUSED_PAD src0_sel:DWORD src1_sel:WORD_1
	v_add_u16_e32 v44, 0xe000, v44
	v_or_b32_sdwa v44, v47, v44 dst_sel:DWORD dst_unused:UNUSED_PAD src0_sel:DWORD src1_sel:BYTE_1
	v_add_u16_e32 v46, 0xe000, v46
	v_add_u16_sdwa v44, v44, s26 dst_sel:WORD_1 dst_unused:UNUSED_PAD src0_sel:DWORD src1_sel:DWORD
	v_dot4c_i32_i8_e32 v56, v45, v50
	v_or_b32_e32 v44, v46, v44
	v_add_u32_e32 v46, s9, v5
	v_mad_u64_u32 v[46:47], s[28:29], v46, 36, v[16:17]
	v_dot4c_i32_i8_e32 v57, v44, v51
	v_lshl_add_u64 v[50:51], v[46:47], 0, v[30:31]
	global_load_dword v58, v[50:51], off offset:4
	global_load_dword v59, v[46:47], off
	global_load_dword v60, v[50:51], off offset:76
	global_load_dword v61, v[46:47], off offset:72
	v_mov_b32_e32 v46, 0
	global_load_sbyte v47, v[48:49], off offset:192
	v_cvt_f32_f16_e32 v50, v52
	v_cvt_f32_f16_e32 v52, v54
	v_fma_mix_f32 v8, v38, v9, v8 op_sel_hi:[0,1,0]
	s_waitcnt vmcnt(5)
	v_cvt_f32_f16_e32 v38, v40
	s_waitcnt vmcnt(4)
	v_dot4c_i32_i8_e32 v46, v42, v58
	s_nop 2
	v_mul_lo_u32 v46, v46, v10
	v_cvt_f32_i32_e32 v55, v46
	global_load_sbyte v46, v[48:49], off offset:196
	s_waitcnt vmcnt(3)
	v_dot4c_i32_i8_e32 v62, v43, v60
	s_waitcnt vmcnt(1)
	v_mul_lo_u32 v54, v56, v47
	v_cvt_f32_f16_e32 v51, v59
	v_cvt_f32_i32_e32 v54, v54
	v_mul_lo_u32 v49, v62, v41
	v_cvt_f32_f16_e32 v53, v61
	v_cvt_f32_i32_e32 v49, v49
	v_pk_fma_f32 v[50:51], v[50:51], v[54:55], 0 op_sel_hi:[1,1,0]
	s_waitcnt vmcnt(0)
	v_mul_lo_u32 v48, v57, v46
	v_cvt_f32_i32_e32 v48, v48
	v_pk_fma_f32 v[48:49], v[52:53], v[48:49], v[50:51]
	s_nop 0
	v_pk_fma_f32 v[36:37], v[48:49], v[38:39], v[36:37]
	v_mov_b32_e32 v48, 0
	v_dot4c_i32_i8_e32 v48, v45, v58
	v_mov_b32_e32 v49, 0
	v_dot4c_i32_i8_e32 v49, v44, v60
	v_mov_b32_e32 v58, 0
	v_mul_lo_u32 v48, v48, v47
	v_cvt_f32_i32_e32 v48, v48
	v_mul_lo_u32 v49, v49, v46
	v_cvt_f32_i32_e32 v49, v49
	v_fma_mix_f32 v48, v59, v48, 0 op_sel_hi:[1,0,0]
	v_mov_b32_e32 v59, 0
	v_fma_mix_f32 v48, v61, v49, v48 op_sel_hi:[1,0,0]
	s_nop 0
	v_fma_mix_f32 v11, v48, v40, v11 op_sel_hi:[0,1,0]
	v_add_u32_e32 v48, s15, v5
	v_mad_u64_u32 v[48:49], s[28:29], v48, 36, v[16:17]
	v_lshl_add_u64 v[50:51], v[48:49], 0, v[30:31]
	global_load_dword v52, v[50:51], off offset:4
	global_load_dword v53, v[48:49], off
	global_load_dword v54, v[50:51], off offset:76
	global_load_dword v55, v[48:49], off offset:72
	v_mov_b32_e32 v48, 0
	s_waitcnt vmcnt(3)
	v_dot4c_i32_i8_e32 v48, v42, v52
	s_nop 2
	v_mul_lo_u32 v48, v48, v10
	v_cvt_f32_i32_e32 v56, v48
	v_mov_b32_e32 v48, 0
	s_waitcnt vmcnt(1)
	v_dot4c_i32_i8_e32 v48, v43, v54
	v_dot4c_i32_i8_e32 v59, v44, v54
	;; [unrolled: 1-line block ×3, first 2 shown]
	v_mov_b32_e32 v52, 0
	v_mul_lo_u32 v48, v48, v41
	v_cvt_f32_i32_e32 v57, v48
	v_add_u32_e32 v48, s19, v5
	v_mad_u64_u32 v[48:49], s[28:29], v48, 36, v[16:17]
	v_lshl_add_u64 v[50:51], v[48:49], 0, v[30:31]
	global_load_dword v54, v[50:51], off offset:4
	global_load_dword v60, v[48:49], off
	global_load_dword v61, v[50:51], off offset:76
	global_load_dword v62, v[48:49], off offset:72
	v_cvt_f32_f16_e32 v48, v53
	v_fma_mix_f32 v53, v53, v56, 0 op_sel_hi:[1,0,0]
	s_waitcnt vmcnt(4)
	v_cvt_f32_f16_e32 v50, v55
	v_fma_mix_f32 v53, v55, v57, v53 op_sel_hi:[1,0,0]
	v_mul_lo_u32 v55, v58, v47
	v_fma_mix_f32 v4, v53, v9, v4 op_sel_hi:[0,1,0]
	v_mov_b32_e32 v58, 0
	s_waitcnt vmcnt(3)
	v_dot4c_i32_i8_e32 v52, v42, v54
	s_nop 2
	v_mul_lo_u32 v52, v52, v10
	s_waitcnt vmcnt(2)
	v_cvt_f32_f16_e32 v49, v60
	v_cvt_f32_i32_e32 v53, v52
	v_cvt_f32_i32_e32 v52, v55
	s_waitcnt vmcnt(1)
	v_dot4c_i32_i8_e32 v63, v43, v61
	s_waitcnt vmcnt(0)
	v_cvt_f32_f16_e32 v51, v62
	v_pk_fma_f32 v[48:49], v[48:49], v[52:53], 0 op_sel_hi:[1,1,0]
	v_mul_lo_u32 v52, v59, v46
	v_mul_lo_u32 v53, v63, v41
	v_cvt_f32_i32_e32 v53, v53
	v_cvt_f32_i32_e32 v52, v52
	v_mov_b32_e32 v59, 0
	v_mov_b32_e32 v63, 0
	v_pk_fma_f32 v[48:49], v[50:51], v[52:53], v[48:49]
	s_nop 0
	v_pk_fma_f32 v[34:35], v[48:49], v[38:39], v[34:35]
	v_mov_b32_e32 v48, 0
	v_dot4c_i32_i8_e32 v48, v45, v54
	v_mov_b32_e32 v49, 0
	v_dot4c_i32_i8_e32 v49, v44, v61
	s_nop 0
	v_mul_lo_u32 v48, v48, v47
	v_cvt_f32_i32_e32 v48, v48
	v_mul_lo_u32 v49, v49, v46
	v_cvt_f32_i32_e32 v49, v49
	v_fma_mix_f32 v48, v60, v48, 0 op_sel_hi:[1,0,0]
	s_nop 0
	v_fma_mix_f32 v48, v62, v49, v48 op_sel_hi:[1,0,0]
	s_nop 0
	v_fma_mix_f32 v7, v48, v40, v7 op_sel_hi:[0,1,0]
	v_add_u32_e32 v48, s22, v5
	v_mad_u64_u32 v[48:49], s[28:29], v48, 36, v[16:17]
	v_lshl_add_u64 v[50:51], v[48:49], 0, v[30:31]
	global_load_dword v52, v[50:51], off offset:4
	global_load_dword v53, v[48:49], off
	global_load_dword v54, v[50:51], off offset:76
	global_load_dword v55, v[48:49], off offset:72
	v_mov_b32_e32 v48, 0
	s_waitcnt vmcnt(3)
	v_dot4c_i32_i8_e32 v48, v42, v52
	s_nop 2
	v_mul_lo_u32 v48, v48, v10
	v_cvt_f32_i32_e32 v56, v48
	v_mov_b32_e32 v48, 0
	s_waitcnt vmcnt(1)
	v_dot4c_i32_i8_e32 v48, v43, v54
	v_dot4c_i32_i8_e32 v59, v44, v54
	;; [unrolled: 1-line block ×3, first 2 shown]
	v_mov_b32_e32 v52, 0
	v_mul_lo_u32 v48, v48, v41
	v_cvt_f32_i32_e32 v57, v48
	v_add_u32_e32 v48, s23, v5
	v_mad_u64_u32 v[48:49], s[28:29], v48, 36, v[16:17]
	v_lshl_add_u64 v[50:51], v[48:49], 0, v[30:31]
	global_load_dword v54, v[50:51], off offset:4
	global_load_dword v60, v[48:49], off
	global_load_dword v61, v[50:51], off offset:76
	global_load_dword v62, v[48:49], off offset:72
	v_cvt_f32_f16_e32 v48, v53
	v_fma_mix_f32 v53, v53, v56, 0 op_sel_hi:[1,0,0]
	s_waitcnt vmcnt(4)
	v_cvt_f32_f16_e32 v50, v55
	v_fma_mix_f32 v53, v55, v57, v53 op_sel_hi:[1,0,0]
	v_mul_lo_u32 v55, v58, v47
	v_fma_mix_f32 v0, v53, v9, v0 op_sel_hi:[0,1,0]
	s_waitcnt vmcnt(3)
	v_dot4c_i32_i8_e32 v52, v42, v54
	s_nop 2
	v_mul_lo_u32 v52, v52, v10
	s_waitcnt vmcnt(2)
	v_cvt_f32_f16_e32 v49, v60
	v_cvt_f32_i32_e32 v53, v52
	v_cvt_f32_i32_e32 v52, v55
	s_waitcnt vmcnt(1)
	v_dot4c_i32_i8_e32 v63, v43, v61
	s_waitcnt vmcnt(0)
	v_cvt_f32_f16_e32 v51, v62
	v_pk_fma_f32 v[48:49], v[48:49], v[52:53], 0 op_sel_hi:[1,1,0]
	v_mul_lo_u32 v52, v59, v46
	v_mul_lo_u32 v53, v63, v41
	v_cvt_f32_i32_e32 v53, v53
	v_cvt_f32_i32_e32 v52, v52
	v_pk_fma_f32 v[48:49], v[50:51], v[52:53], v[48:49]
	s_nop 0
	v_pk_fma_f32 v[32:33], v[48:49], v[38:39], v[32:33]
	v_mov_b32_e32 v38, 0
	v_dot4c_i32_i8_e32 v38, v45, v54
	v_mov_b32_e32 v39, 0
	v_dot4c_i32_i8_e32 v39, v44, v61
	s_nop 0
	v_mul_lo_u32 v38, v38, v47
	v_cvt_f32_i32_e32 v38, v38
	v_mul_lo_u32 v39, v39, v46
	v_cvt_f32_i32_e32 v39, v39
	v_fma_mix_f32 v38, v60, v38, 0 op_sel_hi:[1,0,0]
	s_nop 0
	v_fma_mix_f32 v38, v62, v39, v38 op_sel_hi:[1,0,0]
	s_nop 0
	v_fma_mix_f32 v3, v38, v40, v3 op_sel_hi:[0,1,0]
	v_add_u32_e32 v38, s24, v5
	v_mad_u64_u32 v[38:39], s[28:29], v38, 36, v[16:17]
	v_lshl_add_u64 v[48:49], v[38:39], 0, v[30:31]
	global_load_dword v50, v[48:49], off offset:4
	global_load_dword v51, v[38:39], off
	global_load_dword v52, v[48:49], off offset:76
	global_load_dword v53, v[38:39], off offset:72
	v_mov_b32_e32 v38, 0
	v_add_u32_e32 v5, 16, v5
	s_waitcnt vmcnt(3)
	v_dot4c_i32_i8_e32 v38, v42, v50
	s_nop 2
	v_mul_lo_u32 v10, v38, v10
	v_mov_b32_e32 v38, 0
	s_waitcnt vmcnt(1)
	v_dot4c_i32_i8_e32 v38, v43, v52
	v_cvt_f32_i32_e32 v10, v10
	v_fma_mix_f32 v10, v51, v10, 0 op_sel_hi:[1,0,0]
	s_nop 0
	v_mul_lo_u32 v38, v38, v41
	v_cvt_f32_i32_e32 v38, v38
	s_waitcnt vmcnt(0)
	v_fma_mix_f32 v10, v53, v38, v10 op_sel_hi:[1,0,0]
	s_nop 0
	v_fma_mix_f32 v22, v10, v9, v22 op_sel_hi:[0,1,0]
	v_mov_b32_e32 v9, 0
	v_dot4c_i32_i8_e32 v9, v45, v50
	v_mov_b32_e32 v10, 0
	v_dot4c_i32_i8_e32 v10, v44, v52
	s_nop 0
	v_mul_lo_u32 v9, v9, v47
	v_cvt_f32_i32_e32 v9, v9
	v_mul_lo_u32 v10, v10, v46
	v_cvt_f32_i32_e32 v10, v10
	v_fma_mix_f32 v9, v51, v9, 0 op_sel_hi:[1,0,0]
	s_nop 0
	v_fma_mix_f32 v9, v53, v10, v9 op_sel_hi:[1,0,0]
	s_nop 0
	v_fma_mix_f32 v23, v9, v40, v23 op_sel_hi:[0,1,0]
	s_andn2_b64 exec, exec, s[12:13]
	s_cbranch_execnz .LBB154_2
; %bb.3:
	s_or_b64 exec, exec, s[12:13]
	v_mov_b32_e32 v9, v36
	v_mov_b32_e32 v10, v37
	;; [unrolled: 1-line block ×6, first 2 shown]
	scratch_store_dwordx4 off, v[8:11], off
	scratch_store_dwordx4 off, v[4:7], off offset:16
	scratch_store_dwordx4 off, v[0:3], off offset:32
	scratch_store_dwordx2 off, v[22:23], off offset:48
.LBB154_4:
	s_or_b64 exec, exec, s[6:7]
	s_mov_b32 s5, 0
	v_cmp_eq_u32_e32 vcc, 0, v13
	s_waitcnt lgkmcnt(0)
	; wave barrier
	s_and_saveexec_b64 s[6:7], vcc
	s_cbranch_execz .LBB154_19
; %bb.5:
	scratch_load_dwordx2 v[2:3], off, off
	v_mbcnt_lo_u32_b32 v0, -1, 0
	v_mbcnt_hi_u32_b32 v13, -1, v0
	s_load_dwordx2 s[6:7], s[0:1], 0x38
	s_mul_i32 s0, s3, s14
	v_or_b32_e32 v1, s2, v12
	v_and_b32_e32 v0, 64, v13
	s_mul_i32 s4, s4, s18
	s_add_i32 s2, s0, s2
	v_cmp_gt_u32_e64 s[0:1], s10, v1
	v_xor_b32_e32 v1, 32, v13
	v_add_u32_e32 v14, 64, v0
	s_add_i32 s4, s2, s4
	v_cmp_lt_i32_e64 s[2:3], v1, v14
	v_cmp_gt_u32_e32 vcc, 2, v12
	s_nop 0
	v_cndmask_b32_e64 v0, v13, v1, s[2:3]
	v_lshlrev_b32_e32 v0, 2, v0
	v_xor_b32_e32 v1, 16, v13
	v_cmp_lt_i32_e64 s[2:3], v1, v14
	s_waitcnt vmcnt(0)
	ds_bpermute_b32 v4, v0, v2
	ds_bpermute_b32 v5, v0, v3
	v_cndmask_b32_e64 v1, v13, v1, s[2:3]
	v_lshlrev_b32_e32 v1, 2, v1
	s_waitcnt lgkmcnt(0)
	v_pk_add_f32 v[4:5], v[2:3], v[4:5]
	ds_bpermute_b32 v6, v1, v4
	ds_bpermute_b32 v7, v1, v5
	v_xor_b32_e32 v2, 8, v13
	v_cmp_lt_i32_e64 s[2:3], v2, v14
	v_xor_b32_e32 v3, 4, v13
	s_waitcnt lgkmcnt(0)
	v_pk_add_f32 v[4:5], v[4:5], v[6:7]
	v_cndmask_b32_e64 v2, v13, v2, s[2:3]
	v_lshlrev_b32_e32 v2, 2, v2
	ds_bpermute_b32 v6, v2, v4
	ds_bpermute_b32 v7, v2, v5
	v_cmp_lt_i32_e64 s[2:3], v3, v14
	s_waitcnt lgkmcnt(0)
	v_pk_add_f32 v[6:7], v[4:5], v[6:7]
	v_cndmask_b32_e64 v3, v13, v3, s[2:3]
	v_lshlrev_b32_e32 v3, 2, v3
	ds_bpermute_b32 v8, v3, v6
	ds_bpermute_b32 v9, v3, v7
	v_xor_b32_e32 v4, 2, v13
	v_cmp_lt_i32_e64 s[2:3], v4, v14
	v_xor_b32_e32 v5, 1, v13
	s_waitcnt lgkmcnt(0)
	v_pk_add_f32 v[8:9], v[6:7], v[8:9]
	v_cndmask_b32_e64 v4, v13, v4, s[2:3]
	v_lshlrev_b32_e32 v4, 2, v4
	ds_bpermute_b32 v10, v4, v8
	ds_bpermute_b32 v11, v4, v9
	v_cmp_lt_i32_e64 s[2:3], v5, v14
	s_waitcnt lgkmcnt(0)
	v_pk_add_f32 v[8:9], v[8:9], v[10:11]
	v_cndmask_b32_e64 v5, v13, v5, s[2:3]
	v_lshlrev_b32_e32 v6, 2, v5
	ds_bpermute_b32 v10, v6, v8
	ds_bpermute_b32 v11, v6, v9
	s_lshl_b64 s[2:3], s[4:5], 2
	s_add_u32 s2, s6, s2
	s_addc_u32 s3, s7, s3
	s_and_b64 s[0:1], vcc, s[0:1]
	s_waitcnt lgkmcnt(0)
	v_pk_add_f32 v[8:9], v[8:9], v[10:11]
	v_lshlrev_b32_e32 v5, 2, v12
	scratch_store_dwordx2 off, v[8:9], off
	s_and_saveexec_b64 s[4:5], s[0:1]
	s_cbranch_execz .LBB154_7
; %bb.6:
	scratch_load_dword v7, v5, off
	s_waitcnt vmcnt(0)
	global_store_dword v5, v7, s[2:3]
.LBB154_7:
	s_or_b64 exec, exec, s[4:5]
	scratch_load_dwordx2 v[8:9], off, off offset:8
	s_waitcnt vmcnt(0)
	ds_bpermute_b32 v10, v0, v8
	ds_bpermute_b32 v11, v0, v9
	s_waitcnt lgkmcnt(0)
	v_pk_add_f32 v[8:9], v[8:9], v[10:11]
	ds_bpermute_b32 v10, v1, v8
	ds_bpermute_b32 v11, v1, v9
	s_waitcnt lgkmcnt(0)
	v_pk_add_f32 v[8:9], v[8:9], v[10:11]
	;; [unrolled: 4-line block ×6, first 2 shown]
	scratch_store_dwordx2 off, v[8:9], off offset:8
	s_and_saveexec_b64 s[4:5], s[0:1]
	s_cbranch_execz .LBB154_9
; %bb.8:
	scratch_load_dword v7, v5, off offset:8
	v_add_u32_e32 v8, s10, v12
	v_mov_b32_e32 v9, 0
	v_lshl_add_u64 v[8:9], v[8:9], 2, s[2:3]
	s_waitcnt vmcnt(0)
	global_store_dword v[8:9], v7, off
.LBB154_9:
	s_or_b64 exec, exec, s[4:5]
	scratch_load_dwordx2 v[8:9], off, off offset:16
	s_waitcnt vmcnt(0)
	ds_bpermute_b32 v10, v0, v8
	ds_bpermute_b32 v11, v0, v9
	s_waitcnt lgkmcnt(0)
	v_pk_add_f32 v[8:9], v[8:9], v[10:11]
	ds_bpermute_b32 v10, v1, v8
	ds_bpermute_b32 v11, v1, v9
	s_waitcnt lgkmcnt(0)
	v_pk_add_f32 v[8:9], v[8:9], v[10:11]
	;; [unrolled: 4-line block ×6, first 2 shown]
	scratch_store_dwordx2 off, v[8:9], off offset:16
	s_and_saveexec_b64 s[4:5], s[0:1]
	s_cbranch_execz .LBB154_11
; %bb.10:
	scratch_load_dword v7, v5, off offset:16
	v_lshl_or_b32 v8, s10, 1, v12
	v_mov_b32_e32 v9, 0
	v_lshl_add_u64 v[8:9], v[8:9], 2, s[2:3]
	s_waitcnt vmcnt(0)
	global_store_dword v[8:9], v7, off
.LBB154_11:
	s_or_b64 exec, exec, s[4:5]
	scratch_load_dwordx2 v[8:9], off, off offset:24
	s_waitcnt vmcnt(0)
	ds_bpermute_b32 v10, v0, v8
	ds_bpermute_b32 v11, v0, v9
	s_waitcnt lgkmcnt(0)
	v_pk_add_f32 v[8:9], v[8:9], v[10:11]
	ds_bpermute_b32 v10, v1, v8
	ds_bpermute_b32 v11, v1, v9
	s_waitcnt lgkmcnt(0)
	v_pk_add_f32 v[8:9], v[8:9], v[10:11]
	;; [unrolled: 4-line block ×6, first 2 shown]
	scratch_store_dwordx2 off, v[8:9], off offset:24
	s_and_saveexec_b64 s[4:5], s[0:1]
	s_cbranch_execz .LBB154_13
; %bb.12:
	scratch_load_dword v7, v5, off offset:24
	v_mad_u64_u32 v[8:9], s[6:7], s10, 3, v[12:13]
	v_mov_b32_e32 v9, 0
	v_lshl_add_u64 v[8:9], v[8:9], 2, s[2:3]
	s_waitcnt vmcnt(0)
	global_store_dword v[8:9], v7, off
.LBB154_13:
	s_or_b64 exec, exec, s[4:5]
	scratch_load_dwordx2 v[8:9], off, off offset:32
	s_waitcnt vmcnt(0)
	ds_bpermute_b32 v10, v0, v8
	ds_bpermute_b32 v11, v0, v9
	s_waitcnt lgkmcnt(0)
	v_pk_add_f32 v[8:9], v[8:9], v[10:11]
	ds_bpermute_b32 v10, v1, v8
	ds_bpermute_b32 v11, v1, v9
	s_waitcnt lgkmcnt(0)
	v_pk_add_f32 v[8:9], v[8:9], v[10:11]
	;; [unrolled: 4-line block ×6, first 2 shown]
	scratch_store_dwordx2 off, v[8:9], off offset:32
	s_and_saveexec_b64 s[4:5], s[0:1]
	s_cbranch_execz .LBB154_15
; %bb.14:
	scratch_load_dword v7, v5, off offset:32
	v_lshl_or_b32 v8, s10, 2, v12
	v_mov_b32_e32 v9, 0
	v_lshl_add_u64 v[8:9], v[8:9], 2, s[2:3]
	s_waitcnt vmcnt(0)
	global_store_dword v[8:9], v7, off
.LBB154_15:
	s_or_b64 exec, exec, s[4:5]
	scratch_load_dwordx2 v[8:9], off, off offset:40
	s_waitcnt vmcnt(0)
	ds_bpermute_b32 v10, v0, v8
	ds_bpermute_b32 v11, v0, v9
	s_waitcnt lgkmcnt(0)
	v_pk_add_f32 v[8:9], v[8:9], v[10:11]
	ds_bpermute_b32 v10, v1, v8
	ds_bpermute_b32 v11, v1, v9
	s_waitcnt lgkmcnt(0)
	v_pk_add_f32 v[8:9], v[8:9], v[10:11]
	;; [unrolled: 4-line block ×6, first 2 shown]
	scratch_store_dwordx2 off, v[8:9], off offset:40
	s_and_saveexec_b64 s[4:5], s[0:1]
	s_cbranch_execz .LBB154_17
; %bb.16:
	scratch_load_dword v7, v5, off offset:40
	v_mad_u64_u32 v[8:9], s[6:7], s10, 5, v[12:13]
	v_mov_b32_e32 v9, 0
	v_lshl_add_u64 v[8:9], v[8:9], 2, s[2:3]
	s_waitcnt vmcnt(0)
	global_store_dword v[8:9], v7, off
.LBB154_17:
	s_or_b64 exec, exec, s[4:5]
	scratch_load_dwordx2 v[8:9], off, off offset:48
	s_waitcnt vmcnt(0)
	ds_bpermute_b32 v10, v0, v8
	ds_bpermute_b32 v11, v0, v9
	s_waitcnt lgkmcnt(0)
	v_pk_add_f32 v[8:9], v[8:9], v[10:11]
	ds_bpermute_b32 v0, v1, v8
	ds_bpermute_b32 v1, v1, v9
	s_waitcnt lgkmcnt(0)
	v_pk_add_f32 v[0:1], v[8:9], v[0:1]
	;; [unrolled: 4-line block ×6, first 2 shown]
	scratch_store_dwordx2 off, v[0:1], off offset:48
	s_and_b64 exec, exec, s[0:1]
	s_cbranch_execz .LBB154_19
; %bb.18:
	scratch_load_dword v2, v5, off offset:48
	s_mul_i32 s0, s10, 6
	v_or_b32_e32 v0, s0, v12
	v_mov_b32_e32 v1, 0
	v_lshl_add_u64 v[0:1], v[0:1], 2, s[2:3]
	s_waitcnt vmcnt(0)
	global_store_dword v[0:1], v2, off
.LBB154_19:
	s_endpgm
	.section	.rodata,"a",@progbits
	.p2align	6, 0x0
	.amdhsa_kernel _ZL13mul_mat_vec_qIL9ggml_type14ELi7ELb0ELb0EEvPKvS2_PKi31ggml_cuda_mm_fusion_args_devicePfj15HIP_vector_typeIjLj3EEjjjS8_jjjS8_jjjj
		.amdhsa_group_segment_fixed_size 0
		.amdhsa_private_segment_fixed_size 64
		.amdhsa_kernarg_size 144
		.amdhsa_user_sgpr_count 2
		.amdhsa_user_sgpr_dispatch_ptr 0
		.amdhsa_user_sgpr_queue_ptr 0
		.amdhsa_user_sgpr_kernarg_segment_ptr 1
		.amdhsa_user_sgpr_dispatch_id 0
		.amdhsa_user_sgpr_kernarg_preload_length 0
		.amdhsa_user_sgpr_kernarg_preload_offset 0
		.amdhsa_user_sgpr_private_segment_size 0
		.amdhsa_uses_dynamic_stack 0
		.amdhsa_enable_private_segment 1
		.amdhsa_system_sgpr_workgroup_id_x 1
		.amdhsa_system_sgpr_workgroup_id_y 1
		.amdhsa_system_sgpr_workgroup_id_z 1
		.amdhsa_system_sgpr_workgroup_info 0
		.amdhsa_system_vgpr_workitem_id 1
		.amdhsa_next_free_vgpr 64
		.amdhsa_next_free_sgpr 30
		.amdhsa_accum_offset 64
		.amdhsa_reserve_vcc 1
		.amdhsa_float_round_mode_32 0
		.amdhsa_float_round_mode_16_64 0
		.amdhsa_float_denorm_mode_32 3
		.amdhsa_float_denorm_mode_16_64 3
		.amdhsa_dx10_clamp 1
		.amdhsa_ieee_mode 1
		.amdhsa_fp16_overflow 0
		.amdhsa_tg_split 0
		.amdhsa_exception_fp_ieee_invalid_op 0
		.amdhsa_exception_fp_denorm_src 0
		.amdhsa_exception_fp_ieee_div_zero 0
		.amdhsa_exception_fp_ieee_overflow 0
		.amdhsa_exception_fp_ieee_underflow 0
		.amdhsa_exception_fp_ieee_inexact 0
		.amdhsa_exception_int_div_zero 0
	.end_amdhsa_kernel
	.section	.text._ZL13mul_mat_vec_qIL9ggml_type14ELi7ELb0ELb0EEvPKvS2_PKi31ggml_cuda_mm_fusion_args_devicePfj15HIP_vector_typeIjLj3EEjjjS8_jjjS8_jjjj,"axG",@progbits,_ZL13mul_mat_vec_qIL9ggml_type14ELi7ELb0ELb0EEvPKvS2_PKi31ggml_cuda_mm_fusion_args_devicePfj15HIP_vector_typeIjLj3EEjjjS8_jjjS8_jjjj,comdat
.Lfunc_end154:
	.size	_ZL13mul_mat_vec_qIL9ggml_type14ELi7ELb0ELb0EEvPKvS2_PKi31ggml_cuda_mm_fusion_args_devicePfj15HIP_vector_typeIjLj3EEjjjS8_jjjS8_jjjj, .Lfunc_end154-_ZL13mul_mat_vec_qIL9ggml_type14ELi7ELb0ELb0EEvPKvS2_PKi31ggml_cuda_mm_fusion_args_devicePfj15HIP_vector_typeIjLj3EEjjjS8_jjjS8_jjjj
                                        ; -- End function
	.section	.AMDGPU.csdata,"",@progbits
; Kernel info:
; codeLenInByte = 4540
; NumSgprs: 36
; NumVgprs: 64
; NumAgprs: 0
; TotalNumVgprs: 64
; ScratchSize: 64
; MemoryBound: 0
; FloatMode: 240
; IeeeMode: 1
; LDSByteSize: 0 bytes/workgroup (compile time only)
; SGPRBlocks: 4
; VGPRBlocks: 7
; NumSGPRsForWavesPerEU: 36
; NumVGPRsForWavesPerEU: 64
; AccumOffset: 64
; Occupancy: 8
; WaveLimiterHint : 0
; COMPUTE_PGM_RSRC2:SCRATCH_EN: 1
; COMPUTE_PGM_RSRC2:USER_SGPR: 2
; COMPUTE_PGM_RSRC2:TRAP_HANDLER: 0
; COMPUTE_PGM_RSRC2:TGID_X_EN: 1
; COMPUTE_PGM_RSRC2:TGID_Y_EN: 1
; COMPUTE_PGM_RSRC2:TGID_Z_EN: 1
; COMPUTE_PGM_RSRC2:TIDIG_COMP_CNT: 1
; COMPUTE_PGM_RSRC3_GFX90A:ACCUM_OFFSET: 15
; COMPUTE_PGM_RSRC3_GFX90A:TG_SPLIT: 0
	.section	.text._ZL13mul_mat_vec_qIL9ggml_type14ELi8ELb0ELb0EEvPKvS2_PKi31ggml_cuda_mm_fusion_args_devicePfj15HIP_vector_typeIjLj3EEjjjS8_jjjS8_jjjj,"axG",@progbits,_ZL13mul_mat_vec_qIL9ggml_type14ELi8ELb0ELb0EEvPKvS2_PKi31ggml_cuda_mm_fusion_args_devicePfj15HIP_vector_typeIjLj3EEjjjS8_jjjS8_jjjj,comdat
	.globl	_ZL13mul_mat_vec_qIL9ggml_type14ELi8ELb0ELb0EEvPKvS2_PKi31ggml_cuda_mm_fusion_args_devicePfj15HIP_vector_typeIjLj3EEjjjS8_jjjS8_jjjj ; -- Begin function _ZL13mul_mat_vec_qIL9ggml_type14ELi8ELb0ELb0EEvPKvS2_PKi31ggml_cuda_mm_fusion_args_devicePfj15HIP_vector_typeIjLj3EEjjjS8_jjjS8_jjjj
	.p2align	8
	.type	_ZL13mul_mat_vec_qIL9ggml_type14ELi8ELb0ELb0EEvPKvS2_PKi31ggml_cuda_mm_fusion_args_devicePfj15HIP_vector_typeIjLj3EEjjjS8_jjjS8_jjjj,@function
_ZL13mul_mat_vec_qIL9ggml_type14ELi8ELb0ELb0EEvPKvS2_PKi31ggml_cuda_mm_fusion_args_devicePfj15HIP_vector_typeIjLj3EEjjjS8_jjjS8_jjjj: ; @_ZL13mul_mat_vec_qIL9ggml_type14ELi8ELb0ELb0EEvPKvS2_PKi31ggml_cuda_mm_fusion_args_devicePfj15HIP_vector_typeIjLj3EEjjjS8_jjjS8_jjjj
; %bb.0:
	s_mov_b32 s20, 0
	s_mov_b32 s21, s20
	v_bfe_u32 v17, v0, 10, 10
	v_and_b32_e32 v16, 0x3ff, v0
	s_mov_b32 s22, s20
	s_mov_b32 s23, s20
	v_mov_b64_e32 v[0:1], s[20:21]
	s_load_dword s5, s[0:1], 0x40
	s_load_dwordx4 s[8:11], s[0:1], 0x50
	s_load_dword s25, s[0:1], 0x60
	s_load_dwordx4 s[12:15], s[0:1], 0x68
	;; [unrolled: 2-line block ×3, first 2 shown]
	v_lshl_or_b32 v4, v17, 6, v16
	v_mov_b64_e32 v[2:3], s[22:23]
	s_waitcnt lgkmcnt(0)
	s_lshr_b32 s5, s5, 8
	scratch_store_dwordx4 off, v[0:3], off offset:48
	scratch_store_dwordx4 off, v[0:3], off offset:32
	scratch_store_dwordx4 off, v[0:3], off offset:16
	scratch_store_dwordx4 off, v[0:3], off
	s_lshl_b32 s2, s2, 1
	s_nop 0
	v_lshrrev_b32_e32 v1, 5, v4
	v_cmp_gt_u32_e32 vcc, s5, v1
	s_and_saveexec_b64 s[6:7], vcc
	s_cbranch_execz .LBB155_4
; %bb.1:
	s_mul_hi_u32 s11, s11, s3
	s_add_i32 s11, s3, s11
	s_load_dwordx4 s[20:23], s[0:1], 0x0
	s_lshr_b32 s11, s11, s25
	s_mul_i32 s11, s11, s12
	s_mul_hi_u32 s12, s15, s4
	s_add_i32 s12, s4, s12
	s_lshr_b32 s12, s12, s24
	s_mul_i32 s19, s4, s17
	s_mul_i32 s15, s12, s16
	;; [unrolled: 1-line block ×3, first 2 shown]
	s_mul_hi_u32 s12, s19, 36
	s_waitcnt lgkmcnt(0)
	s_add_u32 s16, s22, s16
	s_addc_u32 s17, s23, s12
	s_mul_i32 s12, s3, s13
	s_mul_hi_u32 s13, s12, 36
	s_mul_i32 s12, s12, 36
	v_and_b32_e32 v3, 15, v16
	s_add_u32 s16, s16, s12
	v_bfe_u32 v2, v16, 4, 1
	v_lshrrev_b16_e32 v5, 3, v3
	s_addc_u32 s17, s17, s13
	v_lshl_or_b32 v7, v2, 2, v5
	v_lshlrev_b32_e32 v8, 3, v2
	v_lshrrev_b16_e32 v3, 2, v3
	v_and_b32_e32 v4, 7, v16
	v_mad_u64_u32 v[20:21], s[16:17], v7, 36, s[16:17]
	v_or_b32_e32 v18, v8, v3
	v_lshl_add_u32 v3, v17, 6, v16
	v_or_b32_e32 v2, v8, v4
	v_lshrrev_b32_e32 v3, 5, v3
	s_movk_i32 s17, 0x120
	v_mov_b64_e32 v[8:9], s[12:13]
	v_mad_u64_u32 v[8:9], s[12:13], v3, s17, v[8:9]
	v_mad_u64_u32 v[8:9], s[12:13], s19, 36, v[8:9]
	v_mad_u64_u32 v[8:9], s[12:13], v7, 36, v[8:9]
	v_and_b32_e32 v0, 31, v16
	s_add_i32 s13, s2, 1
	v_lshlrev_b32_e32 v0, 1, v0
	v_mov_b32_e32 v19, 0
	v_lshlrev_b32_e32 v6, 1, v2
	s_mul_i32 s16, s2, s8
	s_add_i32 s12, s15, s11
	s_mul_i32 s8, s8, s13
	v_lshlrev_b32_e32 v2, 1, v5
	v_lshlrev_b32_e32 v22, 2, v4
	v_mov_b32_e32 v23, v19
	v_lshl_add_u64 v[24:25], s[22:23], 0, v[8:9]
	s_add_i32 s11, s12, s16
	s_lshl_b32 s15, s9, 1
	v_lshlrev_b32_e32 v5, 3, v1
	s_mul_i32 s19, s9, 3
	s_lshl_b32 s22, s9, 2
	s_mul_i32 s23, s9, 5
	s_mul_i32 s24, s9, 6
	;; [unrolled: 1-line block ×3, first 2 shown]
	s_add_i32 s8, s12, s8
	s_mov_b64 s[12:13], 0
	s_movk_i32 s26, 0xd2
	v_mov_b64_e32 v[26:27], s[20:21]
	v_lshlrev_b32_e32 v28, 1, v0
	v_lshlrev_b32_e32 v30, 1, v6
	s_mov_b32 s20, 0x30303030
	s_movk_i32 s21, 0x3f00
	s_movk_i32 s27, 0xe000
	v_lshlrev_b32_e32 v34, 2, v4
	s_mov_b64 s[16:17], 0x240
	v_mov_b32_e32 v29, v19
	v_mov_b32_e32 v31, v19
	;; [unrolled: 1-line block ×20, first 2 shown]
.LBB155_2:                              ; =>This Inner Loop Header: Depth=1
	v_add_u32_e32 v9, s11, v1
	v_lshl_add_u64 v[42:43], v[24:25], 0, v[22:23]
	global_load_dword v52, v[42:43], off offset:4
	global_load_dword v56, v[24:25], off
	global_load_dword v53, v[42:43], off offset:76
	global_load_dword v57, v[24:25], off offset:72
	v_mad_i64_i32 v[42:43], s[28:29], v9, s26, v[26:27]
	v_lshl_add_u64 v[46:47], v[42:43], 0, v[30:31]
	v_lshl_add_u64 v[44:45], v[42:43], 0, v[28:29]
	global_load_dword v9, v[46:47], off offset:128
	global_load_ushort v14, v[42:43], off offset:208
	v_mov_b32_e32 v59, 0
	global_load_dword v45, v[44:45], off
	v_lshl_add_u64 v[46:47], v[42:43], 0, v[18:19]
	global_load_sbyte v13, v[46:47], off offset:192
	v_mov_b32_e32 v64, 0
	v_mov_b32_e32 v65, 0
	v_lshl_add_u64 v[24:25], v[24:25], 0, s[16:17]
	s_waitcnt vmcnt(3)
	v_ashrrev_i32_e32 v9, v2, v9
	v_lshlrev_b32_e32 v42, 4, v9
	s_waitcnt vmcnt(2)
	v_cvt_f32_f16_e32 v43, v14
	s_waitcnt vmcnt(1)
	v_and_b32_e32 v10, 0xf0f0f0f, v45
	v_and_or_b32 v10, v42, s20, v10
	v_lshlrev_b16_e32 v44, 8, v10
	v_and_b32_e32 v42, 0x3f00, v10
	v_add_u16_e32 v44, 0xe000, v44
	v_or_b32_sdwa v42, v42, v44 dst_sel:DWORD dst_unused:UNUSED_PAD src0_sel:DWORD src1_sel:BYTE_1
	v_and_b32_sdwa v44, v10, s21 dst_sel:DWORD dst_unused:UNUSED_PAD src0_sel:WORD_1 src1_sel:DWORD
	v_lshlrev_b16_sdwa v10, v6, v10 dst_sel:DWORD dst_unused:UNUSED_PAD src0_sel:DWORD src1_sel:WORD_1
	v_add_u16_e32 v10, 0xe000, v10
	v_or_b32_sdwa v10, v44, v10 dst_sel:DWORD dst_unused:UNUSED_PAD src0_sel:DWORD src1_sel:BYTE_1
	v_add_u16_e32 v42, 0xe000, v42
	v_add_u16_sdwa v10, v10, s27 dst_sel:WORD_1 dst_unused:UNUSED_PAD src0_sel:DWORD src1_sel:DWORD
	v_lshrrev_b32_e32 v45, 4, v45
	v_or_b32_e32 v44, v42, v10
	v_mov_b32_e32 v10, 0
	v_dot4c_i32_i8_e32 v10, v44, v52
	v_and_b32_e32 v45, 0xf0f0f0f, v45
	v_and_or_b32 v9, v9, s20, v45
	v_and_b32_e32 v45, 0x3f00, v9
	s_waitcnt vmcnt(0)
	v_mul_lo_u32 v10, v10, v13
	v_cvt_f32_i32_e32 v42, v10
	global_load_sbyte v10, v[46:47], off offset:196
	v_lshlrev_b16_e32 v46, 8, v9
	v_add_u16_e32 v46, 0xe000, v46
	v_or_b32_sdwa v45, v45, v46 dst_sel:DWORD dst_unused:UNUSED_PAD src0_sel:DWORD src1_sel:BYTE_1
	v_and_b32_sdwa v46, v9, s21 dst_sel:DWORD dst_unused:UNUSED_PAD src0_sel:WORD_1 src1_sel:DWORD
	v_lshlrev_b16_sdwa v9, v6, v9 dst_sel:DWORD dst_unused:UNUSED_PAD src0_sel:DWORD src1_sel:WORD_1
	v_add_u16_e32 v9, 0xe000, v9
	v_or_b32_sdwa v9, v46, v9 dst_sel:DWORD dst_unused:UNUSED_PAD src0_sel:DWORD src1_sel:BYTE_1
	v_add_u16_e32 v45, 0xe000, v45
	v_add_u16_sdwa v9, v9, s27 dst_sel:WORD_1 dst_unused:UNUSED_PAD src0_sel:DWORD src1_sel:DWORD
	v_fma_mix_f32 v42, v56, v42, 0 op_sel_hi:[1,0,0]
	v_or_b32_e32 v45, v45, v9
	v_mov_b32_e32 v9, 0
	v_dot4c_i32_i8_e32 v9, v45, v53
	s_waitcnt vmcnt(0)
	s_nop 1
	v_mul_lo_u32 v9, v9, v10
	v_cvt_f32_i32_e32 v58, v9
	v_add_u32_e32 v9, s8, v1
	v_mad_i64_i32 v[46:47], s[28:29], v9, s26, v[26:27]
	v_lshl_add_u64 v[50:51], v[46:47], 0, v[30:31]
	v_lshl_add_u64 v[48:49], v[46:47], 0, v[28:29]
	global_load_dword v9, v[50:51], off offset:128
	v_fma_mix_f32 v42, v57, v58, v42 op_sel_hi:[1,0,0]
	global_load_dword v49, v[48:49], off
	v_lshl_add_u64 v[50:51], v[46:47], 0, v[18:19]
	v_fma_mix_f32 v12, v42, v14, v12 op_sel_hi:[0,1,0]
	v_add_u32_e32 v1, 2, v1
	v_cmp_le_u32_e32 vcc, s5, v1
	s_or_b64 s[12:13], vcc, s[12:13]
	s_waitcnt vmcnt(1)
	v_ashrrev_i32_e32 v54, v2, v9
	global_load_ushort v9, v[46:47], off offset:208
	s_waitcnt vmcnt(1)
	v_and_b32_e32 v46, 0xf0f0f0f, v49
	v_lshlrev_b32_e32 v47, 4, v54
	v_and_or_b32 v46, v47, s20, v46
	v_lshlrev_b16_e32 v48, 8, v46
	v_and_b32_e32 v47, 0x3f00, v46
	v_add_u16_e32 v48, 0xe000, v48
	v_or_b32_sdwa v47, v47, v48 dst_sel:DWORD dst_unused:UNUSED_PAD src0_sel:DWORD src1_sel:BYTE_1
	v_and_b32_sdwa v48, v46, s21 dst_sel:DWORD dst_unused:UNUSED_PAD src0_sel:WORD_1 src1_sel:DWORD
	v_lshlrev_b16_sdwa v46, v6, v46 dst_sel:DWORD dst_unused:UNUSED_PAD src0_sel:DWORD src1_sel:WORD_1
	v_add_u16_e32 v46, 0xe000, v46
	v_or_b32_sdwa v46, v48, v46 dst_sel:DWORD dst_unused:UNUSED_PAD src0_sel:DWORD src1_sel:BYTE_1
	v_add_u16_e32 v47, 0xe000, v47
	v_add_u16_sdwa v46, v46, s27 dst_sel:WORD_1 dst_unused:UNUSED_PAD src0_sel:DWORD src1_sel:DWORD
	s_waitcnt vmcnt(0)
	v_cvt_f32_f16_e32 v42, v9
	v_or_b32_e32 v48, v47, v46
	v_lshrrev_b32_e32 v47, 4, v49
	v_and_b32_e32 v47, 0xf0f0f0f, v47
	v_mov_b32_e32 v46, 0
	v_and_or_b32 v47, v54, s20, v47
	v_dot4c_i32_i8_e32 v46, v48, v52
	v_lshlrev_b16_e32 v52, 8, v47
	v_and_b32_e32 v49, 0x3f00, v47
	v_add_u16_e32 v52, 0xe000, v52
	v_or_b32_sdwa v49, v49, v52 dst_sel:DWORD dst_unused:UNUSED_PAD src0_sel:DWORD src1_sel:BYTE_1
	v_and_b32_sdwa v52, v47, s21 dst_sel:DWORD dst_unused:UNUSED_PAD src0_sel:WORD_1 src1_sel:DWORD
	v_lshlrev_b16_sdwa v47, v6, v47 dst_sel:DWORD dst_unused:UNUSED_PAD src0_sel:DWORD src1_sel:WORD_1
	v_add_u16_e32 v47, 0xe000, v47
	v_or_b32_sdwa v47, v52, v47 dst_sel:DWORD dst_unused:UNUSED_PAD src0_sel:DWORD src1_sel:BYTE_1
	v_add_u16_e32 v49, 0xe000, v49
	v_add_u16_sdwa v47, v47, s27 dst_sel:WORD_1 dst_unused:UNUSED_PAD src0_sel:DWORD src1_sel:DWORD
	s_nop 0
	v_or_b32_e32 v47, v49, v47
	v_add_u32_e32 v49, s9, v5
	v_dot4c_i32_i8_e32 v59, v47, v53
	v_mad_u64_u32 v[52:53], s[28:29], v49, 36, v[20:21]
	v_lshl_add_u64 v[54:55], v[52:53], 0, v[34:35]
	global_load_dword v60, v[54:55], off offset:4
	global_load_dword v61, v[52:53], off
	global_load_dword v62, v[54:55], off offset:76
	global_load_dword v63, v[52:53], off offset:72
	global_load_sbyte v49, v[50:51], off offset:192
	v_cvt_f32_f16_e32 v52, v56
	v_cvt_f32_f16_e32 v54, v57
	s_waitcnt vmcnt(4)
	v_dot4c_i32_i8_e32 v64, v44, v60
	s_nop 2
	v_mul_lo_u32 v56, v64, v13
	v_cvt_f32_i32_e32 v57, v56
	s_waitcnt vmcnt(2)
	v_dot4c_i32_i8_e32 v65, v45, v62
	s_waitcnt vmcnt(0)
	v_mul_lo_u32 v46, v46, v49
	v_cvt_f32_i32_e32 v56, v46
	global_load_sbyte v46, v[50:51], off offset:196
	v_cvt_f32_f16_e32 v53, v61
	v_mul_lo_u32 v51, v65, v10
	v_cvt_f32_f16_e32 v55, v63
	v_cvt_f32_i32_e32 v51, v51
	v_pk_fma_f32 v[52:53], v[52:53], v[56:57], 0 op_sel_hi:[1,1,0]
	v_mov_b32_e32 v65, 0
	s_waitcnt vmcnt(0)
	v_mul_lo_u32 v50, v59, v46
	v_cvt_f32_i32_e32 v50, v50
	v_pk_fma_f32 v[50:51], v[54:55], v[50:51], v[52:53]
	s_nop 0
	v_pk_fma_f32 v[40:41], v[50:51], v[42:43], v[40:41]
	v_mov_b32_e32 v50, 0
	v_dot4c_i32_i8_e32 v50, v48, v60
	v_mov_b32_e32 v51, 0
	v_dot4c_i32_i8_e32 v51, v47, v62
	v_mov_b32_e32 v60, 0
	v_mul_lo_u32 v50, v50, v49
	v_cvt_f32_i32_e32 v50, v50
	v_mul_lo_u32 v51, v51, v46
	v_cvt_f32_i32_e32 v51, v51
	v_fma_mix_f32 v50, v61, v50, 0 op_sel_hi:[1,0,0]
	v_mov_b32_e32 v61, 0
	v_fma_mix_f32 v50, v63, v51, v50 op_sel_hi:[1,0,0]
	s_nop 0
	v_fma_mix_f32 v15, v50, v9, v15 op_sel_hi:[0,1,0]
	v_add_u32_e32 v50, s15, v5
	v_mad_u64_u32 v[50:51], s[28:29], v50, 36, v[20:21]
	v_lshl_add_u64 v[52:53], v[50:51], 0, v[34:35]
	global_load_dword v54, v[52:53], off offset:4
	global_load_dword v55, v[50:51], off
	global_load_dword v56, v[52:53], off offset:76
	global_load_dword v57, v[50:51], off offset:72
	v_mov_b32_e32 v50, 0
	s_waitcnt vmcnt(3)
	v_dot4c_i32_i8_e32 v50, v44, v54
	s_nop 2
	v_mul_lo_u32 v50, v50, v13
	v_cvt_f32_i32_e32 v58, v50
	v_mov_b32_e32 v50, 0
	s_waitcnt vmcnt(1)
	v_dot4c_i32_i8_e32 v50, v45, v56
	v_dot4c_i32_i8_e32 v61, v47, v56
	;; [unrolled: 1-line block ×3, first 2 shown]
	v_mov_b32_e32 v54, 0
	v_mul_lo_u32 v50, v50, v10
	v_cvt_f32_i32_e32 v59, v50
	v_add_u32_e32 v50, s19, v5
	v_mad_u64_u32 v[50:51], s[28:29], v50, 36, v[20:21]
	v_lshl_add_u64 v[52:53], v[50:51], 0, v[34:35]
	global_load_dword v56, v[52:53], off offset:4
	global_load_dword v62, v[50:51], off
	global_load_dword v63, v[52:53], off offset:76
	global_load_dword v64, v[50:51], off offset:72
	v_cvt_f32_f16_e32 v50, v55
	v_fma_mix_f32 v55, v55, v58, 0 op_sel_hi:[1,0,0]
	s_waitcnt vmcnt(4)
	v_cvt_f32_f16_e32 v52, v57
	v_fma_mix_f32 v55, v57, v59, v55 op_sel_hi:[1,0,0]
	v_mul_lo_u32 v57, v60, v49
	v_fma_mix_f32 v8, v55, v14, v8 op_sel_hi:[0,1,0]
	v_mov_b32_e32 v60, 0
	s_waitcnt vmcnt(3)
	v_dot4c_i32_i8_e32 v54, v44, v56
	s_nop 2
	v_mul_lo_u32 v54, v54, v13
	s_waitcnt vmcnt(2)
	v_cvt_f32_f16_e32 v51, v62
	v_cvt_f32_i32_e32 v55, v54
	v_cvt_f32_i32_e32 v54, v57
	s_waitcnt vmcnt(1)
	v_dot4c_i32_i8_e32 v65, v45, v63
	s_waitcnt vmcnt(0)
	v_cvt_f32_f16_e32 v53, v64
	v_pk_fma_f32 v[50:51], v[50:51], v[54:55], 0 op_sel_hi:[1,1,0]
	v_mul_lo_u32 v54, v61, v46
	v_mul_lo_u32 v55, v65, v10
	v_cvt_f32_i32_e32 v55, v55
	v_cvt_f32_i32_e32 v54, v54
	v_mov_b32_e32 v61, 0
	v_mov_b32_e32 v65, 0
	v_pk_fma_f32 v[50:51], v[52:53], v[54:55], v[50:51]
	s_nop 0
	v_pk_fma_f32 v[38:39], v[50:51], v[42:43], v[38:39]
	v_mov_b32_e32 v50, 0
	v_dot4c_i32_i8_e32 v50, v48, v56
	v_mov_b32_e32 v51, 0
	v_dot4c_i32_i8_e32 v51, v47, v63
	s_nop 0
	v_mul_lo_u32 v50, v50, v49
	v_cvt_f32_i32_e32 v50, v50
	v_mul_lo_u32 v51, v51, v46
	v_cvt_f32_i32_e32 v51, v51
	v_fma_mix_f32 v50, v62, v50, 0 op_sel_hi:[1,0,0]
	s_nop 0
	v_fma_mix_f32 v50, v64, v51, v50 op_sel_hi:[1,0,0]
	s_nop 0
	v_fma_mix_f32 v11, v50, v9, v11 op_sel_hi:[0,1,0]
	v_add_u32_e32 v50, s22, v5
	v_mad_u64_u32 v[50:51], s[28:29], v50, 36, v[20:21]
	v_lshl_add_u64 v[52:53], v[50:51], 0, v[34:35]
	global_load_dword v54, v[52:53], off offset:4
	global_load_dword v55, v[50:51], off
	global_load_dword v56, v[52:53], off offset:76
	global_load_dword v57, v[50:51], off offset:72
	v_mov_b32_e32 v50, 0
	s_waitcnt vmcnt(3)
	v_dot4c_i32_i8_e32 v50, v44, v54
	s_nop 2
	v_mul_lo_u32 v50, v50, v13
	v_cvt_f32_i32_e32 v58, v50
	v_mov_b32_e32 v50, 0
	s_waitcnt vmcnt(1)
	v_dot4c_i32_i8_e32 v50, v45, v56
	v_dot4c_i32_i8_e32 v61, v47, v56
	;; [unrolled: 1-line block ×3, first 2 shown]
	v_mov_b32_e32 v54, 0
	v_mul_lo_u32 v50, v50, v10
	v_cvt_f32_i32_e32 v59, v50
	v_add_u32_e32 v50, s23, v5
	v_mad_u64_u32 v[50:51], s[28:29], v50, 36, v[20:21]
	v_lshl_add_u64 v[52:53], v[50:51], 0, v[34:35]
	global_load_dword v56, v[52:53], off offset:4
	global_load_dword v62, v[50:51], off
	global_load_dword v63, v[52:53], off offset:76
	global_load_dword v64, v[50:51], off offset:72
	v_cvt_f32_f16_e32 v50, v55
	v_fma_mix_f32 v55, v55, v58, 0 op_sel_hi:[1,0,0]
	s_waitcnt vmcnt(4)
	v_cvt_f32_f16_e32 v52, v57
	v_fma_mix_f32 v55, v57, v59, v55 op_sel_hi:[1,0,0]
	v_mul_lo_u32 v57, v60, v49
	v_fma_mix_f32 v4, v55, v14, v4 op_sel_hi:[0,1,0]
	v_mov_b32_e32 v60, 0
	s_waitcnt vmcnt(3)
	v_dot4c_i32_i8_e32 v54, v44, v56
	s_nop 2
	v_mul_lo_u32 v54, v54, v13
	s_waitcnt vmcnt(2)
	v_cvt_f32_f16_e32 v51, v62
	v_cvt_f32_i32_e32 v55, v54
	v_cvt_f32_i32_e32 v54, v57
	s_waitcnt vmcnt(1)
	v_dot4c_i32_i8_e32 v65, v45, v63
	s_waitcnt vmcnt(0)
	v_cvt_f32_f16_e32 v53, v64
	v_pk_fma_f32 v[50:51], v[50:51], v[54:55], 0 op_sel_hi:[1,1,0]
	v_mul_lo_u32 v54, v61, v46
	v_mul_lo_u32 v55, v65, v10
	v_cvt_f32_i32_e32 v55, v55
	v_cvt_f32_i32_e32 v54, v54
	v_pk_fma_f32 v[50:51], v[52:53], v[54:55], v[50:51]
	s_nop 0
	v_pk_fma_f32 v[36:37], v[50:51], v[42:43], v[36:37]
	v_mov_b32_e32 v50, 0
	v_dot4c_i32_i8_e32 v50, v48, v56
	v_mov_b32_e32 v51, 0
	v_dot4c_i32_i8_e32 v51, v47, v63
	s_nop 0
	v_mul_lo_u32 v50, v50, v49
	v_cvt_f32_i32_e32 v50, v50
	v_mul_lo_u32 v51, v51, v46
	v_cvt_f32_i32_e32 v51, v51
	v_fma_mix_f32 v50, v62, v50, 0 op_sel_hi:[1,0,0]
	s_nop 0
	v_fma_mix_f32 v50, v64, v51, v50 op_sel_hi:[1,0,0]
	s_nop 0
	v_fma_mix_f32 v7, v50, v9, v7 op_sel_hi:[0,1,0]
	v_add_u32_e32 v50, s24, v5
	v_mad_u64_u32 v[50:51], s[28:29], v50, 36, v[20:21]
	v_lshl_add_u64 v[52:53], v[50:51], 0, v[34:35]
	global_load_dword v54, v[52:53], off offset:4
	global_load_dword v55, v[50:51], off
	global_load_dword v56, v[52:53], off offset:76
	global_load_dword v57, v[50:51], off offset:72
	v_mov_b32_e32 v50, 0
	v_mov_b32_e32 v64, 0
	s_waitcnt vmcnt(3)
	v_dot4c_i32_i8_e32 v50, v44, v54
	s_nop 2
	v_mul_lo_u32 v50, v50, v13
	v_cvt_f32_i32_e32 v58, v50
	v_mov_b32_e32 v50, 0
	s_waitcnt vmcnt(1)
	v_dot4c_i32_i8_e32 v50, v45, v56
	v_dot4c_i32_i8_e32 v60, v48, v54
	v_mov_b32_e32 v54, 0
	v_dot4c_i32_i8_e32 v54, v47, v56
	v_mul_lo_u32 v50, v50, v10
	v_cvt_f32_i32_e32 v59, v50
	v_add_u32_e32 v50, s25, v5
	v_mad_u64_u32 v[50:51], s[28:29], v50, 36, v[20:21]
	v_lshl_add_u64 v[52:53], v[50:51], 0, v[34:35]
	global_load_dword v56, v[52:53], off offset:4
	global_load_dword v61, v[50:51], off
	global_load_dword v62, v[52:53], off offset:76
	global_load_dword v63, v[50:51], off offset:72
	v_mov_b32_e32 v52, 0
	v_fma_mix_f32 v53, v55, v58, 0 op_sel_hi:[1,0,0]
	s_waitcnt vmcnt(4)
	v_cvt_f32_f16_e32 v50, v57
	v_fma_mix_f32 v53, v57, v59, v53 op_sel_hi:[1,0,0]
	v_add_u32_e32 v5, 16, v5
	v_fma_mix_f32 v0, v53, v14, v0 op_sel_hi:[0,1,0]
	v_mul_lo_u32 v14, v60, v49
	s_waitcnt vmcnt(3)
	v_dot4c_i32_i8_e32 v52, v44, v56
	s_nop 2
	v_mul_lo_u32 v13, v52, v13
	s_waitcnt vmcnt(1)
	v_dot4c_i32_i8_e32 v64, v45, v62
	v_cvt_f32_f16_e32 v45, v61
	v_cvt_f32_f16_e32 v44, v55
	v_cvt_f32_i32_e32 v53, v13
	v_cvt_f32_i32_e32 v52, v14
	v_mul_lo_u32 v10, v64, v10
	v_mul_lo_u32 v13, v54, v46
	s_waitcnt vmcnt(0)
	v_cvt_f32_f16_e32 v51, v63
	v_pk_fma_f32 v[44:45], v[44:45], v[52:53], 0 op_sel_hi:[1,1,0]
	v_cvt_f32_i32_e32 v53, v10
	v_mov_b32_e32 v10, 0
	v_cvt_f32_i32_e32 v52, v13
	v_dot4c_i32_i8_e32 v10, v48, v56
	v_mov_b32_e32 v13, 0
	v_dot4c_i32_i8_e32 v13, v47, v62
	v_pk_fma_f32 v[44:45], v[50:51], v[52:53], v[44:45]
	v_mul_lo_u32 v10, v10, v49
	v_cvt_f32_i32_e32 v10, v10
	v_mul_lo_u32 v13, v13, v46
	v_cvt_f32_i32_e32 v13, v13
	v_pk_fma_f32 v[32:33], v[44:45], v[42:43], v[32:33]
	v_fma_mix_f32 v10, v61, v10, 0 op_sel_hi:[1,0,0]
	s_nop 0
	v_fma_mix_f32 v10, v63, v13, v10 op_sel_hi:[1,0,0]
	s_nop 0
	v_fma_mix_f32 v3, v10, v9, v3 op_sel_hi:[0,1,0]
	s_andn2_b64 exec, exec, s[12:13]
	s_cbranch_execnz .LBB155_2
; %bb.3:
	s_or_b64 exec, exec, s[12:13]
	v_mov_b32_e32 v13, v40
	v_mov_b32_e32 v14, v41
	;; [unrolled: 1-line block ×8, first 2 shown]
	scratch_store_dwordx4 off, v[12:15], off
	scratch_store_dwordx4 off, v[8:11], off offset:16
	scratch_store_dwordx4 off, v[4:7], off offset:32
	;; [unrolled: 1-line block ×3, first 2 shown]
.LBB155_4:
	s_or_b64 exec, exec, s[6:7]
	s_mov_b32 s5, 0
	v_cmp_eq_u32_e32 vcc, 0, v17
	s_waitcnt lgkmcnt(0)
	; wave barrier
	s_and_saveexec_b64 s[6:7], vcc
	s_cbranch_execz .LBB155_21
; %bb.5:
	scratch_load_dwordx2 v[2:3], off, off
	v_mbcnt_lo_u32_b32 v0, -1, 0
	v_mbcnt_hi_u32_b32 v12, -1, v0
	s_load_dwordx2 s[6:7], s[0:1], 0x38
	s_mul_i32 s0, s3, s14
	v_or_b32_e32 v1, s2, v16
	v_and_b32_e32 v0, 64, v12
	s_mul_i32 s4, s4, s18
	s_add_i32 s2, s0, s2
	v_cmp_gt_u32_e64 s[0:1], s10, v1
	v_xor_b32_e32 v1, 32, v12
	v_add_u32_e32 v13, 64, v0
	s_add_i32 s4, s2, s4
	v_cmp_lt_i32_e64 s[2:3], v1, v13
	v_cmp_gt_u32_e32 vcc, 2, v16
	s_nop 0
	v_cndmask_b32_e64 v0, v12, v1, s[2:3]
	v_lshlrev_b32_e32 v0, 2, v0
	v_xor_b32_e32 v1, 16, v12
	v_cmp_lt_i32_e64 s[2:3], v1, v13
	s_waitcnt vmcnt(0)
	ds_bpermute_b32 v4, v0, v2
	ds_bpermute_b32 v5, v0, v3
	v_cndmask_b32_e64 v1, v12, v1, s[2:3]
	v_lshlrev_b32_e32 v1, 2, v1
	s_waitcnt lgkmcnt(0)
	v_pk_add_f32 v[4:5], v[2:3], v[4:5]
	ds_bpermute_b32 v6, v1, v4
	ds_bpermute_b32 v7, v1, v5
	v_xor_b32_e32 v2, 8, v12
	v_cmp_lt_i32_e64 s[2:3], v2, v13
	v_xor_b32_e32 v3, 4, v12
	s_waitcnt lgkmcnt(0)
	v_pk_add_f32 v[4:5], v[4:5], v[6:7]
	v_cndmask_b32_e64 v2, v12, v2, s[2:3]
	v_lshlrev_b32_e32 v2, 2, v2
	ds_bpermute_b32 v6, v2, v4
	ds_bpermute_b32 v7, v2, v5
	v_cmp_lt_i32_e64 s[2:3], v3, v13
	s_waitcnt lgkmcnt(0)
	v_pk_add_f32 v[6:7], v[4:5], v[6:7]
	v_cndmask_b32_e64 v3, v12, v3, s[2:3]
	v_lshlrev_b32_e32 v3, 2, v3
	ds_bpermute_b32 v8, v3, v6
	ds_bpermute_b32 v9, v3, v7
	v_xor_b32_e32 v4, 2, v12
	v_cmp_lt_i32_e64 s[2:3], v4, v13
	v_xor_b32_e32 v5, 1, v12
	s_waitcnt lgkmcnt(0)
	v_pk_add_f32 v[8:9], v[6:7], v[8:9]
	v_cndmask_b32_e64 v4, v12, v4, s[2:3]
	v_lshlrev_b32_e32 v4, 2, v4
	ds_bpermute_b32 v10, v4, v8
	ds_bpermute_b32 v11, v4, v9
	v_cmp_lt_i32_e64 s[2:3], v5, v13
	s_waitcnt lgkmcnt(0)
	v_pk_add_f32 v[8:9], v[8:9], v[10:11]
	v_cndmask_b32_e64 v5, v12, v5, s[2:3]
	v_lshlrev_b32_e32 v6, 2, v5
	ds_bpermute_b32 v10, v6, v8
	ds_bpermute_b32 v11, v6, v9
	s_lshl_b64 s[2:3], s[4:5], 2
	s_add_u32 s2, s6, s2
	s_addc_u32 s3, s7, s3
	s_and_b64 s[0:1], vcc, s[0:1]
	s_waitcnt lgkmcnt(0)
	v_pk_add_f32 v[8:9], v[8:9], v[10:11]
	v_lshlrev_b32_e32 v5, 2, v16
	scratch_store_dwordx2 off, v[8:9], off
	s_and_saveexec_b64 s[4:5], s[0:1]
	s_cbranch_execz .LBB155_7
; %bb.6:
	scratch_load_dword v7, v5, off
	s_waitcnt vmcnt(0)
	global_store_dword v5, v7, s[2:3]
.LBB155_7:
	s_or_b64 exec, exec, s[4:5]
	scratch_load_dwordx2 v[8:9], off, off offset:8
	s_waitcnt vmcnt(0)
	ds_bpermute_b32 v10, v0, v8
	ds_bpermute_b32 v11, v0, v9
	s_waitcnt lgkmcnt(0)
	v_pk_add_f32 v[8:9], v[8:9], v[10:11]
	ds_bpermute_b32 v10, v1, v8
	ds_bpermute_b32 v11, v1, v9
	s_waitcnt lgkmcnt(0)
	v_pk_add_f32 v[8:9], v[8:9], v[10:11]
	;; [unrolled: 4-line block ×6, first 2 shown]
	scratch_store_dwordx2 off, v[8:9], off offset:8
	s_and_saveexec_b64 s[4:5], s[0:1]
	s_cbranch_execz .LBB155_9
; %bb.8:
	scratch_load_dword v7, v5, off offset:8
	v_add_u32_e32 v8, s10, v16
	v_mov_b32_e32 v9, 0
	v_lshl_add_u64 v[8:9], v[8:9], 2, s[2:3]
	s_waitcnt vmcnt(0)
	global_store_dword v[8:9], v7, off
.LBB155_9:
	s_or_b64 exec, exec, s[4:5]
	scratch_load_dwordx2 v[8:9], off, off offset:16
	s_waitcnt vmcnt(0)
	ds_bpermute_b32 v10, v0, v8
	ds_bpermute_b32 v11, v0, v9
	s_waitcnt lgkmcnt(0)
	v_pk_add_f32 v[8:9], v[8:9], v[10:11]
	ds_bpermute_b32 v10, v1, v8
	ds_bpermute_b32 v11, v1, v9
	s_waitcnt lgkmcnt(0)
	v_pk_add_f32 v[8:9], v[8:9], v[10:11]
	;; [unrolled: 4-line block ×6, first 2 shown]
	scratch_store_dwordx2 off, v[8:9], off offset:16
	s_and_saveexec_b64 s[4:5], s[0:1]
	s_cbranch_execz .LBB155_11
; %bb.10:
	scratch_load_dword v7, v5, off offset:16
	v_lshl_or_b32 v8, s10, 1, v16
	v_mov_b32_e32 v9, 0
	v_lshl_add_u64 v[8:9], v[8:9], 2, s[2:3]
	s_waitcnt vmcnt(0)
	global_store_dword v[8:9], v7, off
.LBB155_11:
	s_or_b64 exec, exec, s[4:5]
	scratch_load_dwordx2 v[8:9], off, off offset:24
	s_waitcnt vmcnt(0)
	ds_bpermute_b32 v10, v0, v8
	ds_bpermute_b32 v11, v0, v9
	s_waitcnt lgkmcnt(0)
	v_pk_add_f32 v[8:9], v[8:9], v[10:11]
	ds_bpermute_b32 v10, v1, v8
	ds_bpermute_b32 v11, v1, v9
	s_waitcnt lgkmcnt(0)
	v_pk_add_f32 v[8:9], v[8:9], v[10:11]
	;; [unrolled: 4-line block ×6, first 2 shown]
	scratch_store_dwordx2 off, v[8:9], off offset:24
	s_and_saveexec_b64 s[4:5], s[0:1]
	s_cbranch_execz .LBB155_13
; %bb.12:
	scratch_load_dword v7, v5, off offset:24
	v_mad_u64_u32 v[8:9], s[6:7], s10, 3, v[16:17]
	v_mov_b32_e32 v9, 0
	v_lshl_add_u64 v[8:9], v[8:9], 2, s[2:3]
	s_waitcnt vmcnt(0)
	global_store_dword v[8:9], v7, off
.LBB155_13:
	s_or_b64 exec, exec, s[4:5]
	scratch_load_dwordx2 v[8:9], off, off offset:32
	s_waitcnt vmcnt(0)
	ds_bpermute_b32 v10, v0, v8
	ds_bpermute_b32 v11, v0, v9
	s_waitcnt lgkmcnt(0)
	v_pk_add_f32 v[8:9], v[8:9], v[10:11]
	ds_bpermute_b32 v10, v1, v8
	ds_bpermute_b32 v11, v1, v9
	s_waitcnt lgkmcnt(0)
	v_pk_add_f32 v[8:9], v[8:9], v[10:11]
	;; [unrolled: 4-line block ×6, first 2 shown]
	scratch_store_dwordx2 off, v[8:9], off offset:32
	s_and_saveexec_b64 s[4:5], s[0:1]
	s_cbranch_execz .LBB155_15
; %bb.14:
	scratch_load_dword v7, v5, off offset:32
	v_lshl_or_b32 v8, s10, 2, v16
	v_mov_b32_e32 v9, 0
	v_lshl_add_u64 v[8:9], v[8:9], 2, s[2:3]
	s_waitcnt vmcnt(0)
	global_store_dword v[8:9], v7, off
.LBB155_15:
	s_or_b64 exec, exec, s[4:5]
	scratch_load_dwordx2 v[8:9], off, off offset:40
	s_waitcnt vmcnt(0)
	ds_bpermute_b32 v10, v0, v8
	ds_bpermute_b32 v11, v0, v9
	s_waitcnt lgkmcnt(0)
	v_pk_add_f32 v[8:9], v[8:9], v[10:11]
	ds_bpermute_b32 v10, v1, v8
	ds_bpermute_b32 v11, v1, v9
	s_waitcnt lgkmcnt(0)
	v_pk_add_f32 v[8:9], v[8:9], v[10:11]
	;; [unrolled: 4-line block ×6, first 2 shown]
	scratch_store_dwordx2 off, v[8:9], off offset:40
	s_and_saveexec_b64 s[4:5], s[0:1]
	s_cbranch_execz .LBB155_17
; %bb.16:
	scratch_load_dword v7, v5, off offset:40
	v_mad_u64_u32 v[8:9], s[6:7], s10, 5, v[16:17]
	v_mov_b32_e32 v9, 0
	v_lshl_add_u64 v[8:9], v[8:9], 2, s[2:3]
	s_waitcnt vmcnt(0)
	global_store_dword v[8:9], v7, off
.LBB155_17:
	s_or_b64 exec, exec, s[4:5]
	scratch_load_dwordx2 v[8:9], off, off offset:48
	s_waitcnt vmcnt(0)
	ds_bpermute_b32 v10, v0, v8
	ds_bpermute_b32 v11, v0, v9
	s_waitcnt lgkmcnt(0)
	v_pk_add_f32 v[8:9], v[8:9], v[10:11]
	ds_bpermute_b32 v10, v1, v8
	ds_bpermute_b32 v11, v1, v9
	s_waitcnt lgkmcnt(0)
	v_pk_add_f32 v[8:9], v[8:9], v[10:11]
	;; [unrolled: 4-line block ×6, first 2 shown]
	scratch_store_dwordx2 off, v[8:9], off offset:48
	s_and_saveexec_b64 s[4:5], s[0:1]
	s_cbranch_execz .LBB155_19
; %bb.18:
	scratch_load_dword v7, v5, off offset:48
	s_mul_i32 s6, s10, 6
	v_or_b32_e32 v8, s6, v16
	v_mov_b32_e32 v9, 0
	v_lshl_add_u64 v[8:9], v[8:9], 2, s[2:3]
	s_waitcnt vmcnt(0)
	global_store_dword v[8:9], v7, off
.LBB155_19:
	s_or_b64 exec, exec, s[4:5]
	scratch_load_dwordx2 v[8:9], off, off offset:56
	s_waitcnt vmcnt(0)
	ds_bpermute_b32 v10, v0, v8
	ds_bpermute_b32 v11, v0, v9
	s_waitcnt lgkmcnt(0)
	v_pk_add_f32 v[8:9], v[8:9], v[10:11]
	ds_bpermute_b32 v0, v1, v8
	ds_bpermute_b32 v1, v1, v9
	s_waitcnt lgkmcnt(0)
	v_pk_add_f32 v[0:1], v[8:9], v[0:1]
	;; [unrolled: 4-line block ×6, first 2 shown]
	scratch_store_dwordx2 off, v[0:1], off offset:56
	s_and_b64 exec, exec, s[0:1]
	s_cbranch_execz .LBB155_21
; %bb.20:
	scratch_load_dword v2, v5, off offset:56
	v_mad_u64_u32 v[0:1], s[0:1], s10, 7, v[16:17]
	v_mov_b32_e32 v1, 0
	v_lshl_add_u64 v[0:1], v[0:1], 2, s[2:3]
	s_waitcnt vmcnt(0)
	global_store_dword v[0:1], v2, off
.LBB155_21:
	s_endpgm
	.section	.rodata,"a",@progbits
	.p2align	6, 0x0
	.amdhsa_kernel _ZL13mul_mat_vec_qIL9ggml_type14ELi8ELb0ELb0EEvPKvS2_PKi31ggml_cuda_mm_fusion_args_devicePfj15HIP_vector_typeIjLj3EEjjjS8_jjjS8_jjjj
		.amdhsa_group_segment_fixed_size 0
		.amdhsa_private_segment_fixed_size 80
		.amdhsa_kernarg_size 144
		.amdhsa_user_sgpr_count 2
		.amdhsa_user_sgpr_dispatch_ptr 0
		.amdhsa_user_sgpr_queue_ptr 0
		.amdhsa_user_sgpr_kernarg_segment_ptr 1
		.amdhsa_user_sgpr_dispatch_id 0
		.amdhsa_user_sgpr_kernarg_preload_length 0
		.amdhsa_user_sgpr_kernarg_preload_offset 0
		.amdhsa_user_sgpr_private_segment_size 0
		.amdhsa_uses_dynamic_stack 0
		.amdhsa_enable_private_segment 1
		.amdhsa_system_sgpr_workgroup_id_x 1
		.amdhsa_system_sgpr_workgroup_id_y 1
		.amdhsa_system_sgpr_workgroup_id_z 1
		.amdhsa_system_sgpr_workgroup_info 0
		.amdhsa_system_vgpr_workitem_id 1
		.amdhsa_next_free_vgpr 66
		.amdhsa_next_free_sgpr 30
		.amdhsa_accum_offset 68
		.amdhsa_reserve_vcc 1
		.amdhsa_float_round_mode_32 0
		.amdhsa_float_round_mode_16_64 0
		.amdhsa_float_denorm_mode_32 3
		.amdhsa_float_denorm_mode_16_64 3
		.amdhsa_dx10_clamp 1
		.amdhsa_ieee_mode 1
		.amdhsa_fp16_overflow 0
		.amdhsa_tg_split 0
		.amdhsa_exception_fp_ieee_invalid_op 0
		.amdhsa_exception_fp_denorm_src 0
		.amdhsa_exception_fp_ieee_div_zero 0
		.amdhsa_exception_fp_ieee_overflow 0
		.amdhsa_exception_fp_ieee_underflow 0
		.amdhsa_exception_fp_ieee_inexact 0
		.amdhsa_exception_int_div_zero 0
	.end_amdhsa_kernel
	.section	.text._ZL13mul_mat_vec_qIL9ggml_type14ELi8ELb0ELb0EEvPKvS2_PKi31ggml_cuda_mm_fusion_args_devicePfj15HIP_vector_typeIjLj3EEjjjS8_jjjS8_jjjj,"axG",@progbits,_ZL13mul_mat_vec_qIL9ggml_type14ELi8ELb0ELb0EEvPKvS2_PKi31ggml_cuda_mm_fusion_args_devicePfj15HIP_vector_typeIjLj3EEjjjS8_jjjS8_jjjj,comdat
.Lfunc_end155:
	.size	_ZL13mul_mat_vec_qIL9ggml_type14ELi8ELb0ELb0EEvPKvS2_PKi31ggml_cuda_mm_fusion_args_devicePfj15HIP_vector_typeIjLj3EEjjjS8_jjjS8_jjjj, .Lfunc_end155-_ZL13mul_mat_vec_qIL9ggml_type14ELi8ELb0ELb0EEvPKvS2_PKi31ggml_cuda_mm_fusion_args_devicePfj15HIP_vector_typeIjLj3EEjjjS8_jjjS8_jjjj
                                        ; -- End function
	.section	.AMDGPU.csdata,"",@progbits
; Kernel info:
; codeLenInByte = 4984
; NumSgprs: 36
; NumVgprs: 66
; NumAgprs: 0
; TotalNumVgprs: 66
; ScratchSize: 80
; MemoryBound: 0
; FloatMode: 240
; IeeeMode: 1
; LDSByteSize: 0 bytes/workgroup (compile time only)
; SGPRBlocks: 4
; VGPRBlocks: 8
; NumSGPRsForWavesPerEU: 36
; NumVGPRsForWavesPerEU: 66
; AccumOffset: 68
; Occupancy: 7
; WaveLimiterHint : 0
; COMPUTE_PGM_RSRC2:SCRATCH_EN: 1
; COMPUTE_PGM_RSRC2:USER_SGPR: 2
; COMPUTE_PGM_RSRC2:TRAP_HANDLER: 0
; COMPUTE_PGM_RSRC2:TGID_X_EN: 1
; COMPUTE_PGM_RSRC2:TGID_Y_EN: 1
; COMPUTE_PGM_RSRC2:TGID_Z_EN: 1
; COMPUTE_PGM_RSRC2:TIDIG_COMP_CNT: 1
; COMPUTE_PGM_RSRC3_GFX90A:ACCUM_OFFSET: 16
; COMPUTE_PGM_RSRC3_GFX90A:TG_SPLIT: 0
	.section	.text._ZL17mul_mat_vec_q_moeIL9ggml_type16ELi2EEvPKvS2_PKiPfj15HIP_vector_typeIjLj3EEjjjjjjjjj,"axG",@progbits,_ZL17mul_mat_vec_q_moeIL9ggml_type16ELi2EEvPKvS2_PKiPfj15HIP_vector_typeIjLj3EEjjjjjjjjj,comdat
	.globl	_ZL17mul_mat_vec_q_moeIL9ggml_type16ELi2EEvPKvS2_PKiPfj15HIP_vector_typeIjLj3EEjjjjjjjjj ; -- Begin function _ZL17mul_mat_vec_q_moeIL9ggml_type16ELi2EEvPKvS2_PKiPfj15HIP_vector_typeIjLj3EEjjjjjjjjj
	.p2align	8
	.type	_ZL17mul_mat_vec_q_moeIL9ggml_type16ELi2EEvPKvS2_PKiPfj15HIP_vector_typeIjLj3EEjjjjjjjjj,@function
_ZL17mul_mat_vec_q_moeIL9ggml_type16ELi2EEvPKvS2_PKiPfj15HIP_vector_typeIjLj3EEjjjjjjjjj: ; @_ZL17mul_mat_vec_q_moeIL9ggml_type16ELi2EEvPKvS2_PKiPfj15HIP_vector_typeIjLj3EEjjjjjjjjj
; %bb.0:
	s_load_dwordx8 s[4:11], s[0:1], 0x30
	v_bfe_u32 v30, v0, 10, 10
	s_waitcnt lgkmcnt(0)
	v_cmp_gt_u32_e32 vcc, s11, v30
	s_and_saveexec_b64 s[12:13], vcc
	s_cbranch_execz .LBB156_7
; %bb.1:
	s_load_dword s11, s[0:1], 0x20
	s_load_dword s20, s[0:1], 0x50
	s_load_dwordx8 s[12:19], s[0:1], 0x0
	v_and_b32_e32 v31, 0x3ff, v0
	v_lshrrev_b32_e32 v32, 3, v31
	s_waitcnt lgkmcnt(0)
	s_lshr_b32 s11, s11, 8
	s_lshl_b32 s2, s2, 1
	v_cmp_gt_u32_e32 vcc, s11, v32
	v_mov_b32_e32 v11, 0
	v_mov_b32_e32 v10, 0
	s_and_saveexec_b64 s[24:25], vcc
	s_cbranch_execz .LBB156_5
; %bb.2:
	v_mul_lo_u32 v2, v30, s20
	v_mov_b32_e32 v0, s16
	v_mov_b32_e32 v1, s17
	v_add_u32_e32 v8, s3, v2
	v_mov_b32_e32 v9, 0
	v_lshl_add_u64 v[0:1], v[8:9], 2, v[0:1]
	global_load_dword v3, v[0:1], off
	s_load_dwordx4 s[20:23], s[0:1], 0x24
	v_mul_lo_u32 v0, v30, s6
	v_lshlrev_b32_e32 v1, 1, v31
	s_add_i32 s26, s2, 1
	s_waitcnt lgkmcnt(0)
	s_mul_i32 s23, s2, s5
	s_mul_hi_u32 s20, s20, s3
	s_add_i32 s20, s3, s20
	s_lshr_b32 s20, s20, s21
	s_mul_i32 s20, s20, s22
	v_lshrrev_b32_e32 v5, 3, v31
	s_movk_i32 s28, 0x120
	v_and_b32_e32 v2, 14, v1
	s_mul_i32 s5, s5, s26
	v_mad_u64_u32 v[0:1], s[26:27], v0, 36, 0
	s_sub_i32 s20, s3, s20
	v_mad_u64_u32 v[0:1], s[26:27], v5, s28, v[0:1]
	s_mul_i32 s20, s20, s9
	v_and_b32_e32 v4, 7, v31
	v_mad_u64_u32 v[0:1], s[20:21], s20, 36, v[0:1]
	v_mad_u64_u32 v[0:1], s[20:21], v4, 36, v[0:1]
	v_lshl_add_u64 v[0:1], v[0:1], 0, s[14:15]
	v_lshlrev_b32_e32 v2, 1, v2
	v_lshl_add_u64 v[14:15], v[0:1], 0, 16
	s_mov_b64 s[0:1], 0
	s_movk_i32 s6, 0x42
	v_mov_b64_e32 v[12:13], s[12:13]
	s_mov_b32 s16, 0x1010101
	s_movk_i32 s17, 0xff00
	s_mov_b64 s[12:13], 0x900
	v_mov_b32_e32 v33, 3
	v_mov_b32_e32 v34, 8
	;; [unrolled: 1-line block ×3, first 2 shown]
	v_lshlrev_b32_e32 v8, 1, v2
	v_mov_b32_e32 v11, v9
	s_waitcnt vmcnt(0)
	v_mul_lo_u32 v0, v3, s8
	v_add_u32_e32 v35, s23, v0
	v_add_u32_e32 v36, s5, v0
.LBB156_3:                              ; =>This Inner Loop Header: Depth=1
	v_add_u32_e32 v16, v35, v32
	v_add_u32_e32 v17, v36, v32
	v_mad_i64_i32 v[18:19], s[14:15], v16, s6, v[12:13]
	v_mad_i64_i32 v[16:17], s[14:15], v17, s6, v[12:13]
	v_lshl_add_u64 v[20:21], v[18:19], 0, v[8:9]
	global_load_dwordx4 v[0:3], v[14:15], off offset:-16
	global_load_dwordx4 v[4:7], v[14:15], off
	global_load_dword v37, v[14:15], off offset:16
	v_lshl_add_u64 v[22:23], v[16:17], 0, v[8:9]
	global_load_dwordx2 v[24:25], v[20:21], off offset:2
	global_load_dwordx2 v[26:27], v[22:23], off offset:2
	global_load_ushort v28, v[16:17], off
	global_load_ushort v29, v[18:19], off
	s_getpc_b64 s[8:9]
	s_add_u32 s8, s8, _ZL11iq2xxs_grid@rel32@lo+4
	s_addc_u32 s9, s9, _ZL11iq2xxs_grid@rel32@hi+12
	v_mov_b32_e32 v38, 0
	v_mov_b32_e32 v39, 0
	v_add_u32_e32 v32, 8, v32
	v_cmp_le_u32_e32 vcc, s11, v32
	v_lshl_add_u64 v[14:15], v[14:15], 0, s[12:13]
	s_or_b64 s[0:1], vcc, s[0:1]
	s_waitcnt vmcnt(6)
	v_cvt_f32_f16_e32 v0, v0
	s_waitcnt vmcnt(3)
	v_lshlrev_b32_sdwa v22, v33, v24 dst_sel:DWORD dst_unused:UNUSED_PAD src0_sel:DWORD src1_sel:BYTE_0
	v_and_b32_e32 v16, 1, v25
	v_lshlrev_b32_sdwa v23, v33, v24 dst_sel:DWORD dst_unused:UNUSED_PAD src0_sel:DWORD src1_sel:BYTE_1
	v_lshlrev_b32_sdwa v49, v33, v24 dst_sel:DWORD dst_unused:UNUSED_PAD src0_sel:DWORD src1_sel:BYTE_2
	v_lshlrev_b32_sdwa v24, v33, v24 dst_sel:DWORD dst_unused:UNUSED_PAD src0_sel:DWORD src1_sel:BYTE_3
	v_sub_u16_e32 v75, 0, v16
	global_load_dwordx2 v[42:43], v22, s[8:9]
	global_load_dwordx2 v[20:21], v23, s[8:9]
	global_load_dwordx2 v[18:19], v49, s[8:9]
	global_load_dwordx2 v[16:17], v24, s[8:9]
	s_waitcnt vmcnt(6)
	v_lshlrev_b32_sdwa v59, v33, v26 dst_sel:DWORD dst_unused:UNUSED_PAD src0_sel:DWORD src1_sel:BYTE_0
	v_and_b32_e32 v44, 0xff, v25
	v_bfe_i32 v45, v25, 4, 1
	v_bfe_u32 v46, v25, 7, 8
	v_bfe_i32 v47, v25, 7, 1
	v_bfe_i32 v48, v25, 11, 1
	v_bfe_u32 v50, v25, 14, 8
	v_bfe_i32 v51, v25, 14, 1
	;; [unrolled: 3-line block ×3, first 2 shown]
	v_bfe_i32 v55, v25, 25, 1
	v_and_b32_e32 v56, 0xff, v27
	v_and_b32_e32 v57, 1, v27
	v_bfe_i32 v58, v27, 4, 1
	v_lshlrev_b32_sdwa v60, v33, v26 dst_sel:DWORD dst_unused:UNUSED_PAD src0_sel:DWORD src1_sel:BYTE_1
	v_bfe_u32 v61, v27, 7, 8
	v_bfe_i32 v62, v27, 7, 1
	v_bfe_i32 v63, v27, 11, 1
	v_bfe_u32 v64, v27, 14, 8
	v_bfe_i32 v65, v27, 14, 1
	v_bfe_i32 v66, v27, 18, 1
	v_lshlrev_b32_sdwa v67, v33, v26 dst_sel:DWORD dst_unused:UNUSED_PAD src0_sel:DWORD src1_sel:BYTE_2
	v_bfe_u32 v68, v27, 21, 8
	v_bfe_i32 v69, v27, 21, 1
	v_bfe_i32 v70, v27, 25, 1
	v_lshlrev_b32_sdwa v71, v33, v26 dst_sel:DWORD dst_unused:UNUSED_PAD src0_sel:DWORD src1_sel:BYTE_3
	v_lshrrev_b32_e32 v72, 27, v25
	v_lshrrev_b32_e32 v73, 27, v27
	s_waitcnt vmcnt(4)
	v_cvt_f32_f16_e32 v40, v29
	v_cvt_f32_f16_e32 v41, v28
	global_load_dwordx2 v[28:29], v59, s[8:9]
	global_load_dwordx2 v[26:27], v60, s[8:9]
	;; [unrolled: 1-line block ×4, first 2 shown]
	v_bcnt_u32_b32 v74, v44, 0
	v_bcnt_u32_b32 v49, v53, 0
	;; [unrolled: 1-line block ×6, first 2 shown]
	v_and_b32_e32 v74, 1, v74
	v_and_b32_e32 v49, 1, v49
	;; [unrolled: 1-line block ×6, first 2 shown]
	v_lshlrev_b32_e32 v74, 7, v74
	v_lshlrev_b32_e32 v49, 7, v49
	;; [unrolled: 1-line block ×6, first 2 shown]
	v_xor_b32_e32 v44, v74, v44
	v_bcnt_u32_b32 v76, v46, 0
	v_xor_b32_e32 v49, v49, v53
	v_xor_b32_e32 v53, v78, v56
	;; [unrolled: 1-line block ×5, first 2 shown]
	v_mul_lo_u32 v44, v44, s16
	v_bcnt_u32_b32 v77, v50, 0
	v_and_b32_e32 v76, 1, v76
	v_mul_lo_u32 v64, v64, s16
	v_and_b32_e32 v68, 0x8000000, v44
	v_lshrrev_b32_e32 v74, 8, v44
	v_and_b32_e32 v77, 1, v77
	v_lshlrev_b32_e32 v76, 7, v76
	v_and_b32_e32 v115, 0x8000000, v64
	v_lshrrev_b16_e32 v118, 1, v74
	v_cmp_ne_u16_sdwa s[8:9], v68, v9 src0_sel:BYTE_3 src1_sel:DWORD
	v_lshlrev_b32_e32 v77, 7, v77
	v_xor_b32_e32 v46, v76, v46
	v_lshrrev_b32_e32 v76, 18, v44
	v_cndmask_b32_e64 v68, 0, -1, s[8:9]
	v_cmp_ne_u16_sdwa s[14:15], v115, v9 src0_sel:BYTE_3 src1_sel:DWORD
	v_bfe_i32 v115, v118, 0, 1
	v_xor_b32_e32 v50, v77, v50
	v_mul_lo_u32 v46, v46, s16
	v_and_b32_e32 v77, 0x80000000, v44
	v_bfe_i32 v76, v76, 0, 1
	v_lshlrev_b16_e32 v68, 8, v68
	v_lshlrev_b16_e32 v115, 8, v115
	;; [unrolled: 1-line block ×3, first 2 shown]
	v_and_b32_e32 v78, 0x8000000, v46
	v_lshrrev_b32_e32 v79, 8, v46
	v_cmp_ne_u16_sdwa s[8:9], v77, v9 src0_sel:BYTE_3 src1_sel:DWORD
	v_or_b32_sdwa v118, v76, v68 dst_sel:WORD_1 dst_unused:UNUSED_PAD src0_sel:BYTE_0 src1_sel:DWORD
	v_or_b32_sdwa v75, v75, v115 dst_sel:DWORD dst_unused:UNUSED_PAD src0_sel:BYTE_0 src1_sel:DWORD
	v_mul_lo_u32 v50, v50, s16
	v_mul_lo_u32 v49, v49, s16
	;; [unrolled: 1-line block ×5, first 2 shown]
	v_and_b32_e32 v81, 0x80000000, v46
	v_lshrrev_b16_e32 v119, 1, v79
	v_cndmask_b32_e64 v77, 0, -1, s[8:9]
	v_cmp_ne_u16_sdwa s[8:9], v78, v9 src0_sel:BYTE_3 src1_sel:DWORD
	v_or_b32_sdwa v75, v75, v118 dst_sel:DWORD dst_unused:UNUSED_PAD src0_sel:WORD_0 src1_sel:DWORD
	v_lshrrev_b32_e32 v80, 18, v46
	v_and_b32_e32 v94, 0x8000000, v50
	v_lshrrev_b32_e32 v95, 8, v50
	v_lshrrev_b32_e32 v99, 8, v49
	;; [unrolled: 1-line block ×5, first 2 shown]
	v_lshrrev_b16_e32 v79, 5, v79
	v_cndmask_b32_e64 v78, 0, -1, s[8:9]
	v_cmp_ne_u16_sdwa s[8:9], v81, v9 src0_sel:BYTE_3 src1_sel:DWORD
	s_waitcnt vmcnt(7)
	v_xor_b32_e32 v42, v42, v75
	v_bfe_i32 v75, v119, 0, 1
	v_lshrrev_b32_e32 v46, 22, v46
	v_and_b32_e32 v97, 0x80000000, v50
	v_bfe_i32 v80, v80, 0, 1
	v_lshrrev_b16_e32 v120, 1, v95
	v_lshrrev_b16_e32 v121, 1, v99
	;; [unrolled: 1-line block ×4, first 2 shown]
	v_cndmask_b32_e64 v81, 0, -1, s[8:9]
	v_cmp_ne_u16_sdwa s[8:9], v94, v9 src0_sel:BYTE_3 src1_sel:DWORD
	v_lshrrev_b16_e32 v124, 1, v113
	v_bfe_i32 v79, v79, 0, 1
	v_lshlrev_b16_e32 v78, 8, v78
	v_lshlrev_b16_e32 v75, 8, v75
	;; [unrolled: 1-line block ×3, first 2 shown]
	v_lshrrev_b32_e32 v96, 18, v50
	v_and_b32_e32 v98, 0x8000000, v49
	v_bfe_i32 v46, v46, 0, 1
	v_lshrrev_b16_e32 v95, 5, v95
	v_cndmask_b32_e64 v94, 0, -1, s[8:9]
	v_cmp_ne_u16_sdwa s[8:9], v97, v9 src0_sel:BYTE_3 src1_sel:DWORD
	v_bfe_i32 v119, v120, 0, 1
	v_bfe_i32 v120, v121, 0, 1
	;; [unrolled: 1-line block ×4, first 2 shown]
	v_lshlrev_b16_e32 v81, 8, v81
	v_bfe_i32 v123, v124, 0, 1
	v_lshlrev_b16_e32 v124, 8, v80
	v_or_b32_sdwa v80, v80, v78 dst_sel:WORD_1 dst_unused:UNUSED_PAD src0_sel:BYTE_0 src1_sel:DWORD
	v_or_b32_sdwa v47, v47, v75 dst_sel:DWORD dst_unused:UNUSED_PAD src0_sel:BYTE_0 src1_sel:DWORD
	v_lshlrev_b16_e32 v79, 8, v79
	v_lshlrev_b16_e32 v67, 8, v48
	v_lshrrev_b32_e32 v50, 22, v50
	v_and_b32_e32 v101, 0x80000000, v49
	v_bfe_i32 v96, v96, 0, 1
	v_cndmask_b32_e64 v97, 0, -1, s[8:9]
	v_cmp_ne_u16_sdwa s[8:9], v98, v9 src0_sel:BYTE_3 src1_sel:DWORD
	v_bfe_i32 v95, v95, 0, 1
	v_lshlrev_b16_e32 v94, 8, v94
	v_or_b32_sdwa v47, v47, v80 dst_sel:DWORD dst_unused:UNUSED_PAD src0_sel:WORD_0 src1_sel:DWORD
	v_lshlrev_b16_e32 v80, 8, v46
	v_or_b32_sdwa v46, v46, v81 dst_sel:WORD_1 dst_unused:UNUSED_PAD src0_sel:BYTE_0 src1_sel:DWORD
	v_or_b32_sdwa v48, v48, v79 dst_sel:DWORD dst_unused:UNUSED_PAD src0_sel:BYTE_0 src1_sel:DWORD
	v_lshlrev_b16_e32 v119, 8, v119
	v_lshlrev_b16_e32 v71, 8, v51
	v_lshrrev_b32_e32 v100, 18, v49
	v_and_b32_e32 v103, 0x8000000, v53
	v_bfe_i32 v50, v50, 0, 1
	v_lshrrev_b16_e32 v99, 5, v99
	v_cndmask_b32_e64 v98, 0, -1, s[8:9]
	v_cmp_ne_u16_sdwa s[8:9], v101, v9 src0_sel:BYTE_3 src1_sel:DWORD
	v_lshlrev_b16_e32 v97, 8, v97
	v_or_b32_sdwa v46, v48, v46 dst_sel:DWORD dst_unused:UNUSED_PAD src0_sel:WORD_0 src1_sel:DWORD
	v_lshlrev_b16_e32 v48, 8, v96
	v_or_b32_sdwa v96, v96, v94 dst_sel:WORD_1 dst_unused:UNUSED_PAD src0_sel:BYTE_0 src1_sel:DWORD
	v_or_b32_sdwa v51, v51, v119 dst_sel:DWORD dst_unused:UNUSED_PAD src0_sel:BYTE_0 src1_sel:DWORD
	v_lshlrev_b16_e32 v95, 8, v95
	v_lshlrev_b16_e32 v82, 8, v52
	v_lshrrev_b32_e32 v49, 22, v49
	v_and_b32_e32 v102, 0x80000000, v53
	v_bfe_i32 v100, v100, 0, 1
	v_cndmask_b32_e64 v101, 0, -1, s[8:9]
	v_cmp_ne_u16_sdwa s[8:9], v103, v9 src0_sel:BYTE_3 src1_sel:DWORD
	v_bfe_i32 v99, v99, 0, 1
	v_lshlrev_b16_e32 v98, 8, v98
	v_or_b32_sdwa v51, v51, v96 dst_sel:DWORD dst_unused:UNUSED_PAD src0_sel:WORD_0 src1_sel:DWORD
	v_lshlrev_b16_e32 v96, 8, v50
	v_or_b32_sdwa v50, v50, v97 dst_sel:WORD_1 dst_unused:UNUSED_PAD src0_sel:BYTE_0 src1_sel:DWORD
	v_or_b32_sdwa v52, v52, v95 dst_sel:DWORD dst_unused:UNUSED_PAD src0_sel:BYTE_0 src1_sel:DWORD
	v_lshlrev_b16_e32 v120, 8, v120
	v_lshlrev_b16_e32 v83, 8, v54
	v_lshrrev_b32_e32 v104, 18, v53
	v_and_b32_e32 v107, 0x8000000, v56
	v_bfe_i32 v49, v49, 0, 1
	v_lshrrev_b16_e32 v105, 5, v105
	v_cndmask_b32_e64 v103, 0, -1, s[8:9]
	v_cmp_ne_u16_sdwa s[8:9], v102, v9 src0_sel:BYTE_3 src1_sel:DWORD
	v_lshlrev_b16_e32 v101, 8, v101
	v_or_b32_sdwa v50, v52, v50 dst_sel:DWORD dst_unused:UNUSED_PAD src0_sel:WORD_0 src1_sel:DWORD
	v_lshlrev_b16_e32 v52, 8, v100
	v_or_b32_sdwa v100, v100, v98 dst_sel:WORD_1 dst_unused:UNUSED_PAD src0_sel:BYTE_0 src1_sel:DWORD
	v_or_b32_sdwa v54, v54, v120 dst_sel:DWORD dst_unused:UNUSED_PAD src0_sel:BYTE_0 src1_sel:DWORD
	v_lshlrev_b16_e32 v99, 8, v99
	v_sub_u16_e32 v57, 0, v57
	v_lshlrev_b16_e32 v84, 8, v55
	v_lshrrev_b32_e32 v53, 22, v53
	v_and_b32_e32 v106, 0x80000000, v56
	v_bfe_i32 v104, v104, 0, 1
	v_cndmask_b32_e64 v102, 0, -1, s[8:9]
	v_cmp_ne_u16_sdwa s[8:9], v107, v9 src0_sel:BYTE_3 src1_sel:DWORD
	v_bfe_i32 v105, v105, 0, 1
	v_lshlrev_b16_e32 v103, 8, v103
	v_or_b32_sdwa v54, v54, v100 dst_sel:DWORD dst_unused:UNUSED_PAD src0_sel:WORD_0 src1_sel:DWORD
	v_lshlrev_b16_e32 v100, 8, v49
	v_or_b32_sdwa v49, v49, v101 dst_sel:WORD_1 dst_unused:UNUSED_PAD src0_sel:BYTE_0 src1_sel:DWORD
	v_or_b32_sdwa v55, v55, v99 dst_sel:DWORD dst_unused:UNUSED_PAD src0_sel:BYTE_0 src1_sel:DWORD
	v_lshlrev_b16_e32 v121, 8, v121
	v_lshlrev_b16_e32 v93, 8, v57
	v_lshrrev_b32_e32 v108, 18, v56
	v_and_b32_e32 v111, 0x8000000, v61
	v_lshrrev_b16_e32 v74, 5, v74
	v_bfe_i32 v53, v53, 0, 1
	v_lshrrev_b16_e32 v109, 5, v109
	v_cndmask_b32_e64 v107, 0, -1, s[8:9]
	v_cmp_ne_u16_sdwa s[8:9], v106, v9 src0_sel:BYTE_3 src1_sel:DWORD
	v_lshlrev_b16_e32 v102, 8, v102
	v_or_b32_sdwa v49, v55, v49 dst_sel:DWORD dst_unused:UNUSED_PAD src0_sel:WORD_0 src1_sel:DWORD
	v_lshlrev_b16_e32 v55, 8, v104
	v_or_b32_sdwa v104, v104, v103 dst_sel:WORD_1 dst_unused:UNUSED_PAD src0_sel:BYTE_0 src1_sel:DWORD
	v_or_b32_sdwa v57, v57, v121 dst_sel:DWORD dst_unused:UNUSED_PAD src0_sel:BYTE_0 src1_sel:DWORD
	v_lshlrev_b16_e32 v105, 8, v105
	v_lshlrev_b16_e32 v85, 8, v58
	v_lshrrev_b32_e32 v44, 22, v44
	v_lshrrev_b32_e32 v56, 22, v56
	v_and_b32_e32 v110, 0x80000000, v61
	v_bfe_i32 v108, v108, 0, 1
	v_cndmask_b32_e64 v106, 0, -1, s[8:9]
	v_cmp_ne_u16_sdwa s[8:9], v111, v9 src0_sel:BYTE_3 src1_sel:DWORD
	v_bfe_i32 v74, v74, 0, 1
	v_bfe_i32 v109, v109, 0, 1
	v_lshlrev_b16_e32 v107, 8, v107
	v_or_b32_sdwa v57, v57, v104 dst_sel:DWORD dst_unused:UNUSED_PAD src0_sel:WORD_0 src1_sel:DWORD
	v_lshlrev_b16_e32 v104, 8, v53
	v_or_b32_sdwa v53, v53, v102 dst_sel:WORD_1 dst_unused:UNUSED_PAD src0_sel:BYTE_0 src1_sel:DWORD
	v_or_b32_sdwa v58, v58, v105 dst_sel:DWORD dst_unused:UNUSED_PAD src0_sel:BYTE_0 src1_sel:DWORD
	v_lshlrev_b16_e32 v122, 8, v122
	v_lshlrev_b16_e32 v86, 8, v62
	v_lshrrev_b32_e32 v112, 18, v61
	v_and_b32_e32 v114, 0x80000000, v64
	v_lshrrev_b32_e32 v116, 18, v64
	v_lshrrev_b32_e32 v117, 8, v64
	v_bfe_i32 v44, v44, 0, 1
	v_bfe_i32 v56, v56, 0, 1
	v_cndmask_b32_e64 v111, 0, -1, s[8:9]
	v_lshrrev_b16_e32 v113, 5, v113
	v_cmp_ne_u16_sdwa s[8:9], v110, v9 src0_sel:BYTE_3 src1_sel:DWORD
	v_lshlrev_b16_e32 v77, 8, v77
	v_lshlrev_b16_e32 v74, 8, v74
	;; [unrolled: 1-line block ×3, first 2 shown]
	v_or_b32_sdwa v53, v58, v53 dst_sel:DWORD dst_unused:UNUSED_PAD src0_sel:WORD_0 src1_sel:DWORD
	v_lshlrev_b16_e32 v58, 8, v108
	v_or_b32_sdwa v108, v108, v107 dst_sel:WORD_1 dst_unused:UNUSED_PAD src0_sel:BYTE_0 src1_sel:DWORD
	v_or_b32_sdwa v62, v62, v122 dst_sel:DWORD dst_unused:UNUSED_PAD src0_sel:BYTE_0 src1_sel:DWORD
	v_lshlrev_b16_e32 v109, 8, v109
	v_lshlrev_b16_e32 v59, 8, v45
	;; [unrolled: 1-line block ×3, first 2 shown]
	v_lshrrev_b32_e32 v61, 22, v61
	v_bfe_i32 v112, v112, 0, 1
	v_cndmask_b32_e64 v110, 0, -1, s[8:9]
	v_cmp_ne_u16_sdwa s[8:9], v114, v9 src0_sel:BYTE_3 src1_sel:DWORD
	v_bfe_i32 v114, v116, 0, 1
	v_lshrrev_b16_e32 v116, 1, v117
	v_or_b32_sdwa v118, v44, v77 dst_sel:WORD_1 dst_unused:UNUSED_PAD src0_sel:BYTE_0 src1_sel:DWORD
	v_or_b32_sdwa v45, v45, v74 dst_sel:DWORD dst_unused:UNUSED_PAD src0_sel:BYTE_0 src1_sel:DWORD
	v_lshlrev_b16_e32 v111, 8, v111
	v_bfe_i32 v113, v113, 0, 1
	v_or_b32_sdwa v62, v62, v108 dst_sel:DWORD dst_unused:UNUSED_PAD src0_sel:WORD_0 src1_sel:DWORD
	v_lshlrev_b16_e32 v108, 8, v56
	v_or_b32_sdwa v56, v56, v106 dst_sel:WORD_1 dst_unused:UNUSED_PAD src0_sel:BYTE_0 src1_sel:DWORD
	v_or_b32_sdwa v63, v63, v109 dst_sel:DWORD dst_unused:UNUSED_PAD src0_sel:BYTE_0 src1_sel:DWORD
	v_lshlrev_b16_e32 v123, 8, v123
	v_lshlrev_b16_e32 v88, 8, v65
	v_bfe_i32 v61, v61, 0, 1
	v_or_b32_sdwa v45, v45, v118 dst_sel:DWORD dst_unused:UNUSED_PAD src0_sel:WORD_0 src1_sel:DWORD
	v_cndmask_b32_e64 v118, 0, -1, s[14:15]
	v_lshrrev_b16_e32 v117, 5, v117
	v_lshlrev_b16_e32 v110, 8, v110
	v_bfe_i32 v116, v116, 0, 1
	v_or_b32_sdwa v56, v63, v56 dst_sel:DWORD dst_unused:UNUSED_PAD src0_sel:WORD_0 src1_sel:DWORD
	v_lshlrev_b16_e32 v63, 8, v112
	v_or_b32_sdwa v112, v112, v111 dst_sel:WORD_1 dst_unused:UNUSED_PAD src0_sel:BYTE_0 src1_sel:DWORD
	v_or_b32_sdwa v65, v65, v123 dst_sel:DWORD dst_unused:UNUSED_PAD src0_sel:BYTE_0 src1_sel:DWORD
	v_lshlrev_b16_e32 v113, 8, v113
	v_lshlrev_b16_e32 v89, 8, v66
	v_lshrrev_b32_e32 v64, 22, v64
	v_xor_b32_e32 v43, v43, v45
	v_cndmask_b32_e64 v45, 0, -1, s[8:9]
	v_lshlrev_b16_e32 v118, 8, v118
	v_bfe_i32 v117, v117, 0, 1
	v_or_b32_sdwa v65, v65, v112 dst_sel:DWORD dst_unused:UNUSED_PAD src0_sel:WORD_0 src1_sel:DWORD
	v_lshlrev_b16_e32 v112, 8, v61
	v_or_b32_sdwa v61, v61, v110 dst_sel:WORD_1 dst_unused:UNUSED_PAD src0_sel:BYTE_0 src1_sel:DWORD
	v_or_b32_sdwa v66, v66, v113 dst_sel:DWORD dst_unused:UNUSED_PAD src0_sel:BYTE_0 src1_sel:DWORD
	v_lshlrev_b16_e32 v116, 8, v116
	v_lshlrev_b16_e32 v90, 8, v69
	v_bfe_i32 v64, v64, 0, 1
	v_lshlrev_b16_e32 v45, 8, v45
	v_or_b32_sdwa v61, v66, v61 dst_sel:DWORD dst_unused:UNUSED_PAD src0_sel:WORD_0 src1_sel:DWORD
	v_lshlrev_b16_e32 v66, 8, v114
	v_or_b32_sdwa v114, v114, v118 dst_sel:WORD_1 dst_unused:UNUSED_PAD src0_sel:BYTE_0 src1_sel:DWORD
	v_or_b32_sdwa v69, v69, v116 dst_sel:DWORD dst_unused:UNUSED_PAD src0_sel:BYTE_0 src1_sel:DWORD
	v_lshlrev_b16_e32 v117, 8, v117
	v_lshlrev_b16_e32 v91, 8, v70
	v_or_b32_sdwa v69, v69, v114 dst_sel:DWORD dst_unused:UNUSED_PAD src0_sel:WORD_0 src1_sel:DWORD
	v_lshlrev_b16_e32 v114, 8, v64
	v_or_b32_sdwa v64, v64, v45 dst_sel:WORD_1 dst_unused:UNUSED_PAD src0_sel:BYTE_0 src1_sel:DWORD
	v_or_b32_sdwa v70, v70, v117 dst_sel:DWORD dst_unused:UNUSED_PAD src0_sel:BYTE_0 src1_sel:DWORD
	s_waitcnt vmcnt(6)
	v_xor_b32_e32 v20, v20, v47
	v_or_b32_sdwa v64, v70, v64 dst_sel:DWORD dst_unused:UNUSED_PAD src0_sel:WORD_0 src1_sel:DWORD
	v_xor_b32_e32 v21, v21, v46
	s_waitcnt vmcnt(4)
	v_xor_b32_e32 v16, v16, v54
	s_waitcnt vmcnt(3)
	;; [unrolled: 2-line block ×3, first 2 shown]
	v_xor_b32_e32 v27, v27, v56
	v_and_b32_e32 v54, 0xffffff00, v20
	v_lshlrev_b16_e32 v56, 8, v20
	v_and_b32_sdwa v57, v20, s17 dst_sel:DWORD dst_unused:UNUSED_PAD src0_sel:WORD_1 src1_sel:DWORD
	v_lshlrev_b16_sdwa v20, v34, v20 dst_sel:DWORD dst_unused:UNUSED_PAD src0_sel:DWORD src1_sel:WORD_1
	v_xor_b32_e32 v18, v18, v51
	v_xor_b32_e32 v17, v17, v49
	;; [unrolled: 1-line block ×3, first 2 shown]
	s_waitcnt vmcnt(1)
	v_xor_b32_e32 v25, v25, v61
	s_waitcnt vmcnt(0)
	v_xor_b32_e32 v23, v23, v64
	v_and_b32_e32 v46, 0xffffff00, v42
	v_and_b32_sdwa v49, v42, s17 dst_sel:DWORD dst_unused:UNUSED_PAD src0_sel:WORD_1 src1_sel:DWORD
	v_and_b32_e32 v61, 0xffffff00, v21
	v_and_b32_sdwa v64, v21, s17 dst_sel:DWORD dst_unused:UNUSED_PAD src0_sel:WORD_1 src1_sel:DWORD
	v_sub_i16 v56, v56, v60 clamp
	v_and_b32_e32 v60, 0xffffff00, v28
	v_sub_i16 v57, v57, v78 clamp
	v_lshlrev_b16_e32 v78, 8, v28
	v_sub_i16 v20, v20, v124 clamp
	v_and_b32_sdwa v124, v28, s17 dst_sel:DWORD dst_unused:UNUSED_PAD src0_sel:WORD_1 src1_sel:DWORD
	v_lshlrev_b16_e32 v76, 8, v76
	v_xor_b32_e32 v19, v19, v50
	v_xor_b32_e32 v26, v26, v62
	;; [unrolled: 1-line block ×3, first 2 shown]
	v_lshlrev_b16_e32 v47, 8, v42
	v_lshlrev_b16_sdwa v42, v34, v42 dst_sel:DWORD dst_unused:UNUSED_PAD src0_sel:DWORD src1_sel:WORD_1
	v_and_b32_e32 v50, 0xffffff00, v43
	v_and_b32_sdwa v53, v43, s17 dst_sel:DWORD dst_unused:UNUSED_PAD src0_sel:WORD_1 src1_sel:DWORD
	v_lshlrev_b16_e32 v62, 8, v21
	v_lshlrev_b16_sdwa v21, v34, v21 dst_sel:DWORD dst_unused:UNUSED_PAD src0_sel:DWORD src1_sel:WORD_1
	v_lshlrev_b16_e32 v69, 8, v18
	v_sub_i16 v46, v46, v115 clamp
	v_sub_i16 v49, v49, v68 clamp
	;; [unrolled: 1-line block ×3, first 2 shown]
	v_lshlrev_b16_sdwa v28, v34, v28 dst_sel:DWORD dst_unused:UNUSED_PAD src0_sel:DWORD src1_sel:WORD_1
	v_sub_i16 v61, v61, v79 clamp
	v_and_b32_e32 v79, 0xffffff00, v29
	v_sub_i16 v64, v64, v81 clamp
	v_and_b32_sdwa v81, v29, s17 dst_sel:DWORD dst_unused:UNUSED_PAD src0_sel:WORD_1 src1_sel:DWORD
	v_sub_i16 v60, v60, v121 clamp
	v_sub_i16 v78, v78, v93 clamp
	;; [unrolled: 1-line block ×3, first 2 shown]
	v_lshlrev_b16_e32 v44, 8, v44
	v_xor_b32_e32 v24, v24, v65
	v_lshlrev_b16_e32 v51, 8, v43
	v_lshlrev_b16_sdwa v43, v34, v43 dst_sel:DWORD dst_unused:UNUSED_PAD src0_sel:DWORD src1_sel:WORD_1
	v_and_b32_e32 v65, 0xffffff00, v18
	v_and_b32_sdwa v70, v18, s17 dst_sel:DWORD dst_unused:UNUSED_PAD src0_sel:WORD_1 src1_sel:DWORD
	v_and_b32_e32 v115, 0xffffff00, v19
	v_sub_i16 v47, v47, v92 clamp
	v_sub_i16 v42, v42, v76 clamp
	;; [unrolled: 1-line block ×5, first 2 shown]
	v_lshlrev_b16_e32 v67, 8, v29
	v_lshlrev_b16_sdwa v29, v34, v29 dst_sel:DWORD dst_unused:UNUSED_PAD src0_sel:DWORD src1_sel:WORD_1
	v_sub_i16 v21, v21, v80 clamp
	v_and_b32_e32 v80, 0xffffff00, v26
	v_sub_i16 v69, v69, v71 clamp
	v_and_b32_sdwa v71, v26, s17 dst_sel:DWORD dst_unused:UNUSED_PAD src0_sel:WORD_1 src1_sel:DWORD
	v_sub_i16 v28, v28, v55 clamp
	v_sub_i16 v55, v79, v105 clamp
	v_sub_i16 v79, v81, v102 clamp
	v_and_b32_e32 v46, 0xffffff00, v46
	v_and_b32_e32 v49, 0xffffff00, v49
	;; [unrolled: 1-line block ×5, first 2 shown]
	v_lshlrev_b16_sdwa v18, v34, v18 dst_sel:DWORD dst_unused:UNUSED_PAD src0_sel:DWORD src1_sel:WORD_1
	v_lshlrev_b16_e32 v92, 8, v19
	v_and_b32_sdwa v68, v19, s17 dst_sel:DWORD dst_unused:UNUSED_PAD src0_sel:WORD_1 src1_sel:DWORD
	v_lshlrev_b16_sdwa v19, v34, v19 dst_sel:DWORD dst_unused:UNUSED_PAD src0_sel:DWORD src1_sel:WORD_1
	v_sub_i16 v51, v51, v59 clamp
	v_sub_i16 v43, v43, v44 clamp
	;; [unrolled: 1-line block ×3, first 2 shown]
	v_lshlrev_b16_e32 v119, 8, v26
	v_lshlrev_b16_sdwa v26, v34, v26 dst_sel:DWORD dst_unused:UNUSED_PAD src0_sel:DWORD src1_sel:WORD_1
	v_sub_i16 v70, v70, v94 clamp
	v_and_b32_e32 v94, 0xffffff00, v27
	v_sub_i16 v95, v115, v95 clamp
	v_and_b32_sdwa v115, v27, s17 dst_sel:DWORD dst_unused:UNUSED_PAD src0_sel:WORD_1 src1_sel:DWORD
	v_sub_i16 v67, v67, v85 clamp
	v_sub_i16 v29, v29, v104 clamp
	;; [unrolled: 1-line block ×4, first 2 shown]
	v_and_b32_e32 v50, 0xffffff00, v50
	v_and_b32_e32 v53, 0xffffff00, v53
	;; [unrolled: 1-line block ×4, first 2 shown]
	v_or_b32_sdwa v46, v47, v46 dst_sel:DWORD dst_unused:UNUSED_PAD src0_sel:BYTE_1 src1_sel:DWORD
	v_or_b32_sdwa v42, v42, v49 dst_sel:WORD_1 dst_unused:UNUSED_PAD src0_sel:BYTE_1 src1_sel:DWORD
	v_or_b32_sdwa v49, v56, v54 dst_sel:DWORD dst_unused:UNUSED_PAD src0_sel:BYTE_1 src1_sel:DWORD
	v_or_b32_sdwa v56, v78, v60 dst_sel:DWORD dst_unused:UNUSED_PAD src0_sel:BYTE_1 src1_sel:DWORD
	v_or_b32_sdwa v28, v28, v93 dst_sel:WORD_1 dst_unused:UNUSED_PAD src0_sel:BYTE_1 src1_sel:DWORD
	v_and_b32_e32 v76, 0xffffff00, v16
	v_lshlrev_b16_e32 v74, 8, v16
	v_and_b32_sdwa v59, v16, s17 dst_sel:DWORD dst_unused:UNUSED_PAD src0_sel:WORD_1 src1_sel:DWORD
	v_sub_i16 v18, v18, v48 clamp
	v_lshlrev_b16_e32 v48, 8, v27
	v_lshlrev_b16_sdwa v27, v34, v27 dst_sel:DWORD dst_unused:UNUSED_PAD src0_sel:DWORD src1_sel:WORD_1
	v_sub_i16 v82, v92, v82 clamp
	v_and_b32_e32 v92, 0xffffff00, v24
	v_sub_i16 v68, v68, v97 clamp
	v_lshlrev_b16_e32 v97, 8, v24
	v_sub_i16 v19, v19, v96 clamp
	v_and_b32_sdwa v96, v24, s17 dst_sel:DWORD dst_unused:UNUSED_PAD src0_sel:WORD_1 src1_sel:DWORD
	v_sub_i16 v81, v119, v86 clamp
	v_sub_i16 v26, v26, v58 clamp
	;; [unrolled: 1-line block ×4, first 2 shown]
	v_and_b32_e32 v57, 0xffffff00, v57
	v_and_b32_e32 v80, 0xffffff00, v80
	;; [unrolled: 1-line block ×3, first 2 shown]
	v_or_b32_sdwa v47, v51, v50 dst_sel:DWORD dst_unused:UNUSED_PAD src0_sel:BYTE_1 src1_sel:DWORD
	v_or_b32_sdwa v43, v43, v53 dst_sel:WORD_1 dst_unused:UNUSED_PAD src0_sel:BYTE_1 src1_sel:DWORD
	v_or_b32_sdwa v55, v67, v55 dst_sel:DWORD dst_unused:UNUSED_PAD src0_sel:BYTE_1 src1_sel:DWORD
	v_or_b32_sdwa v29, v29, v79 dst_sel:WORD_1 dst_unused:UNUSED_PAD src0_sel:BYTE_1 src1_sel:DWORD
	v_or_b32_sdwa v42, v46, v42 dst_sel:DWORD dst_unused:UNUSED_PAD src0_sel:WORD_0 src1_sel:DWORD
	v_or_b32_sdwa v28, v56, v28 dst_sel:DWORD dst_unused:UNUSED_PAD src0_sel:WORD_0 src1_sel:DWORD
	v_lshlrev_b16_sdwa v16, v34, v16 dst_sel:DWORD dst_unused:UNUSED_PAD src0_sel:DWORD src1_sel:WORD_1
	v_lshlrev_b16_e32 v44, 8, v17
	v_lshlrev_b16_sdwa v24, v34, v24 dst_sel:DWORD dst_unused:UNUSED_PAD src0_sel:DWORD src1_sel:WORD_1
	v_sub_i16 v76, v76, v120 clamp
	v_and_b32_e32 v120, 0xffffff00, v25
	v_sub_i16 v74, v74, v83 clamp
	v_lshlrev_b16_e32 v83, 8, v25
	v_sub_i16 v59, v59, v98 clamp
	v_and_b32_sdwa v98, v25, s17 dst_sel:DWORD dst_unused:UNUSED_PAD src0_sel:WORD_1 src1_sel:DWORD
	v_sub_i16 v48, v48, v87 clamp
	v_sub_i16 v27, v27, v108 clamp
	;; [unrolled: 1-line block ×5, first 2 shown]
	v_and_b32_e32 v61, 0xffffff00, v61
	v_and_b32_e32 v64, 0xffffff00, v64
	;; [unrolled: 1-line block ×4, first 2 shown]
	v_or_b32_sdwa v20, v20, v57 dst_sel:WORD_1 dst_unused:UNUSED_PAD src0_sel:BYTE_1 src1_sel:DWORD
	v_or_b32_sdwa v57, v81, v80 dst_sel:DWORD dst_unused:UNUSED_PAD src0_sel:BYTE_1 src1_sel:DWORD
	v_or_b32_sdwa v26, v26, v71 dst_sel:WORD_1 dst_unused:UNUSED_PAD src0_sel:BYTE_1 src1_sel:DWORD
	v_or_b32_sdwa v43, v47, v43 dst_sel:DWORD dst_unused:UNUSED_PAD src0_sel:WORD_0 src1_sel:DWORD
	v_or_b32_sdwa v29, v55, v29 dst_sel:DWORD dst_unused:UNUSED_PAD src0_sel:WORD_0 src1_sel:DWORD
	v_dot4c_i32_i8_e32 v38, v42, v1
	v_dot4c_i32_i8_e32 v39, v28, v1
	v_and_b32_e32 v77, 0xffffff00, v17
	v_and_b32_sdwa v75, v17, s17 dst_sel:DWORD dst_unused:UNUSED_PAD src0_sel:WORD_1 src1_sel:DWORD
	v_lshlrev_b16_sdwa v25, v34, v25 dst_sel:DWORD dst_unused:UNUSED_PAD src0_sel:DWORD src1_sel:WORD_1
	v_sub_i16 v16, v16, v52 clamp
	v_and_b32_e32 v52, 0xffffff00, v22
	v_sub_i16 v44, v44, v84 clamp
	v_and_b32_sdwa v84, v22, s17 dst_sel:DWORD dst_unused:UNUSED_PAD src0_sel:WORD_1 src1_sel:DWORD
	v_sub_i16 v24, v24, v63 clamp
	v_sub_i16 v63, v120, v113 clamp
	;; [unrolled: 1-line block ×4, first 2 shown]
	v_and_b32_e32 v65, 0xffffff00, v65
	v_and_b32_e32 v70, 0xffffff00, v70
	;; [unrolled: 1-line block ×4, first 2 shown]
	v_or_b32_sdwa v50, v62, v61 dst_sel:DWORD dst_unused:UNUSED_PAD src0_sel:BYTE_1 src1_sel:DWORD
	v_or_b32_sdwa v21, v21, v64 dst_sel:WORD_1 dst_unused:UNUSED_PAD src0_sel:BYTE_1 src1_sel:DWORD
	v_or_b32_sdwa v48, v48, v58 dst_sel:DWORD dst_unused:UNUSED_PAD src0_sel:BYTE_1 src1_sel:DWORD
	v_or_b32_sdwa v27, v27, v85 dst_sel:WORD_1 dst_unused:UNUSED_PAD src0_sel:BYTE_1 src1_sel:DWORD
	v_or_b32_sdwa v20, v49, v20 dst_sel:DWORD dst_unused:UNUSED_PAD src0_sel:WORD_0 src1_sel:DWORD
	v_or_b32_sdwa v26, v57, v26 dst_sel:DWORD dst_unused:UNUSED_PAD src0_sel:WORD_0 src1_sel:DWORD
	v_dot4c_i32_i8_e32 v38, v43, v2
	v_dot4c_i32_i8_e32 v39, v29, v2
	v_lshlrev_b16_sdwa v17, v34, v17 dst_sel:DWORD dst_unused:UNUSED_PAD src0_sel:DWORD src1_sel:WORD_1
	v_sub_i16 v77, v77, v99 clamp
	v_lshlrev_b16_e32 v99, 8, v22
	v_lshlrev_b16_sdwa v22, v34, v22 dst_sel:DWORD dst_unused:UNUSED_PAD src0_sel:DWORD src1_sel:WORD_1
	v_sub_i16 v75, v75, v101 clamp
	v_and_b32_e32 v101, 0xffffff00, v23
	v_and_b32_sdwa v121, v23, s17 dst_sel:DWORD dst_unused:UNUSED_PAD src0_sel:WORD_1 src1_sel:DWORD
	v_sub_i16 v25, v25, v112 clamp
	v_sub_i16 v52, v52, v116 clamp
	;; [unrolled: 1-line block ×3, first 2 shown]
	v_and_b32_e32 v92, 0xffffff00, v95
	v_and_b32_e32 v68, 0xffffff00, v68
	;; [unrolled: 1-line block ×5, first 2 shown]
	v_or_b32_sdwa v51, v69, v65 dst_sel:DWORD dst_unused:UNUSED_PAD src0_sel:BYTE_1 src1_sel:DWORD
	v_or_b32_sdwa v18, v18, v70 dst_sel:WORD_1 dst_unused:UNUSED_PAD src0_sel:BYTE_1 src1_sel:DWORD
	v_or_b32_sdwa v58, v87, v86 dst_sel:DWORD dst_unused:UNUSED_PAD src0_sel:BYTE_1 src1_sel:DWORD
	v_or_b32_sdwa v24, v24, v88 dst_sel:WORD_1 dst_unused:UNUSED_PAD src0_sel:BYTE_1 src1_sel:DWORD
	v_or_b32_sdwa v21, v50, v21 dst_sel:DWORD dst_unused:UNUSED_PAD src0_sel:WORD_0 src1_sel:DWORD
	v_or_b32_sdwa v27, v48, v27 dst_sel:DWORD dst_unused:UNUSED_PAD src0_sel:WORD_0 src1_sel:DWORD
	v_dot4c_i32_i8_e32 v38, v20, v3
	v_dot4c_i32_i8_e32 v39, v26, v3
	v_sub_i16 v17, v17, v100 clamp
	v_lshlrev_b16_e32 v100, 8, v23
	v_lshlrev_b16_sdwa v23, v34, v23 dst_sel:DWORD dst_unused:UNUSED_PAD src0_sel:DWORD src1_sel:WORD_1
	v_sub_i16 v90, v99, v90 clamp
	v_sub_i16 v22, v22, v66 clamp
	;; [unrolled: 1-line block ×4, first 2 shown]
	v_and_b32_e32 v76, 0xffffff00, v76
	v_and_b32_e32 v52, 0xffffff00, v52
	;; [unrolled: 1-line block ×3, first 2 shown]
	v_or_b32_sdwa v53, v82, v92 dst_sel:DWORD dst_unused:UNUSED_PAD src0_sel:BYTE_1 src1_sel:DWORD
	v_or_b32_sdwa v19, v19, v68 dst_sel:WORD_1 dst_unused:UNUSED_PAD src0_sel:BYTE_1 src1_sel:DWORD
	v_or_b32_sdwa v16, v16, v59 dst_sel:WORD_1 dst_unused:UNUSED_PAD src0_sel:BYTE_1 src1_sel:DWORD
	v_or_b32_sdwa v59, v83, v63 dst_sel:DWORD dst_unused:UNUSED_PAD src0_sel:BYTE_1 src1_sel:DWORD
	v_or_b32_sdwa v25, v25, v89 dst_sel:WORD_1 dst_unused:UNUSED_PAD src0_sel:BYTE_1 src1_sel:DWORD
	v_or_b32_sdwa v18, v51, v18 dst_sel:DWORD dst_unused:UNUSED_PAD src0_sel:WORD_0 src1_sel:DWORD
	v_or_b32_sdwa v24, v58, v24 dst_sel:DWORD dst_unused:UNUSED_PAD src0_sel:WORD_0 src1_sel:DWORD
	v_dot4c_i32_i8_e32 v38, v21, v4
	v_dot4c_i32_i8_e32 v39, v27, v4
	v_sub_i16 v91, v100, v91 clamp
	v_sub_i16 v23, v23, v114 clamp
	v_and_b32_e32 v77, 0xffffff00, v77
	v_and_b32_e32 v75, 0xffffff00, v75
	v_and_b32_e32 v66, 0xffffff00, v66
	v_and_b32_e32 v45, 0xffffff00, v45
	v_or_b32_sdwa v54, v74, v76 dst_sel:DWORD dst_unused:UNUSED_PAD src0_sel:BYTE_1 src1_sel:DWORD
	v_or_b32_sdwa v52, v90, v52 dst_sel:DWORD dst_unused:UNUSED_PAD src0_sel:BYTE_1 src1_sel:DWORD
	v_or_b32_sdwa v22, v22, v84 dst_sel:WORD_1 dst_unused:UNUSED_PAD src0_sel:BYTE_1 src1_sel:DWORD
	v_or_b32_sdwa v19, v53, v19 dst_sel:DWORD dst_unused:UNUSED_PAD src0_sel:WORD_0 src1_sel:DWORD
	v_or_b32_sdwa v25, v59, v25 dst_sel:DWORD dst_unused:UNUSED_PAD src0_sel:WORD_0 src1_sel:DWORD
	v_dot4c_i32_i8_e32 v38, v18, v5
	v_dot4c_i32_i8_e32 v39, v24, v5
	v_or_b32_sdwa v44, v44, v77 dst_sel:DWORD dst_unused:UNUSED_PAD src0_sel:BYTE_1 src1_sel:DWORD
	v_or_b32_sdwa v17, v17, v75 dst_sel:WORD_1 dst_unused:UNUSED_PAD src0_sel:BYTE_1 src1_sel:DWORD
	v_or_b32_sdwa v60, v91, v66 dst_sel:DWORD dst_unused:UNUSED_PAD src0_sel:BYTE_1 src1_sel:DWORD
	v_or_b32_sdwa v23, v23, v45 dst_sel:WORD_1 dst_unused:UNUSED_PAD src0_sel:BYTE_1 src1_sel:DWORD
	v_or_b32_sdwa v16, v54, v16 dst_sel:DWORD dst_unused:UNUSED_PAD src0_sel:WORD_0 src1_sel:DWORD
	v_or_b32_sdwa v22, v52, v22 dst_sel:DWORD dst_unused:UNUSED_PAD src0_sel:WORD_0 src1_sel:DWORD
	v_dot4c_i32_i8_e32 v38, v19, v6
	v_dot4c_i32_i8_e32 v39, v25, v6
	v_or_b32_sdwa v17, v44, v17 dst_sel:DWORD dst_unused:UNUSED_PAD src0_sel:WORD_0 src1_sel:DWORD
	v_or_b32_sdwa v23, v60, v23 dst_sel:DWORD dst_unused:UNUSED_PAD src0_sel:WORD_0 src1_sel:DWORD
	v_dot4c_i32_i8_e32 v38, v16, v7
	v_dot4c_i32_i8_e32 v39, v22, v7
	v_or_b32_e32 v72, 1, v72
	v_or_b32_e32 v73, 1, v73
	v_dot4c_i32_i8_e32 v38, v17, v37
	v_dot4c_i32_i8_e32 v39, v23, v37
	s_nop 1
	v_mul_lo_u32 v1, v38, v72
	v_mul_lo_u32 v2, v39, v73
	v_ashrrev_i32_e32 v3, 31, v1
	v_ashrrev_i32_e32 v4, 31, v2
	v_lshrrev_b32_e32 v3, 29, v3
	v_lshrrev_b32_e32 v4, 29, v4
	v_add_u32_e32 v1, v1, v3
	v_add_u32_e32 v2, v2, v4
	v_ashrrev_i32_e32 v1, 3, v1
	v_ashrrev_i32_e32 v2, 3, v2
	v_cvt_f32_i32_e32 v1, v1
	v_cvt_f32_i32_e32 v2, v2
	v_mul_f32_e32 v3, v40, v0
	v_mul_f32_e32 v0, v41, v0
	v_fmac_f32_e32 v10, v3, v1
	v_fmac_f32_e32 v11, v0, v2
	s_andn2_b64 exec, exec, s[0:1]
	s_cbranch_execnz .LBB156_3
; %bb.4:
	s_or_b64 exec, exec, s[0:1]
.LBB156_5:
	s_or_b64 exec, exec, s[24:25]
	v_mbcnt_lo_u32_b32 v0, -1, 0
	v_mbcnt_hi_u32_b32 v4, -1, v0
	v_and_b32_e32 v0, 64, v4
	v_add_u32_e32 v5, 64, v0
	v_xor_b32_e32 v0, 32, v4
	v_cmp_lt_i32_e32 vcc, v0, v5
	v_xor_b32_e32 v2, 16, v4
	v_xor_b32_e32 v6, 8, v4
	v_cndmask_b32_e32 v0, v4, v0, vcc
	v_lshlrev_b32_e32 v1, 2, v0
	ds_bpermute_b32 v0, v1, v10
	ds_bpermute_b32 v1, v1, v11
	v_cmp_lt_i32_e32 vcc, v2, v5
	s_waitcnt lgkmcnt(0)
	v_pk_add_f32 v[0:1], v[10:11], v[0:1]
	v_cndmask_b32_e32 v2, v4, v2, vcc
	v_lshlrev_b32_e32 v3, 2, v2
	ds_bpermute_b32 v2, v3, v0
	ds_bpermute_b32 v3, v3, v1
	v_cmp_lt_i32_e32 vcc, v6, v5
	s_waitcnt lgkmcnt(0)
	v_pk_add_f32 v[0:1], v[0:1], v[2:3]
	v_cndmask_b32_e32 v6, v4, v6, vcc
	v_lshlrev_b32_e32 v6, 2, v6
	ds_bpermute_b32 v2, v6, v0
	ds_bpermute_b32 v3, v6, v1
	v_xor_b32_e32 v6, 4, v4
	v_cmp_lt_i32_e32 vcc, v6, v5
	s_waitcnt lgkmcnt(0)
	v_pk_add_f32 v[0:1], v[0:1], v[2:3]
	v_cndmask_b32_e32 v6, v4, v6, vcc
	v_lshlrev_b32_e32 v6, 2, v6
	ds_bpermute_b32 v2, v6, v0
	ds_bpermute_b32 v3, v6, v1
	v_xor_b32_e32 v6, 2, v4
	;; [unrolled: 8-line block ×3, first 2 shown]
	v_cmp_lt_i32_e32 vcc, v6, v5
	s_waitcnt lgkmcnt(0)
	v_pk_add_f32 v[0:1], v[0:1], v[2:3]
	v_cndmask_b32_e32 v4, v4, v6, vcc
	v_lshlrev_b32_e32 v4, 2, v4
	ds_bpermute_b32 v2, v4, v0
	ds_bpermute_b32 v3, v4, v1
	v_add_u32_e32 v4, s2, v31
	v_cmp_gt_u32_e32 vcc, 2, v31
	v_cmp_gt_u32_e64 s[0:1], s4, v4
	s_and_b64 s[0:1], vcc, s[0:1]
	s_and_b64 exec, exec, s[0:1]
	s_cbranch_execz .LBB156_7
; %bb.6:
	v_cmp_eq_u32_e32 vcc, 1, v31
	s_mul_i32 s3, s3, s10
	v_mov_b32_e32 v4, s18
	s_waitcnt lgkmcnt(0)
	v_cndmask_b32_e32 v2, v2, v3, vcc
	v_cndmask_b32_e32 v0, v0, v1, vcc
	v_add_f32_e32 v2, v0, v2
	v_mul_lo_u32 v0, v30, s7
	v_or_b32_e32 v1, s2, v31
	v_mov_b32_e32 v5, s19
	v_add3_u32 v0, v1, v0, s3
	v_mov_b32_e32 v1, 0
	v_lshl_add_u64 v[0:1], v[0:1], 2, v[4:5]
	global_store_dword v[0:1], v2, off
.LBB156_7:
	s_endpgm
	.section	.rodata,"a",@progbits
	.p2align	6, 0x0
	.amdhsa_kernel _ZL17mul_mat_vec_q_moeIL9ggml_type16ELi2EEvPKvS2_PKiPfj15HIP_vector_typeIjLj3EEjjjjjjjjj
		.amdhsa_group_segment_fixed_size 0
		.amdhsa_private_segment_fixed_size 0
		.amdhsa_kernarg_size 84
		.amdhsa_user_sgpr_count 2
		.amdhsa_user_sgpr_dispatch_ptr 0
		.amdhsa_user_sgpr_queue_ptr 0
		.amdhsa_user_sgpr_kernarg_segment_ptr 1
		.amdhsa_user_sgpr_dispatch_id 0
		.amdhsa_user_sgpr_kernarg_preload_length 0
		.amdhsa_user_sgpr_kernarg_preload_offset 0
		.amdhsa_user_sgpr_private_segment_size 0
		.amdhsa_uses_dynamic_stack 0
		.amdhsa_enable_private_segment 0
		.amdhsa_system_sgpr_workgroup_id_x 1
		.amdhsa_system_sgpr_workgroup_id_y 1
		.amdhsa_system_sgpr_workgroup_id_z 0
		.amdhsa_system_sgpr_workgroup_info 0
		.amdhsa_system_vgpr_workitem_id 1
		.amdhsa_next_free_vgpr 125
		.amdhsa_next_free_sgpr 29
		.amdhsa_accum_offset 128
		.amdhsa_reserve_vcc 1
		.amdhsa_float_round_mode_32 0
		.amdhsa_float_round_mode_16_64 0
		.amdhsa_float_denorm_mode_32 3
		.amdhsa_float_denorm_mode_16_64 3
		.amdhsa_dx10_clamp 1
		.amdhsa_ieee_mode 1
		.amdhsa_fp16_overflow 0
		.amdhsa_tg_split 0
		.amdhsa_exception_fp_ieee_invalid_op 0
		.amdhsa_exception_fp_denorm_src 0
		.amdhsa_exception_fp_ieee_div_zero 0
		.amdhsa_exception_fp_ieee_overflow 0
		.amdhsa_exception_fp_ieee_underflow 0
		.amdhsa_exception_fp_ieee_inexact 0
		.amdhsa_exception_int_div_zero 0
	.end_amdhsa_kernel
	.section	.text._ZL17mul_mat_vec_q_moeIL9ggml_type16ELi2EEvPKvS2_PKiPfj15HIP_vector_typeIjLj3EEjjjjjjjjj,"axG",@progbits,_ZL17mul_mat_vec_q_moeIL9ggml_type16ELi2EEvPKvS2_PKiPfj15HIP_vector_typeIjLj3EEjjjjjjjjj,comdat
.Lfunc_end156:
	.size	_ZL17mul_mat_vec_q_moeIL9ggml_type16ELi2EEvPKvS2_PKiPfj15HIP_vector_typeIjLj3EEjjjjjjjjj, .Lfunc_end156-_ZL17mul_mat_vec_q_moeIL9ggml_type16ELi2EEvPKvS2_PKiPfj15HIP_vector_typeIjLj3EEjjjjjjjjj
                                        ; -- End function
	.section	.AMDGPU.csdata,"",@progbits
; Kernel info:
; codeLenInByte = 4740
; NumSgprs: 35
; NumVgprs: 125
; NumAgprs: 0
; TotalNumVgprs: 125
; ScratchSize: 0
; MemoryBound: 0
; FloatMode: 240
; IeeeMode: 1
; LDSByteSize: 0 bytes/workgroup (compile time only)
; SGPRBlocks: 4
; VGPRBlocks: 15
; NumSGPRsForWavesPerEU: 35
; NumVGPRsForWavesPerEU: 125
; AccumOffset: 128
; Occupancy: 4
; WaveLimiterHint : 1
; COMPUTE_PGM_RSRC2:SCRATCH_EN: 0
; COMPUTE_PGM_RSRC2:USER_SGPR: 2
; COMPUTE_PGM_RSRC2:TRAP_HANDLER: 0
; COMPUTE_PGM_RSRC2:TGID_X_EN: 1
; COMPUTE_PGM_RSRC2:TGID_Y_EN: 1
; COMPUTE_PGM_RSRC2:TGID_Z_EN: 0
; COMPUTE_PGM_RSRC2:TIDIG_COMP_CNT: 1
; COMPUTE_PGM_RSRC3_GFX90A:ACCUM_OFFSET: 31
; COMPUTE_PGM_RSRC3_GFX90A:TG_SPLIT: 0
	.section	.text._ZL13mul_mat_vec_qIL9ggml_type16ELi1ELb1ELb1EEvPKvS2_PKi31ggml_cuda_mm_fusion_args_devicePfj15HIP_vector_typeIjLj3EEjjjS8_jjjS8_jjjj,"axG",@progbits,_ZL13mul_mat_vec_qIL9ggml_type16ELi1ELb1ELb1EEvPKvS2_PKi31ggml_cuda_mm_fusion_args_devicePfj15HIP_vector_typeIjLj3EEjjjS8_jjjS8_jjjj,comdat
	.globl	_ZL13mul_mat_vec_qIL9ggml_type16ELi1ELb1ELb1EEvPKvS2_PKi31ggml_cuda_mm_fusion_args_devicePfj15HIP_vector_typeIjLj3EEjjjS8_jjjS8_jjjj ; -- Begin function _ZL13mul_mat_vec_qIL9ggml_type16ELi1ELb1ELb1EEvPKvS2_PKi31ggml_cuda_mm_fusion_args_devicePfj15HIP_vector_typeIjLj3EEjjjS8_jjjS8_jjjj
	.p2align	8
	.type	_ZL13mul_mat_vec_qIL9ggml_type16ELi1ELb1ELb1EEvPKvS2_PKi31ggml_cuda_mm_fusion_args_devicePfj15HIP_vector_typeIjLj3EEjjjS8_jjjS8_jjjj,@function
_ZL13mul_mat_vec_qIL9ggml_type16ELi1ELb1ELb1EEvPKvS2_PKi31ggml_cuda_mm_fusion_args_devicePfj15HIP_vector_typeIjLj3EEjjjS8_jjjS8_jjjj: ; @_ZL13mul_mat_vec_qIL9ggml_type16ELi1ELb1ELb1EEvPKvS2_PKi31ggml_cuda_mm_fusion_args_devicePfj15HIP_vector_typeIjLj3EEjjjS8_jjjS8_jjjj
; %bb.0:
	s_load_dwordx8 s[16:23], s[2:3], 0x0
	s_load_dwordx4 s[36:39], s[2:3], 0x20
	s_load_dwordx4 s[40:43], s[2:3], 0x40
	;; [unrolled: 1-line block ×3, first 2 shown]
	s_mov_b32 s14, s5
	s_waitcnt lgkmcnt(0)
	s_cmp_lg_u64 s[20:21], 0
	s_cselect_b64 s[8:9], -1, 0
	s_cmp_eq_u64 s[20:21], 0
	s_mov_b64 s[10:11], 0
	s_cbranch_scc1 .LBB157_5
; %bb.1:
	s_mov_b32 s15, 0
	s_lshl_b64 s[12:13], s[14:15], 2
	s_add_u32 s12, s20, s12
	s_addc_u32 s13, s21, s13
	s_load_dword s44, s[12:13], 0x0
	s_load_dword s33, s[2:3], 0x50
	;; [unrolled: 1-line block ×3, first 2 shown]
	s_andn2_b64 vcc, exec, s[10:11]
	s_cbranch_vccnz .LBB157_3
.LBB157_2:
	s_load_dwordx2 s[10:11], s[2:3], 0x5c
	s_waitcnt lgkmcnt(0)
	s_mul_hi_u32 s5, s10, s14
	s_add_i32 s5, s14, s5
	s_lshr_b32 s44, s5, s11
.LBB157_3:
	s_andn2_b64 vcc, exec, s[8:9]
	s_cbranch_vccnz .LBB157_6
; %bb.4:
	s_mul_hi_u32 s5, s41, s14
	s_add_i32 s5, s14, s5
	s_lshr_b32 s5, s5, s42
	s_mul_i32 s5, s5, s43
	s_sub_i32 s41, s14, s5
	s_waitcnt lgkmcnt(0)
	s_mov_b32 s15, s44
	s_branch .LBB157_7
.LBB157_5:
                                        ; implicit-def: $sgpr44
	s_load_dword s33, s[2:3], 0x50
	s_load_dword s45, s[2:3], 0x78
	s_branch .LBB157_2
.LBB157_6:
	s_mov_b32 s15, s14
	s_mov_b32 s41, s14
.LBB157_7:
	s_load_dword s7, s[2:3], 0x58
	s_load_dwordx4 s[28:31], s[2:3], 0x80
	s_lshl_b32 s20, s4, 1
	s_cmp_eq_u64 s[22:23], 0
	v_and_b32_e32 v38, 0x3ff, v0
	v_bfe_u32 v43, v0, 10, 10
	s_cselect_b64 s[8:9], -1, 0
	s_and_b64 vcc, exec, s[8:9]
	v_mov_b32_e32 v39, 0
	v_cmp_gt_u32_e64 s[4:5], 2, v38
	v_cmp_eq_u32_e64 s[10:11], 0, v43
	v_or_b32_e32 v1, s20, v38
	v_mov_b32_e32 v40, 0
	s_cbranch_vccnz .LBB157_11
; %bb.8:
	s_waitcnt lgkmcnt(0)
	v_cmp_gt_u32_e32 vcc, s7, v1
	s_and_b64 s[4:5], s[4:5], vcc
	s_mov_b32 s13, 0
	s_and_b64 s[10:11], s[4:5], s[10:11]
	v_mov_b32_e32 v40, 0
	s_and_saveexec_b64 s[4:5], s[10:11]
	s_cbranch_execz .LBB157_10
; %bb.9:
	s_mul_i32 s12, s6, s30
	s_lshl_b64 s[10:11], s[12:13], 2
	s_add_u32 s21, s22, s10
	s_mul_i32 s12, s15, s26
	s_addc_u32 s22, s23, s11
	s_lshl_b64 s[10:11], s[12:13], 2
	s_add_u32 s12, s21, s10
	s_addc_u32 s13, s22, s11
	s_ashr_i32 s21, s20, 31
	s_lshl_b64 s[10:11], s[20:21], 2
	s_add_u32 s10, s12, s10
	s_addc_u32 s11, s13, s11
	v_lshlrev_b32_e32 v2, 2, v38
	global_load_dword v40, v2, s[10:11]
.LBB157_10:
	s_or_b64 exec, exec, s[4:5]
.LBB157_11:
	s_cmp_lg_u64 s[36:37], 0
	s_cselect_b64 s[34:35], -1, 0
	s_cmp_eq_u64 s[36:37], 0
	s_cselect_b64 s[22:23], -1, 0
	s_cmp_lg_u64 s[38:39], 0
	s_cselect_b64 s[4:5], -1, 0
	s_and_b64 s[10:11], s[4:5], s[34:35]
	s_andn2_b64 vcc, exec, s[10:11]
	s_cbranch_vccnz .LBB157_15
; %bb.12:
	v_cmp_gt_u32_e32 vcc, 2, v38
	s_waitcnt lgkmcnt(0)
	v_cmp_gt_u32_e64 s[12:13], s7, v1
	v_cmp_eq_u32_e64 s[10:11], 0, v43
	s_and_b64 s[12:13], vcc, s[12:13]
	s_mov_b32 s43, 0
	s_and_b64 s[12:13], s[12:13], s[10:11]
	v_mov_b32_e32 v39, 0
	s_and_saveexec_b64 s[10:11], s[12:13]
	s_cbranch_execz .LBB157_14
; %bb.13:
	s_mul_i32 s42, s6, s30
	s_lshl_b64 s[12:13], s[42:43], 2
	s_add_u32 s21, s38, s12
	s_mul_i32 s42, s15, s26
	s_addc_u32 s31, s39, s13
	s_lshl_b64 s[12:13], s[42:43], 2
	s_add_u32 s15, s21, s12
	s_addc_u32 s31, s31, s13
	s_ashr_i32 s21, s20, 31
	s_lshl_b64 s[12:13], s[20:21], 2
	s_add_u32 s12, s15, s12
	s_addc_u32 s13, s31, s13
	v_lshlrev_b32_e32 v1, 2, v38
	global_load_dword v39, v1, s[12:13]
.LBB157_14:
	s_or_b64 exec, exec, s[10:11]
.LBB157_15:
	s_load_dwordx2 s[0:1], s[0:1], 0x4
	v_bfe_u32 v1, v0, 20, 10
	v_lshl_add_u32 v0, v43, 6, v38
	s_lshr_b32 s15, s40, 8
	v_lshrrev_b32_e32 v44, 3, v0
	s_waitcnt lgkmcnt(0)
	s_lshr_b32 s0, s0, 16
	v_mul_u32_u24_e32 v2, s1, v43
	s_mul_i32 s0, s0, s1
	v_mad_u32_u24 v2, s0, v38, v2
	v_add_lshl_u32 v1, v2, v1, 3
	v_add_u32_e32 v42, 0x800, v1
	v_add_u32_e32 v41, 0x400, v1
	v_cndmask_b32_e64 v1, 0, 1, s[34:35]
	v_mov_b32_e32 v48, 0
	v_cmp_gt_u32_e32 vcc, s15, v44
	v_cmp_ne_u32_e64 s[10:11], 1, v1
	v_mov_b32_e32 v45, 0
	v_mov_b32_e32 v47, 0
	;; [unrolled: 1-line block ×3, first 2 shown]
	ds_write2_b32 v42, v48, v48 offset1:1
	ds_write2_b32 v41, v48, v48 offset1:1
	s_and_saveexec_b64 s[0:1], vcc
	s_cbranch_execz .LBB157_23
; %bb.16:
	s_mul_hi_u32 s13, s27, s6
	s_add_i32 s13, s6, s13
	s_lshr_b32 s13, s13, s45
	s_mul_i32 s21, s44, s24
	s_mul_i32 s13, s13, s28
	;; [unrolled: 1-line block ×3, first 2 shown]
	v_lshlrev_b32_e32 v1, 1, v38
	s_add_i32 s27, s13, s21
	s_add_i32 s13, s20, 1
	v_and_b32_e32 v1, 14, v1
	s_mul_i32 s24, s20, s33
	s_mul_i32 s33, s33, s13
	s_mul_hi_u32 s13, s12, 36
	s_mul_i32 s12, s12, 36
	v_lshlrev_b32_e32 v2, 1, v1
	v_lshrrev_b32_e32 v4, 3, v0
	v_mov_b32_e32 v0, s12
	v_mov_b32_e32 v1, s13
	s_movk_i32 s12, 0x120
	s_mul_i32 s29, s6, s29
	v_mad_u64_u32 v[0:1], s[12:13], v4, s12, v[0:1]
	v_and_b32_e32 v3, 7, v38
	v_mad_u64_u32 v[0:1], s[12:13], s29, 36, v[0:1]
	v_mad_u64_u32 v[0:1], s[12:13], v3, 36, v[0:1]
	v_mov_b32_e32 v9, 0
	v_lshl_add_u64 v[0:1], v[0:1], 0, s[18:19]
	s_add_i32 s21, s27, s24
	s_add_i32 s27, s27, s33
	v_lshl_add_u64 v[10:11], v[0:1], 0, 16
	s_mov_b64 s[12:13], 0
	s_movk_i32 s28, 0x42
	v_mov_b64_e32 v[12:13], s[16:17]
	v_lshlrev_b32_e32 v8, 1, v2
	s_mov_b32 s29, 0x1010101
	s_mov_b32 s31, 0xffff
	s_movk_i32 s33, 0xff00
	s_mov_b64 s[18:19], 0x1200
	v_mov_b32_e32 v49, 3
	v_mov_b32_e32 v50, 8
	;; [unrolled: 1-line block ×6, first 2 shown]
	s_branch .LBB157_18
.LBB157_17:                             ;   in Loop: Header=BB157_18 Depth=1
	v_and_b32_e32 v35, 0xff, v25
	v_bcnt_u32_b32 v36, v35, 0
	v_and_b32_e32 v36, 1, v36
	v_lshlrev_b32_e32 v36, 7, v36
	v_xor_b32_e32 v35, v36, v35
	v_mul_lo_u32 v35, v35, s29
	v_and_b32_e32 v36, 0x8000000, v35
	v_lshrrev_b32_e32 v53, 8, v35
	v_lshrrev_b16_e32 v54, 1, v53
	v_cmp_ne_u16_sdwa s[24:25], v36, v9 src0_sel:BYTE_3 src1_sel:DWORD
	v_and_b32_e32 v37, 1, v25
	v_bfe_i32 v54, v54, 0, 1
	v_lshrrev_b32_e32 v55, 18, v35
	v_cndmask_b32_e64 v36, 0, -1, s[24:25]
	v_sub_u16_e32 v37, 0, v37
	v_bfe_i32 v55, v55, 0, 1
	v_lshlrev_b16_e32 v36, 8, v36
	v_lshlrev_b16_e32 v54, 8, v54
	v_or_b32_sdwa v56, v55, v36 dst_sel:WORD_1 dst_unused:UNUSED_PAD src0_sel:BYTE_0 src1_sel:DWORD
	v_or_b32_sdwa v57, v37, v54 dst_sel:DWORD dst_unused:UNUSED_PAD src0_sel:BYTE_0 src1_sel:DWORD
	v_or_b32_sdwa v56, v57, v56 dst_sel:DWORD dst_unused:UNUSED_PAD src0_sel:WORD_0 src1_sel:DWORD
	s_waitcnt vmcnt(3)
	v_xor_b32_e32 v32, v32, v56
	v_and_b32_e32 v56, 0xffffff00, v32
	v_sub_i16 v54, v56, v54 clamp
	v_lshlrev_b16_e32 v56, 8, v32
	v_lshlrev_b16_e32 v37, 8, v37
	v_and_b32_e32 v54, 0xffffff00, v54
	v_sub_i16 v37, v56, v37 clamp
	v_or_b32_sdwa v37, v37, v54 dst_sel:DWORD dst_unused:UNUSED_PAD src0_sel:BYTE_1 src1_sel:DWORD
	v_and_b32_sdwa v54, v32, s33 dst_sel:DWORD dst_unused:UNUSED_PAD src0_sel:WORD_1 src1_sel:DWORD
	v_sub_i16 v36, v54, v36 clamp
	v_lshlrev_b16_sdwa v32, v50, v32 dst_sel:DWORD dst_unused:UNUSED_PAD src0_sel:DWORD src1_sel:WORD_1
	v_lshlrev_b16_e32 v54, 8, v55
	v_and_b32_e32 v36, 0xffffff00, v36
	v_sub_i16 v32, v32, v54 clamp
	v_or_b32_sdwa v32, v32, v36 dst_sel:WORD_1 dst_unused:UNUSED_PAD src0_sel:BYTE_1 src1_sel:DWORD
	v_mov_b32_e32 v36, v9
	v_or_b32_sdwa v32, v37, v32 dst_sel:DWORD dst_unused:UNUSED_PAD src0_sel:WORD_0 src1_sel:DWORD
	v_dot4c_i32_i8_e32 v36, v32, v5
	v_and_b32_e32 v32, 0x80000000, v35
	v_lshrrev_b16_e32 v53, 5, v53
	v_cmp_ne_u16_sdwa s[24:25], v32, v9 src0_sel:BYTE_3 src1_sel:DWORD
	v_bfe_i32 v53, v53, 0, 1
	v_lshrrev_b32_e32 v35, 22, v35
	v_cndmask_b32_e64 v32, 0, -1, s[24:25]
	v_bfe_i32 v37, v25, 4, 1
	v_bfe_i32 v35, v35, 0, 1
	v_lshlrev_b16_e32 v32, 8, v32
	v_lshlrev_b16_e32 v53, 8, v53
	v_or_b32_sdwa v54, v35, v32 dst_sel:WORD_1 dst_unused:UNUSED_PAD src0_sel:BYTE_0 src1_sel:DWORD
	v_or_b32_sdwa v55, v37, v53 dst_sel:DWORD dst_unused:UNUSED_PAD src0_sel:BYTE_0 src1_sel:DWORD
	v_or_b32_sdwa v54, v55, v54 dst_sel:DWORD dst_unused:UNUSED_PAD src0_sel:WORD_0 src1_sel:DWORD
	v_xor_b32_e32 v33, v33, v54
	v_and_b32_e32 v54, 0xffffff00, v33
	v_sub_i16 v53, v54, v53 clamp
	v_lshlrev_b16_e32 v54, 8, v33
	v_lshlrev_b16_e32 v37, 8, v37
	v_and_b32_e32 v53, 0xffffff00, v53
	v_sub_i16 v37, v54, v37 clamp
	v_or_b32_sdwa v37, v37, v53 dst_sel:DWORD dst_unused:UNUSED_PAD src0_sel:BYTE_1 src1_sel:DWORD
	v_and_b32_sdwa v53, v33, s33 dst_sel:DWORD dst_unused:UNUSED_PAD src0_sel:WORD_1 src1_sel:DWORD
	v_sub_i16 v32, v53, v32 clamp
	v_lshlrev_b16_sdwa v33, v50, v33 dst_sel:DWORD dst_unused:UNUSED_PAD src0_sel:DWORD src1_sel:WORD_1
	v_lshlrev_b16_e32 v35, 8, v35
	v_and_b32_e32 v32, 0xffffff00, v32
	v_sub_i16 v33, v33, v35 clamp
	v_or_b32_sdwa v32, v33, v32 dst_sel:WORD_1 dst_unused:UNUSED_PAD src0_sel:BYTE_1 src1_sel:DWORD
	v_bfe_i32 v35, v25, 7, 1
	v_or_b32_sdwa v32, v37, v32 dst_sel:DWORD dst_unused:UNUSED_PAD src0_sel:WORD_0 src1_sel:DWORD
	v_dot4c_i32_i8_e32 v36, v32, v6
	v_bfe_u32 v32, v25, 7, 8
	v_bcnt_u32_b32 v33, v32, 0
	v_and_b32_e32 v33, 1, v33
	v_lshlrev_b32_e32 v33, 7, v33
	v_xor_b32_e32 v32, v33, v32
	v_mul_lo_u32 v32, v32, s29
	v_and_b32_e32 v33, 0x8000000, v32
	v_lshrrev_b32_e32 v37, 8, v32
	v_lshrrev_b16_e32 v53, 1, v37
	v_cmp_ne_u16_sdwa s[24:25], v33, v9 src0_sel:BYTE_3 src1_sel:DWORD
	v_bfe_i32 v53, v53, 0, 1
	v_lshrrev_b32_e32 v54, 18, v32
	v_cndmask_b32_e64 v33, 0, -1, s[24:25]
	v_bfe_i32 v54, v54, 0, 1
	v_lshlrev_b16_e32 v53, 8, v53
	v_lshlrev_b16_e32 v33, 8, v33
	v_or_b32_sdwa v55, v35, v53 dst_sel:DWORD dst_unused:UNUSED_PAD src0_sel:BYTE_0 src1_sel:DWORD
	v_or_b32_sdwa v56, v54, v33 dst_sel:WORD_1 dst_unused:UNUSED_PAD src0_sel:BYTE_0 src1_sel:DWORD
	v_lshlrev_b16_e32 v35, 8, v35
	v_or_b32_sdwa v55, v55, v56 dst_sel:DWORD dst_unused:UNUSED_PAD src0_sel:WORD_0 src1_sel:DWORD
	s_waitcnt vmcnt(2)
	v_xor_b32_e32 v30, v30, v55
	v_and_b32_e32 v55, 0xffffff00, v30
	v_sub_i16 v53, v55, v53 clamp
	v_lshlrev_b16_e32 v55, 8, v30
	v_and_b32_e32 v53, 0xffffff00, v53
	v_sub_i16 v35, v55, v35 clamp
	v_or_b32_sdwa v35, v35, v53 dst_sel:DWORD dst_unused:UNUSED_PAD src0_sel:BYTE_1 src1_sel:DWORD
	v_and_b32_sdwa v53, v30, s33 dst_sel:DWORD dst_unused:UNUSED_PAD src0_sel:WORD_1 src1_sel:DWORD
	v_sub_i16 v33, v53, v33 clamp
	v_lshlrev_b16_sdwa v30, v50, v30 dst_sel:DWORD dst_unused:UNUSED_PAD src0_sel:DWORD src1_sel:WORD_1
	v_lshlrev_b16_e32 v53, 8, v54
	v_and_b32_e32 v33, 0xffffff00, v33
	v_sub_i16 v30, v30, v53 clamp
	v_or_b32_sdwa v30, v30, v33 dst_sel:WORD_1 dst_unused:UNUSED_PAD src0_sel:BYTE_1 src1_sel:DWORD
	v_bfe_i32 v33, v25, 11, 1
	v_or_b32_sdwa v30, v35, v30 dst_sel:DWORD dst_unused:UNUSED_PAD src0_sel:WORD_0 src1_sel:DWORD
	v_dot4c_i32_i8_e32 v36, v30, v7
	v_and_b32_e32 v30, 0x80000000, v32
	v_lshrrev_b16_e32 v35, 5, v37
	v_cmp_ne_u16_sdwa s[24:25], v30, v9 src0_sel:BYTE_3 src1_sel:DWORD
	v_bfe_i32 v35, v35, 0, 1
	v_lshrrev_b32_e32 v32, 22, v32
	v_cndmask_b32_e64 v30, 0, -1, s[24:25]
	v_bfe_i32 v32, v32, 0, 1
	v_lshlrev_b16_e32 v35, 8, v35
	v_lshlrev_b16_e32 v30, 8, v30
	v_or_b32_sdwa v37, v33, v35 dst_sel:DWORD dst_unused:UNUSED_PAD src0_sel:BYTE_0 src1_sel:DWORD
	v_or_b32_sdwa v53, v32, v30 dst_sel:WORD_1 dst_unused:UNUSED_PAD src0_sel:BYTE_0 src1_sel:DWORD
	v_lshlrev_b16_e32 v33, 8, v33
	v_or_b32_sdwa v37, v37, v53 dst_sel:DWORD dst_unused:UNUSED_PAD src0_sel:WORD_0 src1_sel:DWORD
	v_xor_b32_e32 v31, v31, v37
	v_and_b32_e32 v37, 0xffffff00, v31
	v_sub_i16 v35, v37, v35 clamp
	v_lshlrev_b16_e32 v37, 8, v31
	v_and_b32_e32 v35, 0xffffff00, v35
	v_sub_i16 v33, v37, v33 clamp
	v_or_b32_sdwa v33, v33, v35 dst_sel:DWORD dst_unused:UNUSED_PAD src0_sel:BYTE_1 src1_sel:DWORD
	v_and_b32_sdwa v35, v31, s33 dst_sel:DWORD dst_unused:UNUSED_PAD src0_sel:WORD_1 src1_sel:DWORD
	v_sub_i16 v30, v35, v30 clamp
	v_lshlrev_b16_sdwa v31, v50, v31 dst_sel:DWORD dst_unused:UNUSED_PAD src0_sel:DWORD src1_sel:WORD_1
	v_lshlrev_b16_e32 v32, 8, v32
	v_and_b32_e32 v30, 0xffffff00, v30
	v_sub_i16 v31, v31, v32 clamp
	v_and_b32_e32 v34, 0xffff0000, v25
	v_or_b32_sdwa v30, v31, v30 dst_sel:WORD_1 dst_unused:UNUSED_PAD src0_sel:BYTE_1 src1_sel:DWORD
	v_and_or_b32 v34, v25, s31, v34
	v_or_b32_sdwa v30, v33, v30 dst_sel:DWORD dst_unused:UNUSED_PAD src0_sel:WORD_0 src1_sel:DWORD
	v_dot4c_i32_i8_e32 v36, v30, v0
	v_bfe_u32 v30, v34, 14, 8
	v_bcnt_u32_b32 v31, v30, 0
	v_and_b32_e32 v31, 1, v31
	v_lshlrev_b32_e32 v31, 7, v31
	v_xor_b32_e32 v30, v31, v30
	v_mul_lo_u32 v30, v30, s29
	v_and_b32_e32 v31, 0x8000000, v30
	v_lshrrev_b32_e32 v33, 8, v30
	v_lshrrev_b16_e32 v34, 1, v33
	v_cmp_ne_u16_sdwa s[24:25], v31, v9 src0_sel:BYTE_3 src1_sel:DWORD
	v_bfe_i32 v34, v34, 0, 1
	v_lshrrev_b32_e32 v35, 18, v30
	v_cndmask_b32_e64 v31, 0, -1, s[24:25]
	v_bfe_i32 v32, v25, 14, 1
	v_bfe_i32 v35, v35, 0, 1
	v_lshlrev_b16_e32 v31, 8, v31
	v_lshlrev_b16_e32 v34, 8, v34
	v_or_b32_sdwa v37, v35, v31 dst_sel:WORD_1 dst_unused:UNUSED_PAD src0_sel:BYTE_0 src1_sel:DWORD
	v_or_b32_sdwa v53, v32, v34 dst_sel:DWORD dst_unused:UNUSED_PAD src0_sel:BYTE_0 src1_sel:DWORD
	v_or_b32_sdwa v37, v53, v37 dst_sel:DWORD dst_unused:UNUSED_PAD src0_sel:WORD_0 src1_sel:DWORD
	s_waitcnt vmcnt(1)
	v_xor_b32_e32 v28, v28, v37
	v_and_b32_e32 v37, 0xffffff00, v28
	v_sub_i16 v34, v37, v34 clamp
	v_lshlrev_b16_e32 v37, 8, v28
	v_lshlrev_b16_e32 v32, 8, v32
	v_and_b32_e32 v34, 0xffffff00, v34
	v_sub_i16 v32, v37, v32 clamp
	v_or_b32_sdwa v32, v32, v34 dst_sel:DWORD dst_unused:UNUSED_PAD src0_sel:BYTE_1 src1_sel:DWORD
	v_and_b32_sdwa v34, v28, s33 dst_sel:DWORD dst_unused:UNUSED_PAD src0_sel:WORD_1 src1_sel:DWORD
	v_sub_i16 v31, v34, v31 clamp
	v_lshlrev_b16_sdwa v28, v50, v28 dst_sel:DWORD dst_unused:UNUSED_PAD src0_sel:DWORD src1_sel:WORD_1
	v_lshlrev_b16_e32 v34, 8, v35
	v_and_b32_e32 v31, 0xffffff00, v31
	v_sub_i16 v28, v28, v34 clamp
	v_or_b32_sdwa v28, v28, v31 dst_sel:WORD_1 dst_unused:UNUSED_PAD src0_sel:BYTE_1 src1_sel:DWORD
	v_lshrrev_b32_e32 v24, 16, v25
	v_or_b32_sdwa v28, v32, v28 dst_sel:DWORD dst_unused:UNUSED_PAD src0_sel:WORD_0 src1_sel:DWORD
	v_dot4c_i32_i8_e32 v36, v28, v1
	v_and_b32_e32 v28, 0x80000000, v30
	v_lshrrev_b16_e32 v32, 5, v33
	v_cmp_ne_u16_sdwa s[24:25], v28, v9 src0_sel:BYTE_3 src1_sel:DWORD
	v_bfe_i32 v32, v32, 0, 1
	v_lshrrev_b32_e32 v30, 22, v30
	v_cndmask_b32_e64 v28, 0, -1, s[24:25]
	v_bfe_i32 v31, v24, 2, 1
	v_bfe_i32 v30, v30, 0, 1
	v_lshlrev_b16_e32 v28, 8, v28
	v_lshlrev_b16_e32 v32, 8, v32
	v_or_b32_sdwa v33, v30, v28 dst_sel:WORD_1 dst_unused:UNUSED_PAD src0_sel:BYTE_0 src1_sel:DWORD
	v_or_b32_sdwa v34, v31, v32 dst_sel:DWORD dst_unused:UNUSED_PAD src0_sel:BYTE_0 src1_sel:DWORD
	v_or_b32_sdwa v33, v34, v33 dst_sel:DWORD dst_unused:UNUSED_PAD src0_sel:WORD_0 src1_sel:DWORD
	v_xor_b32_e32 v29, v29, v33
	v_and_b32_e32 v33, 0xffffff00, v29
	v_sub_i16 v32, v33, v32 clamp
	v_lshlrev_b16_e32 v33, 8, v29
	v_lshlrev_b16_e32 v31, 8, v31
	v_and_b32_e32 v32, 0xffffff00, v32
	v_sub_i16 v31, v33, v31 clamp
	v_or_b32_sdwa v31, v31, v32 dst_sel:DWORD dst_unused:UNUSED_PAD src0_sel:BYTE_1 src1_sel:DWORD
	v_and_b32_sdwa v32, v29, s33 dst_sel:DWORD dst_unused:UNUSED_PAD src0_sel:WORD_1 src1_sel:DWORD
	v_sub_i16 v28, v32, v28 clamp
	v_lshlrev_b16_sdwa v29, v50, v29 dst_sel:DWORD dst_unused:UNUSED_PAD src0_sel:DWORD src1_sel:WORD_1
	v_lshlrev_b16_e32 v30, 8, v30
	v_and_b32_e32 v28, 0xffffff00, v28
	v_sub_i16 v29, v29, v30 clamp
	v_or_b32_sdwa v28, v29, v28 dst_sel:WORD_1 dst_unused:UNUSED_PAD src0_sel:BYTE_1 src1_sel:DWORD
	v_bfe_i32 v30, v24, 5, 1
	v_or_b32_sdwa v28, v31, v28 dst_sel:DWORD dst_unused:UNUSED_PAD src0_sel:WORD_0 src1_sel:DWORD
	v_dot4c_i32_i8_e32 v36, v28, v2
	v_bfe_u32 v28, v25, 21, 8
	v_bcnt_u32_b32 v29, v28, 0
	v_and_b32_e32 v29, 1, v29
	v_lshlrev_b32_e32 v29, 7, v29
	v_xor_b32_e32 v28, v29, v28
	v_mul_lo_u32 v28, v28, s29
	v_and_b32_e32 v29, 0x8000000, v28
	v_lshrrev_b32_e32 v31, 8, v28
	v_lshrrev_b16_e32 v32, 1, v31
	v_cmp_ne_u16_sdwa s[24:25], v29, v9 src0_sel:BYTE_3 src1_sel:DWORD
	v_bfe_i32 v32, v32, 0, 1
	v_lshrrev_b32_e32 v33, 18, v28
	v_cndmask_b32_e64 v29, 0, -1, s[24:25]
	v_bfe_i32 v33, v33, 0, 1
	v_lshlrev_b16_e32 v32, 8, v32
	v_lshlrev_b16_e32 v29, 8, v29
	v_or_b32_sdwa v34, v30, v32 dst_sel:DWORD dst_unused:UNUSED_PAD src0_sel:BYTE_0 src1_sel:DWORD
	v_or_b32_sdwa v35, v33, v29 dst_sel:WORD_1 dst_unused:UNUSED_PAD src0_sel:BYTE_0 src1_sel:DWORD
	v_lshlrev_b16_e32 v30, 8, v30
	v_or_b32_sdwa v34, v34, v35 dst_sel:DWORD dst_unused:UNUSED_PAD src0_sel:WORD_0 src1_sel:DWORD
	s_waitcnt vmcnt(0)
	v_xor_b32_e32 v26, v26, v34
	v_and_b32_e32 v34, 0xffffff00, v26
	v_sub_i16 v32, v34, v32 clamp
	v_lshlrev_b16_e32 v34, 8, v26
	v_and_b32_e32 v32, 0xffffff00, v32
	v_sub_i16 v30, v34, v30 clamp
	v_or_b32_sdwa v30, v30, v32 dst_sel:DWORD dst_unused:UNUSED_PAD src0_sel:BYTE_1 src1_sel:DWORD
	v_and_b32_sdwa v32, v26, s33 dst_sel:DWORD dst_unused:UNUSED_PAD src0_sel:WORD_1 src1_sel:DWORD
	v_sub_i16 v29, v32, v29 clamp
	v_lshlrev_b16_sdwa v26, v50, v26 dst_sel:DWORD dst_unused:UNUSED_PAD src0_sel:DWORD src1_sel:WORD_1
	v_lshlrev_b16_e32 v32, 8, v33
	v_and_b32_e32 v29, 0xffffff00, v29
	v_sub_i16 v26, v26, v32 clamp
	v_or_b32_sdwa v26, v26, v29 dst_sel:WORD_1 dst_unused:UNUSED_PAD src0_sel:BYTE_1 src1_sel:DWORD
	v_lshrrev_b16_e32 v29, 5, v31
	v_or_b32_sdwa v26, v30, v26 dst_sel:DWORD dst_unused:UNUSED_PAD src0_sel:WORD_0 src1_sel:DWORD
	v_dot4c_i32_i8_e32 v36, v26, v3
	v_and_b32_e32 v26, 0x80000000, v28
	v_cmp_ne_u16_sdwa s[24:25], v26, v9 src0_sel:BYTE_3 src1_sel:DWORD
	v_bfe_i32 v29, v29, 0, 1
	v_lshrrev_b32_e32 v28, 22, v28
	v_cndmask_b32_e64 v26, 0, -1, s[24:25]
	v_bfe_i32 v24, v24, 9, 1
	v_bfe_i32 v28, v28, 0, 1
	v_lshlrev_b16_e32 v29, 8, v29
	v_lshlrev_b16_e32 v26, 8, v26
	v_or_b32_sdwa v30, v24, v29 dst_sel:DWORD dst_unused:UNUSED_PAD src0_sel:BYTE_0 src1_sel:DWORD
	v_or_b32_sdwa v31, v28, v26 dst_sel:WORD_1 dst_unused:UNUSED_PAD src0_sel:BYTE_0 src1_sel:DWORD
	v_lshlrev_b16_e32 v24, 8, v24
	v_or_b32_sdwa v30, v30, v31 dst_sel:DWORD dst_unused:UNUSED_PAD src0_sel:WORD_0 src1_sel:DWORD
	v_xor_b32_e32 v27, v27, v30
	v_and_b32_e32 v30, 0xffffff00, v27
	v_sub_i16 v29, v30, v29 clamp
	v_lshlrev_b16_e32 v30, 8, v27
	v_and_b32_e32 v29, 0xffffff00, v29
	v_sub_i16 v24, v30, v24 clamp
	v_or_b32_sdwa v24, v24, v29 dst_sel:DWORD dst_unused:UNUSED_PAD src0_sel:BYTE_1 src1_sel:DWORD
	v_and_b32_sdwa v29, v27, s33 dst_sel:DWORD dst_unused:UNUSED_PAD src0_sel:WORD_1 src1_sel:DWORD
	v_sub_i16 v26, v29, v26 clamp
	v_lshlrev_b16_sdwa v27, v50, v27 dst_sel:DWORD dst_unused:UNUSED_PAD src0_sel:DWORD src1_sel:WORD_1
	v_lshlrev_b16_e32 v28, 8, v28
	v_and_b32_e32 v26, 0xffffff00, v26
	v_sub_i16 v27, v27, v28 clamp
	v_or_b32_sdwa v26, v27, v26 dst_sel:WORD_1 dst_unused:UNUSED_PAD src0_sel:BYTE_1 src1_sel:DWORD
	v_and_b32_e32 v27, 0xff, v15
	v_bcnt_u32_b32 v28, v27, 0
	v_and_b32_e32 v28, 1, v28
	v_lshlrev_b32_e32 v28, 7, v28
	v_xor_b32_e32 v27, v28, v27
	v_mul_lo_u32 v27, v27, s29
	v_and_b32_e32 v28, 0x8000000, v27
	v_lshrrev_b32_e32 v30, 8, v27
	v_lshrrev_b16_e32 v31, 1, v30
	v_cmp_ne_u16_sdwa s[24:25], v28, v9 src0_sel:BYTE_3 src1_sel:DWORD
	v_and_b32_e32 v29, 1, v15
	v_bfe_i32 v31, v31, 0, 1
	v_lshrrev_b32_e32 v32, 18, v27
	v_cndmask_b32_e64 v28, 0, -1, s[24:25]
	v_sub_u16_e32 v29, 0, v29
	v_bfe_i32 v32, v32, 0, 1
	v_lshlrev_b16_e32 v28, 8, v28
	v_lshlrev_b16_e32 v31, 8, v31
	v_or_b32_sdwa v33, v32, v28 dst_sel:WORD_1 dst_unused:UNUSED_PAD src0_sel:BYTE_0 src1_sel:DWORD
	v_or_b32_sdwa v34, v29, v31 dst_sel:DWORD dst_unused:UNUSED_PAD src0_sel:BYTE_0 src1_sel:DWORD
	v_or_b32_sdwa v33, v34, v33 dst_sel:DWORD dst_unused:UNUSED_PAD src0_sel:WORD_0 src1_sel:DWORD
	v_xor_b32_e32 v22, v22, v33
	v_and_b32_e32 v33, 0xffffff00, v22
	v_sub_i16 v31, v33, v31 clamp
	v_lshlrev_b16_e32 v33, 8, v22
	v_lshlrev_b16_e32 v29, 8, v29
	v_and_b32_e32 v31, 0xffffff00, v31
	v_sub_i16 v29, v33, v29 clamp
	v_or_b32_sdwa v29, v29, v31 dst_sel:DWORD dst_unused:UNUSED_PAD src0_sel:BYTE_1 src1_sel:DWORD
	v_and_b32_sdwa v31, v22, s33 dst_sel:DWORD dst_unused:UNUSED_PAD src0_sel:WORD_1 src1_sel:DWORD
	v_sub_i16 v28, v31, v28 clamp
	v_lshlrev_b16_sdwa v22, v50, v22 dst_sel:DWORD dst_unused:UNUSED_PAD src0_sel:DWORD src1_sel:WORD_1
	v_lshlrev_b16_e32 v31, 8, v32
	v_and_b32_e32 v28, 0xffffff00, v28
	v_sub_i16 v22, v22, v31 clamp
	v_or_b32_sdwa v22, v22, v28 dst_sel:WORD_1 dst_unused:UNUSED_PAD src0_sel:BYTE_1 src1_sel:DWORD
	v_mov_b32_e32 v28, v9
	v_or_b32_sdwa v22, v29, v22 dst_sel:DWORD dst_unused:UNUSED_PAD src0_sel:WORD_0 src1_sel:DWORD
	v_dot4c_i32_i8_e32 v28, v22, v5
	v_and_b32_e32 v5, 0x80000000, v27
	v_lshrrev_b16_e32 v29, 5, v30
	v_cmp_ne_u16_sdwa s[24:25], v5, v9 src0_sel:BYTE_3 src1_sel:DWORD
	v_bfe_i32 v29, v29, 0, 1
	v_lshrrev_b32_e32 v27, 22, v27
	v_cndmask_b32_e64 v5, 0, -1, s[24:25]
	v_bfe_i32 v22, v15, 4, 1
	v_bfe_i32 v27, v27, 0, 1
	v_lshlrev_b16_e32 v5, 8, v5
	v_lshlrev_b16_e32 v29, 8, v29
	v_or_b32_sdwa v30, v27, v5 dst_sel:WORD_1 dst_unused:UNUSED_PAD src0_sel:BYTE_0 src1_sel:DWORD
	v_or_b32_sdwa v31, v22, v29 dst_sel:DWORD dst_unused:UNUSED_PAD src0_sel:BYTE_0 src1_sel:DWORD
	v_or_b32_sdwa v30, v31, v30 dst_sel:DWORD dst_unused:UNUSED_PAD src0_sel:WORD_0 src1_sel:DWORD
	v_xor_b32_e32 v23, v23, v30
	v_and_b32_e32 v30, 0xffffff00, v23
	v_sub_i16 v29, v30, v29 clamp
	v_lshlrev_b16_e32 v30, 8, v23
	v_lshlrev_b16_e32 v22, 8, v22
	v_and_b32_e32 v29, 0xffffff00, v29
	v_sub_i16 v22, v30, v22 clamp
	v_or_b32_sdwa v22, v22, v29 dst_sel:DWORD dst_unused:UNUSED_PAD src0_sel:BYTE_1 src1_sel:DWORD
	v_and_b32_sdwa v29, v23, s33 dst_sel:DWORD dst_unused:UNUSED_PAD src0_sel:WORD_1 src1_sel:DWORD
	v_sub_i16 v5, v29, v5 clamp
	v_lshlrev_b16_sdwa v23, v50, v23 dst_sel:DWORD dst_unused:UNUSED_PAD src0_sel:DWORD src1_sel:WORD_1
	v_lshlrev_b16_e32 v27, 8, v27
	v_and_b32_e32 v5, 0xffffff00, v5
	v_sub_i16 v23, v23, v27 clamp
	v_or_b32_sdwa v5, v23, v5 dst_sel:WORD_1 dst_unused:UNUSED_PAD src0_sel:BYTE_1 src1_sel:DWORD
	v_or_b32_sdwa v24, v24, v26 dst_sel:DWORD dst_unused:UNUSED_PAD src0_sel:WORD_0 src1_sel:DWORD
	v_or_b32_sdwa v5, v22, v5 dst_sel:DWORD dst_unused:UNUSED_PAD src0_sel:WORD_0 src1_sel:DWORD
	v_dot4c_i32_i8_e32 v28, v5, v6
	v_bfe_u32 v5, v15, 7, 8
	v_bcnt_u32_b32 v6, v5, 0
	v_and_b32_e32 v6, 1, v6
	v_lshlrev_b32_e32 v6, 7, v6
	v_xor_b32_e32 v5, v6, v5
	v_mul_lo_u32 v5, v5, s29
	v_and_b32_e32 v6, 0x8000000, v5
	v_lshrrev_b32_e32 v23, 8, v5
	v_lshrrev_b16_e32 v27, 1, v23
	v_cmp_ne_u16_sdwa s[24:25], v6, v9 src0_sel:BYTE_3 src1_sel:DWORD
	v_bfe_i32 v27, v27, 0, 1
	v_lshrrev_b32_e32 v29, 18, v5
	v_cndmask_b32_e64 v6, 0, -1, s[24:25]
	v_bfe_i32 v22, v15, 7, 1
	v_bfe_i32 v29, v29, 0, 1
	v_lshlrev_b16_e32 v27, 8, v27
	v_lshlrev_b16_e32 v6, 8, v6
	v_or_b32_sdwa v30, v22, v27 dst_sel:DWORD dst_unused:UNUSED_PAD src0_sel:BYTE_0 src1_sel:DWORD
	v_or_b32_sdwa v31, v29, v6 dst_sel:WORD_1 dst_unused:UNUSED_PAD src0_sel:BYTE_0 src1_sel:DWORD
	v_lshlrev_b16_e32 v22, 8, v22
	v_or_b32_sdwa v30, v30, v31 dst_sel:DWORD dst_unused:UNUSED_PAD src0_sel:WORD_0 src1_sel:DWORD
	v_xor_b32_e32 v20, v20, v30
	v_and_b32_e32 v30, 0xffffff00, v20
	v_sub_i16 v27, v30, v27 clamp
	v_lshlrev_b16_e32 v30, 8, v20
	v_and_b32_e32 v27, 0xffffff00, v27
	v_sub_i16 v22, v30, v22 clamp
	v_or_b32_sdwa v22, v22, v27 dst_sel:DWORD dst_unused:UNUSED_PAD src0_sel:BYTE_1 src1_sel:DWORD
	v_and_b32_sdwa v27, v20, s33 dst_sel:DWORD dst_unused:UNUSED_PAD src0_sel:WORD_1 src1_sel:DWORD
	v_sub_i16 v6, v27, v6 clamp
	v_lshlrev_b16_sdwa v20, v50, v20 dst_sel:DWORD dst_unused:UNUSED_PAD src0_sel:DWORD src1_sel:WORD_1
	v_lshlrev_b16_e32 v27, 8, v29
	v_and_b32_e32 v6, 0xffffff00, v6
	v_sub_i16 v20, v20, v27 clamp
	v_or_b32_sdwa v6, v20, v6 dst_sel:WORD_1 dst_unused:UNUSED_PAD src0_sel:BYTE_1 src1_sel:DWORD
	v_lshrrev_b16_e32 v20, 5, v23
	v_or_b32_sdwa v6, v22, v6 dst_sel:DWORD dst_unused:UNUSED_PAD src0_sel:WORD_0 src1_sel:DWORD
	v_dot4c_i32_i8_e32 v28, v6, v7
	v_and_b32_e32 v6, 0x80000000, v5
	v_cmp_ne_u16_sdwa s[24:25], v6, v9 src0_sel:BYTE_3 src1_sel:DWORD
	v_bfe_i32 v20, v20, 0, 1
	v_lshrrev_b32_e32 v5, 22, v5
	v_cndmask_b32_e64 v6, 0, -1, s[24:25]
	v_bfe_i32 v7, v15, 11, 1
	v_bfe_i32 v5, v5, 0, 1
	v_lshlrev_b16_e32 v20, 8, v20
	v_lshlrev_b16_e32 v6, 8, v6
	v_or_b32_sdwa v22, v7, v20 dst_sel:DWORD dst_unused:UNUSED_PAD src0_sel:BYTE_0 src1_sel:DWORD
	v_or_b32_sdwa v23, v5, v6 dst_sel:WORD_1 dst_unused:UNUSED_PAD src0_sel:BYTE_0 src1_sel:DWORD
	v_lshlrev_b16_e32 v7, 8, v7
	v_or_b32_sdwa v22, v22, v23 dst_sel:DWORD dst_unused:UNUSED_PAD src0_sel:WORD_0 src1_sel:DWORD
	v_xor_b32_e32 v21, v21, v22
	v_and_b32_e32 v22, 0xffffff00, v21
	v_sub_i16 v20, v22, v20 clamp
	v_lshlrev_b16_e32 v22, 8, v21
	v_and_b32_e32 v20, 0xffffff00, v20
	v_sub_i16 v7, v22, v7 clamp
	v_or_b32_sdwa v7, v7, v20 dst_sel:DWORD dst_unused:UNUSED_PAD src0_sel:BYTE_1 src1_sel:DWORD
	v_and_b32_sdwa v20, v21, s33 dst_sel:DWORD dst_unused:UNUSED_PAD src0_sel:WORD_1 src1_sel:DWORD
	v_sub_i16 v6, v20, v6 clamp
	v_lshlrev_b16_sdwa v20, v50, v21 dst_sel:DWORD dst_unused:UNUSED_PAD src0_sel:DWORD src1_sel:WORD_1
	v_lshlrev_b16_e32 v5, 8, v5
	v_and_b32_e32 v6, 0xffffff00, v6
	v_sub_i16 v5, v20, v5 clamp
	v_and_b32_e32 v26, 0xffff0000, v15
	v_or_b32_sdwa v5, v5, v6 dst_sel:WORD_1 dst_unused:UNUSED_PAD src0_sel:BYTE_1 src1_sel:DWORD
	v_and_or_b32 v26, v15, s31, v26
	v_or_b32_sdwa v5, v7, v5 dst_sel:DWORD dst_unused:UNUSED_PAD src0_sel:WORD_0 src1_sel:DWORD
	v_dot4c_i32_i8_e32 v28, v5, v0
	v_bfe_u32 v0, v26, 14, 8
	v_bcnt_u32_b32 v5, v0, 0
	v_and_b32_e32 v5, 1, v5
	v_lshlrev_b32_e32 v5, 7, v5
	v_xor_b32_e32 v0, v5, v0
	v_mul_lo_u32 v0, v0, s29
	v_and_b32_e32 v5, 0x8000000, v0
	v_lshrrev_b32_e32 v7, 8, v0
	v_lshrrev_b16_e32 v20, 1, v7
	v_cmp_ne_u16_sdwa s[24:25], v5, v9 src0_sel:BYTE_3 src1_sel:DWORD
	v_bfe_i32 v20, v20, 0, 1
	v_lshrrev_b32_e32 v21, 18, v0
	v_cndmask_b32_e64 v5, 0, -1, s[24:25]
	v_bfe_i32 v6, v15, 14, 1
	v_bfe_i32 v21, v21, 0, 1
	v_lshlrev_b16_e32 v5, 8, v5
	v_lshlrev_b16_e32 v20, 8, v20
	v_or_b32_sdwa v22, v21, v5 dst_sel:WORD_1 dst_unused:UNUSED_PAD src0_sel:BYTE_0 src1_sel:DWORD
	v_or_b32_sdwa v23, v6, v20 dst_sel:DWORD dst_unused:UNUSED_PAD src0_sel:BYTE_0 src1_sel:DWORD
	v_or_b32_sdwa v22, v23, v22 dst_sel:DWORD dst_unused:UNUSED_PAD src0_sel:WORD_0 src1_sel:DWORD
	v_xor_b32_e32 v18, v18, v22
	v_and_b32_e32 v22, 0xffffff00, v18
	v_sub_i16 v20, v22, v20 clamp
	v_lshlrev_b16_e32 v22, 8, v18
	v_lshlrev_b16_e32 v6, 8, v6
	v_and_b32_e32 v20, 0xffffff00, v20
	v_sub_i16 v6, v22, v6 clamp
	v_or_b32_sdwa v6, v6, v20 dst_sel:DWORD dst_unused:UNUSED_PAD src0_sel:BYTE_1 src1_sel:DWORD
	v_and_b32_sdwa v20, v18, s33 dst_sel:DWORD dst_unused:UNUSED_PAD src0_sel:WORD_1 src1_sel:DWORD
	v_sub_i16 v5, v20, v5 clamp
	v_lshlrev_b16_sdwa v18, v50, v18 dst_sel:DWORD dst_unused:UNUSED_PAD src0_sel:DWORD src1_sel:WORD_1
	v_lshlrev_b16_e32 v20, 8, v21
	v_dot4c_i32_i8_e32 v36, v24, v51
	v_lshrrev_b32_e32 v24, 27, v25
	v_and_b32_e32 v5, 0xffffff00, v5
	v_sub_i16 v18, v18, v20 clamp
	v_or_b32_e32 v24, 1, v24
	v_or_b32_sdwa v5, v18, v5 dst_sel:WORD_1 dst_unused:UNUSED_PAD src0_sel:BYTE_1 src1_sel:DWORD
	v_mul_lo_u32 v24, v36, v24
	v_or_b32_sdwa v5, v6, v5 dst_sel:DWORD dst_unused:UNUSED_PAD src0_sel:WORD_0 src1_sel:DWORD
	v_ashrrev_i32_e32 v25, 31, v24
	v_dot4c_i32_i8_e32 v28, v5, v1
	v_and_b32_e32 v1, 0x80000000, v0
	v_lshrrev_b32_e32 v25, 29, v25
	v_lshrrev_b16_e32 v6, 5, v7
	v_cmp_ne_u16_sdwa s[24:25], v1, v9 src0_sel:BYTE_3 src1_sel:DWORD
	v_add_u32_e32 v24, v24, v25
	v_lshrrev_b32_e32 v25, 16, v15
	v_bfe_i32 v6, v6, 0, 1
	v_lshrrev_b32_e32 v0, 22, v0
	v_cndmask_b32_e64 v1, 0, -1, s[24:25]
	v_bfe_i32 v5, v25, 2, 1
	v_bfe_i32 v0, v0, 0, 1
	v_lshlrev_b16_e32 v1, 8, v1
	v_lshlrev_b16_e32 v6, 8, v6
	v_or_b32_sdwa v7, v0, v1 dst_sel:WORD_1 dst_unused:UNUSED_PAD src0_sel:BYTE_0 src1_sel:DWORD
	v_or_b32_sdwa v18, v5, v6 dst_sel:DWORD dst_unused:UNUSED_PAD src0_sel:BYTE_0 src1_sel:DWORD
	v_or_b32_sdwa v7, v18, v7 dst_sel:DWORD dst_unused:UNUSED_PAD src0_sel:WORD_0 src1_sel:DWORD
	v_xor_b32_e32 v7, v19, v7
	v_and_b32_e32 v18, 0xffffff00, v7
	v_sub_i16 v6, v18, v6 clamp
	v_lshlrev_b16_e32 v18, 8, v7
	v_lshlrev_b16_e32 v5, 8, v5
	v_and_b32_e32 v6, 0xffffff00, v6
	v_sub_i16 v5, v18, v5 clamp
	v_or_b32_sdwa v5, v5, v6 dst_sel:DWORD dst_unused:UNUSED_PAD src0_sel:BYTE_1 src1_sel:DWORD
	v_and_b32_sdwa v6, v7, s33 dst_sel:DWORD dst_unused:UNUSED_PAD src0_sel:WORD_1 src1_sel:DWORD
	v_sub_i16 v1, v6, v1 clamp
	v_lshlrev_b16_sdwa v6, v50, v7 dst_sel:DWORD dst_unused:UNUSED_PAD src0_sel:DWORD src1_sel:WORD_1
	v_lshlrev_b16_e32 v0, 8, v0
	v_and_b32_e32 v1, 0xffffff00, v1
	v_sub_i16 v0, v6, v0 clamp
	v_or_b32_sdwa v0, v0, v1 dst_sel:WORD_1 dst_unused:UNUSED_PAD src0_sel:BYTE_1 src1_sel:DWORD
	v_ashrrev_i32_e32 v24, 3, v24
	v_or_b32_sdwa v0, v5, v0 dst_sel:DWORD dst_unused:UNUSED_PAD src0_sel:WORD_0 src1_sel:DWORD
	v_dot4c_i32_i8_e32 v28, v0, v2
	v_bfe_u32 v0, v15, 21, 8
	v_bcnt_u32_b32 v1, v0, 0
	v_and_b32_e32 v1, 1, v1
	v_lshlrev_b32_e32 v1, 7, v1
	v_xor_b32_e32 v0, v1, v0
	v_mul_lo_u32 v0, v0, s29
	v_and_b32_e32 v1, 0x8000000, v0
	v_lshrrev_b32_e32 v5, 8, v0
	v_lshrrev_b16_e32 v6, 1, v5
	v_cmp_ne_u16_sdwa s[24:25], v1, v9 src0_sel:BYTE_3 src1_sel:DWORD
	v_bfe_i32 v6, v6, 0, 1
	v_lshrrev_b32_e32 v7, 18, v0
	v_cndmask_b32_e64 v1, 0, -1, s[24:25]
	v_bfe_i32 v2, v25, 5, 1
	v_bfe_i32 v7, v7, 0, 1
	v_lshlrev_b16_e32 v6, 8, v6
	v_lshlrev_b16_e32 v1, 8, v1
	v_or_b32_sdwa v18, v2, v6 dst_sel:DWORD dst_unused:UNUSED_PAD src0_sel:BYTE_0 src1_sel:DWORD
	v_or_b32_sdwa v19, v7, v1 dst_sel:WORD_1 dst_unused:UNUSED_PAD src0_sel:BYTE_0 src1_sel:DWORD
	v_lshlrev_b16_e32 v2, 8, v2
	v_or_b32_sdwa v18, v18, v19 dst_sel:DWORD dst_unused:UNUSED_PAD src0_sel:WORD_0 src1_sel:DWORD
	v_xor_b32_e32 v16, v16, v18
	v_and_b32_e32 v18, 0xffffff00, v16
	v_sub_i16 v6, v18, v6 clamp
	v_lshlrev_b16_e32 v18, 8, v16
	v_and_b32_e32 v6, 0xffffff00, v6
	v_sub_i16 v2, v18, v2 clamp
	v_or_b32_sdwa v2, v2, v6 dst_sel:DWORD dst_unused:UNUSED_PAD src0_sel:BYTE_1 src1_sel:DWORD
	v_and_b32_sdwa v6, v16, s33 dst_sel:DWORD dst_unused:UNUSED_PAD src0_sel:WORD_1 src1_sel:DWORD
	v_sub_i16 v1, v6, v1 clamp
	v_lshlrev_b16_sdwa v6, v50, v16 dst_sel:DWORD dst_unused:UNUSED_PAD src0_sel:DWORD src1_sel:WORD_1
	v_lshlrev_b16_e32 v7, 8, v7
	v_and_b32_e32 v1, 0xffffff00, v1
	v_sub_i16 v6, v6, v7 clamp
	v_or_b32_sdwa v1, v6, v1 dst_sel:WORD_1 dst_unused:UNUSED_PAD src0_sel:BYTE_1 src1_sel:DWORD
	v_cvt_f32_f16_e32 v14, v14
	v_or_b32_sdwa v1, v2, v1 dst_sel:DWORD dst_unused:UNUSED_PAD src0_sel:WORD_0 src1_sel:DWORD
	v_dot4c_i32_i8_e32 v28, v1, v3
	v_and_b32_e32 v1, 0x80000000, v0
	v_lshrrev_b16_e32 v3, 5, v5
	v_cmp_ne_u16_sdwa s[24:25], v1, v9 src0_sel:BYTE_3 src1_sel:DWORD
	v_bfe_i32 v3, v3, 0, 1
	v_lshrrev_b32_e32 v0, 22, v0
	v_cndmask_b32_e64 v1, 0, -1, s[24:25]
	v_bfe_i32 v2, v25, 9, 1
	v_bfe_i32 v0, v0, 0, 1
	v_lshlrev_b16_e32 v3, 8, v3
	v_lshlrev_b16_e32 v1, 8, v1
	v_or_b32_sdwa v5, v2, v3 dst_sel:DWORD dst_unused:UNUSED_PAD src0_sel:BYTE_0 src1_sel:DWORD
	v_or_b32_sdwa v6, v0, v1 dst_sel:WORD_1 dst_unused:UNUSED_PAD src0_sel:BYTE_0 src1_sel:DWORD
	v_lshlrev_b16_e32 v2, 8, v2
	v_or_b32_sdwa v5, v5, v6 dst_sel:DWORD dst_unused:UNUSED_PAD src0_sel:WORD_0 src1_sel:DWORD
	v_xor_b32_e32 v5, v17, v5
	v_and_b32_e32 v6, 0xffffff00, v5
	v_sub_i16 v3, v6, v3 clamp
	v_lshlrev_b16_e32 v6, 8, v5
	v_and_b32_e32 v3, 0xffffff00, v3
	v_sub_i16 v2, v6, v2 clamp
	v_or_b32_sdwa v2, v2, v3 dst_sel:DWORD dst_unused:UNUSED_PAD src0_sel:BYTE_1 src1_sel:DWORD
	v_and_b32_sdwa v3, v5, s33 dst_sel:DWORD dst_unused:UNUSED_PAD src0_sel:WORD_1 src1_sel:DWORD
	v_sub_i16 v1, v3, v1 clamp
	v_lshlrev_b16_sdwa v3, v50, v5 dst_sel:DWORD dst_unused:UNUSED_PAD src0_sel:DWORD src1_sel:WORD_1
	v_lshlrev_b16_e32 v0, 8, v0
	v_and_b32_e32 v1, 0xffffff00, v1
	v_sub_i16 v0, v3, v0 clamp
	v_or_b32_sdwa v0, v0, v1 dst_sel:WORD_1 dst_unused:UNUSED_PAD src0_sel:BYTE_1 src1_sel:DWORD
	v_cvt_f32_i32_e32 v24, v24
	v_or_b32_sdwa v0, v2, v0 dst_sel:DWORD dst_unused:UNUSED_PAD src0_sel:WORD_0 src1_sel:DWORD
	v_dot4c_i32_i8_e32 v28, v0, v51
	v_lshrrev_b32_e32 v0, 27, v15
	v_or_b32_e32 v0, 1, v0
	v_add_u32_e32 v44, 16, v44
	v_mul_lo_u32 v0, v28, v0
	v_ashrrev_i32_e32 v1, 31, v0
	v_lshrrev_b32_e32 v1, 29, v1
	v_add_u32_e32 v0, v0, v1
	v_ashrrev_i32_e32 v0, 3, v0
	v_cvt_f32_f16_e32 v1, v52
	v_cvt_f32_i32_e32 v0, v0
	v_mul_f32_e32 v2, v14, v4
	v_cmp_le_u32_e32 vcc, s15, v44
	v_mul_f32_e32 v1, v1, v4
	v_fmac_f32_e32 v45, v2, v24
	v_fmac_f32_e32 v48, v1, v0
	s_or_b64 s[12:13], vcc, s[12:13]
	v_lshl_add_u64 v[10:11], v[10:11], 0, s[18:19]
	s_andn2_b64 exec, exec, s[12:13]
	s_cbranch_execz .LBB157_22
.LBB157_18:                             ; =>This Inner Loop Header: Depth=1
	v_add_u32_e32 v24, s21, v44
	v_mad_i64_i32 v[16:17], s[24:25], v24, s28, v[12:13]
	v_lshl_add_u64 v[18:19], v[16:17], 0, v[8:9]
	global_load_dwordx2 v[14:15], v[18:19], off offset:2
	global_load_dwordx4 v[4:7], v[10:11], off offset:-16
	global_load_dwordx4 v[0:3], v[10:11], off
	global_load_dword v51, v[10:11], off offset:16
	s_getpc_b64 s[24:25]
	s_add_u32 s24, s24, _ZL11iq2xxs_grid@rel32@lo+4
	s_addc_u32 s25, s25, _ZL11iq2xxs_grid@rel32@hi+12
	global_load_ushort v52, v[16:17], off
	s_and_b64 vcc, exec, s[10:11]
	s_waitcnt vmcnt(4)
	v_lshlrev_b32_sdwa v25, v49, v14 dst_sel:DWORD dst_unused:UNUSED_PAD src0_sel:DWORD src1_sel:BYTE_0
	v_lshlrev_b32_sdwa v26, v49, v14 dst_sel:DWORD dst_unused:UNUSED_PAD src0_sel:DWORD src1_sel:BYTE_1
	v_lshlrev_b32_sdwa v27, v49, v14 dst_sel:DWORD dst_unused:UNUSED_PAD src0_sel:DWORD src1_sel:BYTE_2
	v_lshlrev_b32_sdwa v14, v49, v14 dst_sel:DWORD dst_unused:UNUSED_PAD src0_sel:DWORD src1_sel:BYTE_3
	global_load_dwordx2 v[22:23], v25, s[24:25]
	global_load_dwordx2 v[20:21], v26, s[24:25]
	;; [unrolled: 1-line block ×4, first 2 shown]
	s_waitcnt vmcnt(7)
	v_cvt_f32_f16_e32 v4, v4
	s_cbranch_vccnz .LBB157_20
; %bb.19:                               ;   in Loop: Header=BB157_18 Depth=1
	v_mov_b64_e32 v[26:27], s[36:37]
	v_mad_i64_i32 v[24:25], s[34:35], v24, s28, v[26:27]
	v_lshl_add_u64 v[26:27], v[24:25], 0, v[8:9]
	global_load_dwordx2 v[26:27], v[26:27], off offset:2
	s_nop 0
	global_load_ushort v24, v[24:25], off
	s_waitcnt vmcnt(1)
	v_lshlrev_b32_sdwa v14, v49, v26 dst_sel:DWORD dst_unused:UNUSED_PAD src0_sel:DWORD src1_sel:BYTE_0
	global_load_dwordx2 v[28:29], v14, s[24:25]
	v_and_b32_e32 v14, 0xff, v27
	v_bcnt_u32_b32 v30, v14, 0
	v_and_b32_e32 v30, 1, v30
	v_lshlrev_b32_e32 v30, 7, v30
	v_xor_b32_e32 v14, v30, v14
	v_mul_lo_u32 v14, v14, s29
	v_and_b32_e32 v30, 0x8000000, v14
	v_lshrrev_b32_e32 v32, 8, v14
	v_lshrrev_b16_e32 v33, 1, v32
	v_cmp_ne_u16_sdwa s[34:35], v30, v9 src0_sel:BYTE_3 src1_sel:DWORD
	v_and_b32_e32 v31, 1, v27
	v_bfe_i32 v33, v33, 0, 1
	v_lshrrev_b32_e32 v34, 18, v14
	v_cndmask_b32_e64 v30, 0, -1, s[34:35]
	v_sub_u16_e32 v31, 0, v31
	v_bfe_i32 v34, v34, 0, 1
	v_lshlrev_b16_e32 v30, 8, v30
	v_lshlrev_b16_e32 v33, 8, v33
	v_or_b32_sdwa v35, v34, v30 dst_sel:WORD_1 dst_unused:UNUSED_PAD src0_sel:BYTE_0 src1_sel:DWORD
	v_or_b32_sdwa v36, v31, v33 dst_sel:DWORD dst_unused:UNUSED_PAD src0_sel:BYTE_0 src1_sel:DWORD
	v_or_b32_sdwa v35, v36, v35 dst_sel:DWORD dst_unused:UNUSED_PAD src0_sel:WORD_0 src1_sel:DWORD
	v_lshlrev_b16_e32 v31, 8, v31
	v_lshrrev_b16_e32 v32, 5, v32
	v_bfe_i32 v32, v32, 0, 1
	v_lshlrev_b16_e32 v32, 8, v32
	s_waitcnt vmcnt(1)
	v_cvt_f32_f16_e32 v24, v24
	v_mul_f32_e32 v24, v4, v24
	s_waitcnt vmcnt(0)
	v_xor_b32_e32 v28, v28, v35
	v_and_b32_e32 v35, 0xffffff00, v28
	v_sub_i16 v33, v35, v33 clamp
	v_lshlrev_b16_e32 v35, 8, v28
	v_and_b32_e32 v33, 0xffffff00, v33
	v_sub_i16 v31, v35, v31 clamp
	v_or_b32_sdwa v31, v31, v33 dst_sel:DWORD dst_unused:UNUSED_PAD src0_sel:BYTE_1 src1_sel:DWORD
	v_and_b32_sdwa v33, v28, s33 dst_sel:DWORD dst_unused:UNUSED_PAD src0_sel:WORD_1 src1_sel:DWORD
	v_sub_i16 v30, v33, v30 clamp
	v_lshlrev_b16_sdwa v28, v50, v28 dst_sel:DWORD dst_unused:UNUSED_PAD src0_sel:DWORD src1_sel:WORD_1
	v_lshlrev_b16_e32 v33, 8, v34
	v_and_b32_e32 v30, 0xffffff00, v30
	v_sub_i16 v28, v28, v33 clamp
	v_or_b32_sdwa v28, v28, v30 dst_sel:WORD_1 dst_unused:UNUSED_PAD src0_sel:BYTE_1 src1_sel:DWORD
	v_mov_b32_e32 v30, v9
	v_or_b32_sdwa v28, v31, v28 dst_sel:DWORD dst_unused:UNUSED_PAD src0_sel:WORD_0 src1_sel:DWORD
	v_dot4c_i32_i8_e32 v30, v28, v5
	v_and_b32_e32 v28, 0x80000000, v14
	v_cmp_ne_u16_sdwa s[34:35], v28, v9 src0_sel:BYTE_3 src1_sel:DWORD
	v_lshrrev_b32_e32 v14, 22, v14
	v_bfe_i32 v31, v27, 4, 1
	v_cndmask_b32_e64 v28, 0, -1, s[34:35]
	v_bfe_i32 v14, v14, 0, 1
	v_lshlrev_b16_e32 v28, 8, v28
	v_or_b32_sdwa v33, v14, v28 dst_sel:WORD_1 dst_unused:UNUSED_PAD src0_sel:BYTE_0 src1_sel:DWORD
	v_or_b32_sdwa v34, v31, v32 dst_sel:DWORD dst_unused:UNUSED_PAD src0_sel:BYTE_0 src1_sel:DWORD
	v_or_b32_sdwa v33, v34, v33 dst_sel:DWORD dst_unused:UNUSED_PAD src0_sel:WORD_0 src1_sel:DWORD
	v_xor_b32_e32 v29, v29, v33
	v_and_b32_e32 v33, 0xffffff00, v29
	v_sub_i16 v32, v33, v32 clamp
	v_lshlrev_b16_e32 v33, 8, v29
	v_lshlrev_b16_e32 v31, 8, v31
	v_and_b32_e32 v32, 0xffffff00, v32
	v_sub_i16 v31, v33, v31 clamp
	v_or_b32_sdwa v31, v31, v32 dst_sel:DWORD dst_unused:UNUSED_PAD src0_sel:BYTE_1 src1_sel:DWORD
	v_and_b32_sdwa v32, v29, s33 dst_sel:DWORD dst_unused:UNUSED_PAD src0_sel:WORD_1 src1_sel:DWORD
	v_sub_i16 v28, v32, v28 clamp
	v_lshlrev_b16_sdwa v29, v50, v29 dst_sel:DWORD dst_unused:UNUSED_PAD src0_sel:DWORD src1_sel:WORD_1
	v_lshlrev_b16_e32 v14, 8, v14
	v_and_b32_e32 v28, 0xffffff00, v28
	v_sub_i16 v14, v29, v14 clamp
	v_or_b32_sdwa v14, v14, v28 dst_sel:WORD_1 dst_unused:UNUSED_PAD src0_sel:BYTE_1 src1_sel:DWORD
	v_bfe_i32 v32, v27, 7, 1
	v_or_b32_sdwa v14, v31, v14 dst_sel:DWORD dst_unused:UNUSED_PAD src0_sel:WORD_0 src1_sel:DWORD
	v_dot4c_i32_i8_e32 v30, v14, v6
	v_lshlrev_b32_sdwa v14, v49, v26 dst_sel:DWORD dst_unused:UNUSED_PAD src0_sel:DWORD src1_sel:BYTE_1
	global_load_dwordx2 v[28:29], v14, s[24:25]
	v_bfe_u32 v14, v27, 7, 8
	v_bcnt_u32_b32 v31, v14, 0
	v_and_b32_e32 v31, 1, v31
	v_lshlrev_b32_e32 v31, 7, v31
	v_xor_b32_e32 v14, v31, v14
	v_mul_lo_u32 v14, v14, s29
	v_and_b32_e32 v31, 0x8000000, v14
	v_lshrrev_b32_e32 v33, 8, v14
	v_lshrrev_b16_e32 v34, 1, v33
	v_cmp_ne_u16_sdwa s[34:35], v31, v9 src0_sel:BYTE_3 src1_sel:DWORD
	v_bfe_i32 v34, v34, 0, 1
	v_lshrrev_b32_e32 v35, 18, v14
	v_cndmask_b32_e64 v31, 0, -1, s[34:35]
	v_bfe_i32 v35, v35, 0, 1
	v_lshlrev_b16_e32 v31, 8, v31
	v_lshlrev_b16_e32 v34, 8, v34
	v_or_b32_sdwa v36, v35, v31 dst_sel:WORD_1 dst_unused:UNUSED_PAD src0_sel:BYTE_0 src1_sel:DWORD
	v_or_b32_sdwa v37, v32, v34 dst_sel:DWORD dst_unused:UNUSED_PAD src0_sel:BYTE_0 src1_sel:DWORD
	v_or_b32_sdwa v36, v37, v36 dst_sel:DWORD dst_unused:UNUSED_PAD src0_sel:WORD_0 src1_sel:DWORD
	v_lshlrev_b16_e32 v32, 8, v32
	s_waitcnt vmcnt(0)
	v_xor_b32_e32 v28, v28, v36
	v_and_b32_e32 v36, 0xffffff00, v28
	v_sub_i16 v34, v36, v34 clamp
	v_lshlrev_b16_e32 v36, 8, v28
	v_and_b32_e32 v34, 0xffffff00, v34
	v_sub_i16 v32, v36, v32 clamp
	v_or_b32_sdwa v32, v32, v34 dst_sel:DWORD dst_unused:UNUSED_PAD src0_sel:BYTE_1 src1_sel:DWORD
	v_and_b32_sdwa v34, v28, s33 dst_sel:DWORD dst_unused:UNUSED_PAD src0_sel:WORD_1 src1_sel:DWORD
	v_sub_i16 v31, v34, v31 clamp
	v_lshlrev_b16_sdwa v28, v50, v28 dst_sel:DWORD dst_unused:UNUSED_PAD src0_sel:DWORD src1_sel:WORD_1
	v_lshlrev_b16_e32 v34, 8, v35
	v_and_b32_e32 v31, 0xffffff00, v31
	v_sub_i16 v28, v28, v34 clamp
	v_or_b32_sdwa v28, v28, v31 dst_sel:WORD_1 dst_unused:UNUSED_PAD src0_sel:BYTE_1 src1_sel:DWORD
	v_bfe_i32 v31, v27, 11, 1
	v_or_b32_sdwa v28, v32, v28 dst_sel:DWORD dst_unused:UNUSED_PAD src0_sel:WORD_0 src1_sel:DWORD
	v_dot4c_i32_i8_e32 v30, v28, v7
	v_and_b32_e32 v28, 0x80000000, v14
	v_lshrrev_b16_e32 v32, 5, v33
	v_cmp_ne_u16_sdwa s[34:35], v28, v9 src0_sel:BYTE_3 src1_sel:DWORD
	v_bfe_i32 v32, v32, 0, 1
	v_lshrrev_b32_e32 v14, 22, v14
	v_cndmask_b32_e64 v28, 0, -1, s[34:35]
	v_bfe_i32 v14, v14, 0, 1
	v_lshlrev_b16_e32 v28, 8, v28
	v_lshlrev_b16_e32 v32, 8, v32
	v_or_b32_sdwa v33, v14, v28 dst_sel:WORD_1 dst_unused:UNUSED_PAD src0_sel:BYTE_0 src1_sel:DWORD
	v_or_b32_sdwa v34, v31, v32 dst_sel:DWORD dst_unused:UNUSED_PAD src0_sel:BYTE_0 src1_sel:DWORD
	v_or_b32_sdwa v33, v34, v33 dst_sel:DWORD dst_unused:UNUSED_PAD src0_sel:WORD_0 src1_sel:DWORD
	v_xor_b32_e32 v29, v29, v33
	v_and_b32_e32 v33, 0xffffff00, v29
	v_sub_i16 v32, v33, v32 clamp
	v_lshlrev_b16_e32 v33, 8, v29
	v_lshlrev_b16_e32 v31, 8, v31
	v_and_b32_e32 v32, 0xffffff00, v32
	v_sub_i16 v31, v33, v31 clamp
	v_or_b32_sdwa v31, v31, v32 dst_sel:DWORD dst_unused:UNUSED_PAD src0_sel:BYTE_1 src1_sel:DWORD
	v_and_b32_sdwa v32, v29, s33 dst_sel:DWORD dst_unused:UNUSED_PAD src0_sel:WORD_1 src1_sel:DWORD
	v_sub_i16 v28, v32, v28 clamp
	v_lshlrev_b16_sdwa v29, v50, v29 dst_sel:DWORD dst_unused:UNUSED_PAD src0_sel:DWORD src1_sel:WORD_1
	v_lshlrev_b16_e32 v14, 8, v14
	v_and_b32_e32 v28, 0xffffff00, v28
	v_sub_i16 v14, v29, v14 clamp
	v_or_b32_sdwa v14, v14, v28 dst_sel:WORD_1 dst_unused:UNUSED_PAD src0_sel:BYTE_1 src1_sel:DWORD
	v_bfe_i32 v32, v27, 14, 1
	v_or_b32_sdwa v14, v31, v14 dst_sel:DWORD dst_unused:UNUSED_PAD src0_sel:WORD_0 src1_sel:DWORD
	v_dot4c_i32_i8_e32 v30, v14, v0
	v_lshlrev_b32_sdwa v14, v49, v26 dst_sel:DWORD dst_unused:UNUSED_PAD src0_sel:DWORD src1_sel:BYTE_2
	global_load_dwordx2 v[28:29], v14, s[24:25]
	v_bfe_u32 v14, v27, 14, 8
	v_bcnt_u32_b32 v31, v14, 0
	v_and_b32_e32 v31, 1, v31
	v_lshlrev_b32_e32 v31, 7, v31
	v_xor_b32_e32 v14, v31, v14
	v_mul_lo_u32 v14, v14, s29
	v_and_b32_e32 v31, 0x8000000, v14
	v_lshrrev_b32_e32 v33, 8, v14
	v_lshrrev_b16_e32 v34, 1, v33
	v_cmp_ne_u16_sdwa s[34:35], v31, v9 src0_sel:BYTE_3 src1_sel:DWORD
	v_bfe_i32 v34, v34, 0, 1
	v_lshrrev_b32_e32 v35, 18, v14
	v_cndmask_b32_e64 v31, 0, -1, s[34:35]
	v_bfe_i32 v35, v35, 0, 1
	v_lshlrev_b16_e32 v31, 8, v31
	v_lshlrev_b16_e32 v34, 8, v34
	v_or_b32_sdwa v36, v35, v31 dst_sel:WORD_1 dst_unused:UNUSED_PAD src0_sel:BYTE_0 src1_sel:DWORD
	v_or_b32_sdwa v37, v32, v34 dst_sel:DWORD dst_unused:UNUSED_PAD src0_sel:BYTE_0 src1_sel:DWORD
	v_or_b32_sdwa v36, v37, v36 dst_sel:DWORD dst_unused:UNUSED_PAD src0_sel:WORD_0 src1_sel:DWORD
	v_lshlrev_b16_e32 v32, 8, v32
	s_waitcnt vmcnt(0)
	v_xor_b32_e32 v28, v28, v36
	v_and_b32_e32 v36, 0xffffff00, v28
	v_sub_i16 v34, v36, v34 clamp
	v_lshlrev_b16_e32 v36, 8, v28
	v_and_b32_e32 v34, 0xffffff00, v34
	v_sub_i16 v32, v36, v32 clamp
	v_or_b32_sdwa v32, v32, v34 dst_sel:DWORD dst_unused:UNUSED_PAD src0_sel:BYTE_1 src1_sel:DWORD
	v_and_b32_sdwa v34, v28, s33 dst_sel:DWORD dst_unused:UNUSED_PAD src0_sel:WORD_1 src1_sel:DWORD
	v_sub_i16 v31, v34, v31 clamp
	v_lshlrev_b16_sdwa v28, v50, v28 dst_sel:DWORD dst_unused:UNUSED_PAD src0_sel:DWORD src1_sel:WORD_1
	v_lshlrev_b16_e32 v34, 8, v35
	v_and_b32_e32 v31, 0xffffff00, v31
	v_sub_i16 v28, v28, v34 clamp
	v_or_b32_sdwa v28, v28, v31 dst_sel:WORD_1 dst_unused:UNUSED_PAD src0_sel:BYTE_1 src1_sel:DWORD
	v_bfe_i32 v31, v27, 18, 1
	v_or_b32_sdwa v28, v32, v28 dst_sel:DWORD dst_unused:UNUSED_PAD src0_sel:WORD_0 src1_sel:DWORD
	v_dot4c_i32_i8_e32 v30, v28, v1
	v_and_b32_e32 v28, 0x80000000, v14
	v_lshrrev_b16_e32 v32, 5, v33
	v_cmp_ne_u16_sdwa s[34:35], v28, v9 src0_sel:BYTE_3 src1_sel:DWORD
	v_bfe_i32 v32, v32, 0, 1
	v_lshrrev_b32_e32 v14, 22, v14
	v_cndmask_b32_e64 v28, 0, -1, s[34:35]
	v_bfe_i32 v14, v14, 0, 1
	v_lshlrev_b16_e32 v28, 8, v28
	v_lshlrev_b16_e32 v32, 8, v32
	v_or_b32_sdwa v33, v14, v28 dst_sel:WORD_1 dst_unused:UNUSED_PAD src0_sel:BYTE_0 src1_sel:DWORD
	v_or_b32_sdwa v34, v31, v32 dst_sel:DWORD dst_unused:UNUSED_PAD src0_sel:BYTE_0 src1_sel:DWORD
	v_or_b32_sdwa v33, v34, v33 dst_sel:DWORD dst_unused:UNUSED_PAD src0_sel:WORD_0 src1_sel:DWORD
	v_xor_b32_e32 v29, v29, v33
	v_and_b32_e32 v33, 0xffffff00, v29
	v_sub_i16 v32, v33, v32 clamp
	v_lshlrev_b16_e32 v33, 8, v29
	v_lshlrev_b16_e32 v31, 8, v31
	v_and_b32_e32 v32, 0xffffff00, v32
	v_sub_i16 v31, v33, v31 clamp
	v_or_b32_sdwa v31, v31, v32 dst_sel:DWORD dst_unused:UNUSED_PAD src0_sel:BYTE_1 src1_sel:DWORD
	v_and_b32_sdwa v32, v29, s33 dst_sel:DWORD dst_unused:UNUSED_PAD src0_sel:WORD_1 src1_sel:DWORD
	v_sub_i16 v28, v32, v28 clamp
	v_lshlrev_b16_sdwa v29, v50, v29 dst_sel:DWORD dst_unused:UNUSED_PAD src0_sel:DWORD src1_sel:WORD_1
	v_lshlrev_b16_e32 v14, 8, v14
	v_and_b32_e32 v28, 0xffffff00, v28
	v_sub_i16 v14, v29, v14 clamp
	v_or_b32_sdwa v14, v14, v28 dst_sel:WORD_1 dst_unused:UNUSED_PAD src0_sel:BYTE_1 src1_sel:DWORD
	s_nop 0
	v_or_b32_sdwa v14, v31, v14 dst_sel:DWORD dst_unused:UNUSED_PAD src0_sel:WORD_0 src1_sel:DWORD
	v_dot4c_i32_i8_e32 v30, v14, v2
	v_lshlrev_b32_sdwa v14, v49, v26 dst_sel:DWORD dst_unused:UNUSED_PAD src0_sel:DWORD src1_sel:BYTE_3
	global_load_dwordx2 v[28:29], v14, s[24:25]
	v_bfe_u32 v14, v27, 21, 8
	v_bcnt_u32_b32 v26, v14, 0
	v_and_b32_e32 v26, 1, v26
	v_lshlrev_b32_e32 v26, 7, v26
	v_xor_b32_e32 v14, v26, v14
	v_mul_lo_u32 v14, v14, s29
	v_and_b32_e32 v26, 0x8000000, v14
	v_lshrrev_b32_e32 v32, 8, v14
	v_lshrrev_b16_e32 v33, 1, v32
	v_cmp_ne_u16_sdwa s[34:35], v26, v9 src0_sel:BYTE_3 src1_sel:DWORD
	v_bfe_i32 v33, v33, 0, 1
	v_lshrrev_b32_e32 v34, 18, v14
	v_cndmask_b32_e64 v26, 0, -1, s[34:35]
	v_bfe_i32 v31, v27, 21, 1
	v_bfe_i32 v34, v34, 0, 1
	v_lshlrev_b16_e32 v26, 8, v26
	v_lshlrev_b16_e32 v33, 8, v33
	v_or_b32_sdwa v35, v34, v26 dst_sel:WORD_1 dst_unused:UNUSED_PAD src0_sel:BYTE_0 src1_sel:DWORD
	v_or_b32_sdwa v36, v31, v33 dst_sel:DWORD dst_unused:UNUSED_PAD src0_sel:BYTE_0 src1_sel:DWORD
	v_or_b32_sdwa v35, v36, v35 dst_sel:DWORD dst_unused:UNUSED_PAD src0_sel:WORD_0 src1_sel:DWORD
	v_lshlrev_b16_e32 v31, 8, v31
	s_waitcnt vmcnt(0)
	v_xor_b32_e32 v28, v28, v35
	v_and_b32_e32 v35, 0xffffff00, v28
	v_sub_i16 v33, v35, v33 clamp
	v_lshlrev_b16_e32 v35, 8, v28
	v_and_b32_e32 v33, 0xffffff00, v33
	v_sub_i16 v31, v35, v31 clamp
	v_or_b32_sdwa v31, v31, v33 dst_sel:DWORD dst_unused:UNUSED_PAD src0_sel:BYTE_1 src1_sel:DWORD
	v_and_b32_sdwa v33, v28, s33 dst_sel:DWORD dst_unused:UNUSED_PAD src0_sel:WORD_1 src1_sel:DWORD
	v_sub_i16 v26, v33, v26 clamp
	v_lshlrev_b16_sdwa v28, v50, v28 dst_sel:DWORD dst_unused:UNUSED_PAD src0_sel:DWORD src1_sel:WORD_1
	v_lshlrev_b16_e32 v33, 8, v34
	v_and_b32_e32 v26, 0xffffff00, v26
	v_sub_i16 v28, v28, v33 clamp
	v_or_b32_sdwa v26, v28, v26 dst_sel:WORD_1 dst_unused:UNUSED_PAD src0_sel:BYTE_1 src1_sel:DWORD
	v_bfe_i32 v28, v27, 25, 1
	v_or_b32_sdwa v26, v31, v26 dst_sel:DWORD dst_unused:UNUSED_PAD src0_sel:WORD_0 src1_sel:DWORD
	v_dot4c_i32_i8_e32 v30, v26, v3
	v_and_b32_e32 v26, 0x80000000, v14
	v_lshrrev_b16_e32 v31, 5, v32
	v_cmp_ne_u16_sdwa s[34:35], v26, v9 src0_sel:BYTE_3 src1_sel:DWORD
	v_bfe_i32 v31, v31, 0, 1
	v_lshrrev_b32_e32 v14, 22, v14
	v_cndmask_b32_e64 v26, 0, -1, s[34:35]
	v_bfe_i32 v14, v14, 0, 1
	v_lshlrev_b16_e32 v26, 8, v26
	v_lshlrev_b16_e32 v31, 8, v31
	v_or_b32_sdwa v32, v14, v26 dst_sel:WORD_1 dst_unused:UNUSED_PAD src0_sel:BYTE_0 src1_sel:DWORD
	v_or_b32_sdwa v33, v28, v31 dst_sel:DWORD dst_unused:UNUSED_PAD src0_sel:BYTE_0 src1_sel:DWORD
	v_or_b32_sdwa v32, v33, v32 dst_sel:DWORD dst_unused:UNUSED_PAD src0_sel:WORD_0 src1_sel:DWORD
	v_xor_b32_e32 v29, v29, v32
	v_and_b32_e32 v32, 0xffffff00, v29
	v_sub_i16 v31, v32, v31 clamp
	v_lshlrev_b16_e32 v32, 8, v29
	v_lshlrev_b16_e32 v28, 8, v28
	v_and_b32_e32 v31, 0xffffff00, v31
	v_sub_i16 v28, v32, v28 clamp
	v_or_b32_sdwa v28, v28, v31 dst_sel:DWORD dst_unused:UNUSED_PAD src0_sel:BYTE_1 src1_sel:DWORD
	v_and_b32_sdwa v31, v29, s33 dst_sel:DWORD dst_unused:UNUSED_PAD src0_sel:WORD_1 src1_sel:DWORD
	v_sub_i16 v26, v31, v26 clamp
	v_lshlrev_b16_sdwa v29, v50, v29 dst_sel:DWORD dst_unused:UNUSED_PAD src0_sel:DWORD src1_sel:WORD_1
	v_lshlrev_b16_e32 v14, 8, v14
	v_and_b32_e32 v26, 0xffffff00, v26
	v_sub_i16 v14, v29, v14 clamp
	v_or_b32_sdwa v14, v14, v26 dst_sel:WORD_1 dst_unused:UNUSED_PAD src0_sel:BYTE_1 src1_sel:DWORD
	s_nop 0
	v_or_b32_sdwa v14, v28, v14 dst_sel:DWORD dst_unused:UNUSED_PAD src0_sel:WORD_0 src1_sel:DWORD
	v_dot4c_i32_i8_e32 v30, v14, v51
	v_lshrrev_b32_e32 v14, 27, v27
	v_or_b32_e32 v14, 1, v14
	s_nop 0
	v_mul_lo_u32 v14, v30, v14
	v_ashrrev_i32_e32 v26, 31, v14
	v_lshrrev_b32_e32 v26, 29, v26
	v_add_u32_e32 v14, v14, v26
	v_ashrrev_i32_e32 v14, 3, v14
	v_cvt_f32_i32_e32 v14, v14
	v_fmac_f32_e32 v47, v24, v14
.LBB157_20:                             ;   in Loop: Header=BB157_18 Depth=1
	v_add_u32_e32 v34, s27, v44
	v_mov_b64_e32 v[24:25], s[16:17]
	v_mad_i64_i32 v[26:27], s[34:35], v34, s28, v[24:25]
	v_lshl_add_u64 v[28:29], v[26:27], 0, v[8:9]
	global_load_dwordx2 v[24:25], v[28:29], off offset:2
	global_load_ushort v14, v[26:27], off
	s_and_b64 vcc, exec, s[10:11]
	s_waitcnt vmcnt(1)
	v_lshlrev_b32_sdwa v35, v49, v24 dst_sel:DWORD dst_unused:UNUSED_PAD src0_sel:DWORD src1_sel:BYTE_0
	v_lshlrev_b32_sdwa v36, v49, v24 dst_sel:DWORD dst_unused:UNUSED_PAD src0_sel:DWORD src1_sel:BYTE_1
	v_lshlrev_b32_sdwa v37, v49, v24 dst_sel:DWORD dst_unused:UNUSED_PAD src0_sel:DWORD src1_sel:BYTE_2
	v_lshlrev_b32_sdwa v24, v49, v24 dst_sel:DWORD dst_unused:UNUSED_PAD src0_sel:DWORD src1_sel:BYTE_3
	global_load_dwordx2 v[32:33], v35, s[24:25]
	global_load_dwordx2 v[30:31], v36, s[24:25]
	;; [unrolled: 1-line block ×4, first 2 shown]
	s_cbranch_vccnz .LBB157_17
; %bb.21:                               ;   in Loop: Header=BB157_18 Depth=1
	v_mov_b64_e32 v[36:37], s[36:37]
	v_mad_i64_i32 v[34:35], s[24:25], v34, s28, v[36:37]
	v_lshl_add_u64 v[36:37], v[34:35], 0, v[8:9]
	global_load_dwordx2 v[36:37], v[36:37], off offset:2
	s_getpc_b64 s[24:25]
	s_add_u32 s24, s24, _ZL11iq2xxs_grid@rel32@lo+4
	s_addc_u32 s25, s25, _ZL11iq2xxs_grid@rel32@hi+12
	global_load_ushort v34, v[34:35], off
	s_waitcnt vmcnt(1)
	v_lshlrev_b32_sdwa v24, v49, v36 dst_sel:DWORD dst_unused:UNUSED_PAD src0_sel:DWORD src1_sel:BYTE_0
	global_load_dwordx2 v[54:55], v24, s[24:25]
	v_and_b32_e32 v24, 0xff, v37
	v_bcnt_u32_b32 v53, v24, 0
	v_and_b32_e32 v53, 1, v53
	v_lshlrev_b32_e32 v53, 7, v53
	v_xor_b32_e32 v24, v53, v24
	v_mul_lo_u32 v24, v24, s29
	v_and_b32_e32 v53, 0x8000000, v24
	v_lshrrev_b32_e32 v57, 8, v24
	v_lshrrev_b16_e32 v58, 1, v57
	v_cmp_ne_u16_sdwa s[34:35], v53, v9 src0_sel:BYTE_3 src1_sel:DWORD
	v_and_b32_e32 v56, 1, v37
	v_bfe_i32 v58, v58, 0, 1
	v_lshrrev_b32_e32 v59, 18, v24
	v_cndmask_b32_e64 v53, 0, -1, s[34:35]
	v_sub_u16_e32 v56, 0, v56
	v_bfe_i32 v59, v59, 0, 1
	v_lshlrev_b16_e32 v53, 8, v53
	v_lshlrev_b16_e32 v58, 8, v58
	v_or_b32_sdwa v60, v59, v53 dst_sel:WORD_1 dst_unused:UNUSED_PAD src0_sel:BYTE_0 src1_sel:DWORD
	v_or_b32_sdwa v61, v56, v58 dst_sel:DWORD dst_unused:UNUSED_PAD src0_sel:BYTE_0 src1_sel:DWORD
	v_or_b32_sdwa v60, v61, v60 dst_sel:DWORD dst_unused:UNUSED_PAD src0_sel:WORD_0 src1_sel:DWORD
	v_lshlrev_b16_e32 v56, 8, v56
	v_lshrrev_b16_e32 v57, 5, v57
	v_bfe_i32 v57, v57, 0, 1
	v_lshlrev_b16_e32 v57, 8, v57
	s_waitcnt vmcnt(1)
	v_cvt_f32_f16_e32 v34, v34
	v_mul_f32_e32 v34, v4, v34
	s_waitcnt vmcnt(0)
	v_xor_b32_e32 v54, v54, v60
	v_and_b32_e32 v60, 0xffffff00, v54
	v_sub_i16 v58, v60, v58 clamp
	v_lshlrev_b16_e32 v60, 8, v54
	v_and_b32_e32 v58, 0xffffff00, v58
	v_sub_i16 v56, v60, v56 clamp
	v_or_b32_sdwa v56, v56, v58 dst_sel:DWORD dst_unused:UNUSED_PAD src0_sel:BYTE_1 src1_sel:DWORD
	v_and_b32_sdwa v58, v54, s33 dst_sel:DWORD dst_unused:UNUSED_PAD src0_sel:WORD_1 src1_sel:DWORD
	v_sub_i16 v53, v58, v53 clamp
	v_lshlrev_b16_sdwa v54, v50, v54 dst_sel:DWORD dst_unused:UNUSED_PAD src0_sel:DWORD src1_sel:WORD_1
	v_lshlrev_b16_e32 v58, 8, v59
	v_and_b32_e32 v53, 0xffffff00, v53
	v_sub_i16 v54, v54, v58 clamp
	v_or_b32_sdwa v53, v54, v53 dst_sel:WORD_1 dst_unused:UNUSED_PAD src0_sel:BYTE_1 src1_sel:DWORD
	v_bfe_i32 v54, v37, 4, 1
	v_or_b32_sdwa v53, v56, v53 dst_sel:DWORD dst_unused:UNUSED_PAD src0_sel:WORD_0 src1_sel:DWORD
	v_mov_b32_e32 v56, v9
	v_dot4c_i32_i8_e32 v56, v53, v5
	v_and_b32_e32 v53, 0x80000000, v24
	v_cmp_ne_u16_sdwa s[34:35], v53, v9 src0_sel:BYTE_3 src1_sel:DWORD
	v_lshrrev_b32_e32 v24, 22, v24
	v_bfe_i32 v24, v24, 0, 1
	v_cndmask_b32_e64 v53, 0, -1, s[34:35]
	v_lshlrev_b16_e32 v53, 8, v53
	v_or_b32_sdwa v58, v24, v53 dst_sel:WORD_1 dst_unused:UNUSED_PAD src0_sel:BYTE_0 src1_sel:DWORD
	v_or_b32_sdwa v59, v54, v57 dst_sel:DWORD dst_unused:UNUSED_PAD src0_sel:BYTE_0 src1_sel:DWORD
	v_or_b32_sdwa v58, v59, v58 dst_sel:DWORD dst_unused:UNUSED_PAD src0_sel:WORD_0 src1_sel:DWORD
	v_xor_b32_e32 v55, v55, v58
	v_and_b32_e32 v58, 0xffffff00, v55
	v_sub_i16 v57, v58, v57 clamp
	v_lshlrev_b16_e32 v58, 8, v55
	v_lshlrev_b16_e32 v54, 8, v54
	v_and_b32_e32 v57, 0xffffff00, v57
	v_sub_i16 v54, v58, v54 clamp
	v_or_b32_sdwa v54, v54, v57 dst_sel:DWORD dst_unused:UNUSED_PAD src0_sel:BYTE_1 src1_sel:DWORD
	v_and_b32_sdwa v57, v55, s33 dst_sel:DWORD dst_unused:UNUSED_PAD src0_sel:WORD_1 src1_sel:DWORD
	v_sub_i16 v53, v57, v53 clamp
	v_lshlrev_b16_sdwa v55, v50, v55 dst_sel:DWORD dst_unused:UNUSED_PAD src0_sel:DWORD src1_sel:WORD_1
	v_lshlrev_b16_e32 v24, 8, v24
	v_and_b32_e32 v53, 0xffffff00, v53
	v_sub_i16 v24, v55, v24 clamp
	v_or_b32_sdwa v24, v24, v53 dst_sel:WORD_1 dst_unused:UNUSED_PAD src0_sel:BYTE_1 src1_sel:DWORD
	v_bfe_i32 v57, v37, 7, 1
	v_or_b32_sdwa v24, v54, v24 dst_sel:DWORD dst_unused:UNUSED_PAD src0_sel:WORD_0 src1_sel:DWORD
	v_dot4c_i32_i8_e32 v56, v24, v6
	v_lshlrev_b32_sdwa v24, v49, v36 dst_sel:DWORD dst_unused:UNUSED_PAD src0_sel:DWORD src1_sel:BYTE_1
	global_load_dwordx2 v[54:55], v24, s[24:25]
	v_bfe_u32 v24, v37, 7, 8
	v_bcnt_u32_b32 v53, v24, 0
	v_and_b32_e32 v53, 1, v53
	v_lshlrev_b32_e32 v53, 7, v53
	v_xor_b32_e32 v24, v53, v24
	v_mul_lo_u32 v24, v24, s29
	v_and_b32_e32 v53, 0x8000000, v24
	v_lshrrev_b32_e32 v58, 8, v24
	v_lshrrev_b16_e32 v59, 1, v58
	v_cmp_ne_u16_sdwa s[34:35], v53, v9 src0_sel:BYTE_3 src1_sel:DWORD
	v_bfe_i32 v59, v59, 0, 1
	v_lshrrev_b32_e32 v60, 18, v24
	v_cndmask_b32_e64 v53, 0, -1, s[34:35]
	v_bfe_i32 v60, v60, 0, 1
	v_lshlrev_b16_e32 v53, 8, v53
	v_lshlrev_b16_e32 v59, 8, v59
	v_or_b32_sdwa v61, v60, v53 dst_sel:WORD_1 dst_unused:UNUSED_PAD src0_sel:BYTE_0 src1_sel:DWORD
	v_or_b32_sdwa v62, v57, v59 dst_sel:DWORD dst_unused:UNUSED_PAD src0_sel:BYTE_0 src1_sel:DWORD
	v_or_b32_sdwa v61, v62, v61 dst_sel:DWORD dst_unused:UNUSED_PAD src0_sel:WORD_0 src1_sel:DWORD
	v_lshlrev_b16_e32 v57, 8, v57
	s_waitcnt vmcnt(0)
	v_xor_b32_e32 v54, v54, v61
	v_and_b32_e32 v61, 0xffffff00, v54
	v_sub_i16 v59, v61, v59 clamp
	v_lshlrev_b16_e32 v61, 8, v54
	v_and_b32_e32 v59, 0xffffff00, v59
	v_sub_i16 v57, v61, v57 clamp
	v_or_b32_sdwa v57, v57, v59 dst_sel:DWORD dst_unused:UNUSED_PAD src0_sel:BYTE_1 src1_sel:DWORD
	v_and_b32_sdwa v59, v54, s33 dst_sel:DWORD dst_unused:UNUSED_PAD src0_sel:WORD_1 src1_sel:DWORD
	v_sub_i16 v53, v59, v53 clamp
	v_lshlrev_b16_sdwa v54, v50, v54 dst_sel:DWORD dst_unused:UNUSED_PAD src0_sel:DWORD src1_sel:WORD_1
	v_lshlrev_b16_e32 v59, 8, v60
	v_and_b32_e32 v53, 0xffffff00, v53
	v_sub_i16 v54, v54, v59 clamp
	v_or_b32_sdwa v53, v54, v53 dst_sel:WORD_1 dst_unused:UNUSED_PAD src0_sel:BYTE_1 src1_sel:DWORD
	v_bfe_i32 v54, v37, 11, 1
	v_or_b32_sdwa v53, v57, v53 dst_sel:DWORD dst_unused:UNUSED_PAD src0_sel:WORD_0 src1_sel:DWORD
	v_dot4c_i32_i8_e32 v56, v53, v7
	v_and_b32_e32 v53, 0x80000000, v24
	v_lshrrev_b16_e32 v57, 5, v58
	v_cmp_ne_u16_sdwa s[34:35], v53, v9 src0_sel:BYTE_3 src1_sel:DWORD
	v_bfe_i32 v57, v57, 0, 1
	v_lshrrev_b32_e32 v24, 22, v24
	v_cndmask_b32_e64 v53, 0, -1, s[34:35]
	v_bfe_i32 v24, v24, 0, 1
	v_lshlrev_b16_e32 v53, 8, v53
	v_lshlrev_b16_e32 v57, 8, v57
	v_or_b32_sdwa v58, v24, v53 dst_sel:WORD_1 dst_unused:UNUSED_PAD src0_sel:BYTE_0 src1_sel:DWORD
	v_or_b32_sdwa v59, v54, v57 dst_sel:DWORD dst_unused:UNUSED_PAD src0_sel:BYTE_0 src1_sel:DWORD
	v_or_b32_sdwa v58, v59, v58 dst_sel:DWORD dst_unused:UNUSED_PAD src0_sel:WORD_0 src1_sel:DWORD
	v_xor_b32_e32 v55, v55, v58
	v_and_b32_e32 v58, 0xffffff00, v55
	v_sub_i16 v57, v58, v57 clamp
	v_lshlrev_b16_e32 v58, 8, v55
	v_lshlrev_b16_e32 v54, 8, v54
	v_and_b32_e32 v57, 0xffffff00, v57
	v_sub_i16 v54, v58, v54 clamp
	v_or_b32_sdwa v54, v54, v57 dst_sel:DWORD dst_unused:UNUSED_PAD src0_sel:BYTE_1 src1_sel:DWORD
	v_and_b32_sdwa v57, v55, s33 dst_sel:DWORD dst_unused:UNUSED_PAD src0_sel:WORD_1 src1_sel:DWORD
	v_sub_i16 v53, v57, v53 clamp
	v_lshlrev_b16_sdwa v55, v50, v55 dst_sel:DWORD dst_unused:UNUSED_PAD src0_sel:DWORD src1_sel:WORD_1
	v_lshlrev_b16_e32 v24, 8, v24
	v_and_b32_e32 v53, 0xffffff00, v53
	v_sub_i16 v24, v55, v24 clamp
	v_or_b32_sdwa v24, v24, v53 dst_sel:WORD_1 dst_unused:UNUSED_PAD src0_sel:BYTE_1 src1_sel:DWORD
	v_bfe_i32 v57, v37, 14, 1
	v_or_b32_sdwa v24, v54, v24 dst_sel:DWORD dst_unused:UNUSED_PAD src0_sel:WORD_0 src1_sel:DWORD
	v_dot4c_i32_i8_e32 v56, v24, v0
	v_lshlrev_b32_sdwa v24, v49, v36 dst_sel:DWORD dst_unused:UNUSED_PAD src0_sel:DWORD src1_sel:BYTE_2
	global_load_dwordx2 v[54:55], v24, s[24:25]
	v_bfe_u32 v24, v37, 14, 8
	v_bcnt_u32_b32 v53, v24, 0
	v_and_b32_e32 v53, 1, v53
	v_lshlrev_b32_e32 v53, 7, v53
	v_xor_b32_e32 v24, v53, v24
	v_mul_lo_u32 v24, v24, s29
	v_and_b32_e32 v53, 0x8000000, v24
	v_lshrrev_b32_e32 v58, 8, v24
	v_lshrrev_b16_e32 v59, 1, v58
	v_cmp_ne_u16_sdwa s[34:35], v53, v9 src0_sel:BYTE_3 src1_sel:DWORD
	v_bfe_i32 v59, v59, 0, 1
	v_lshrrev_b32_e32 v60, 18, v24
	v_cndmask_b32_e64 v53, 0, -1, s[34:35]
	v_bfe_i32 v60, v60, 0, 1
	v_lshlrev_b16_e32 v53, 8, v53
	v_lshlrev_b16_e32 v59, 8, v59
	v_or_b32_sdwa v61, v60, v53 dst_sel:WORD_1 dst_unused:UNUSED_PAD src0_sel:BYTE_0 src1_sel:DWORD
	v_or_b32_sdwa v62, v57, v59 dst_sel:DWORD dst_unused:UNUSED_PAD src0_sel:BYTE_0 src1_sel:DWORD
	v_or_b32_sdwa v61, v62, v61 dst_sel:DWORD dst_unused:UNUSED_PAD src0_sel:WORD_0 src1_sel:DWORD
	v_lshlrev_b16_e32 v57, 8, v57
	s_waitcnt vmcnt(0)
	v_xor_b32_e32 v54, v54, v61
	v_and_b32_e32 v61, 0xffffff00, v54
	v_sub_i16 v59, v61, v59 clamp
	v_lshlrev_b16_e32 v61, 8, v54
	v_and_b32_e32 v59, 0xffffff00, v59
	v_sub_i16 v57, v61, v57 clamp
	v_or_b32_sdwa v57, v57, v59 dst_sel:DWORD dst_unused:UNUSED_PAD src0_sel:BYTE_1 src1_sel:DWORD
	v_and_b32_sdwa v59, v54, s33 dst_sel:DWORD dst_unused:UNUSED_PAD src0_sel:WORD_1 src1_sel:DWORD
	v_sub_i16 v53, v59, v53 clamp
	v_lshlrev_b16_sdwa v54, v50, v54 dst_sel:DWORD dst_unused:UNUSED_PAD src0_sel:DWORD src1_sel:WORD_1
	v_lshlrev_b16_e32 v59, 8, v60
	v_and_b32_e32 v53, 0xffffff00, v53
	v_sub_i16 v54, v54, v59 clamp
	v_or_b32_sdwa v53, v54, v53 dst_sel:WORD_1 dst_unused:UNUSED_PAD src0_sel:BYTE_1 src1_sel:DWORD
	v_bfe_i32 v54, v37, 18, 1
	v_or_b32_sdwa v53, v57, v53 dst_sel:DWORD dst_unused:UNUSED_PAD src0_sel:WORD_0 src1_sel:DWORD
	v_dot4c_i32_i8_e32 v56, v53, v1
	v_and_b32_e32 v53, 0x80000000, v24
	v_lshrrev_b16_e32 v57, 5, v58
	v_cmp_ne_u16_sdwa s[34:35], v53, v9 src0_sel:BYTE_3 src1_sel:DWORD
	v_bfe_i32 v57, v57, 0, 1
	v_lshrrev_b32_e32 v24, 22, v24
	v_cndmask_b32_e64 v53, 0, -1, s[34:35]
	v_bfe_i32 v24, v24, 0, 1
	v_lshlrev_b16_e32 v53, 8, v53
	v_lshlrev_b16_e32 v57, 8, v57
	v_or_b32_sdwa v58, v24, v53 dst_sel:WORD_1 dst_unused:UNUSED_PAD src0_sel:BYTE_0 src1_sel:DWORD
	v_or_b32_sdwa v59, v54, v57 dst_sel:DWORD dst_unused:UNUSED_PAD src0_sel:BYTE_0 src1_sel:DWORD
	v_or_b32_sdwa v58, v59, v58 dst_sel:DWORD dst_unused:UNUSED_PAD src0_sel:WORD_0 src1_sel:DWORD
	v_xor_b32_e32 v55, v55, v58
	v_and_b32_e32 v58, 0xffffff00, v55
	v_sub_i16 v57, v58, v57 clamp
	v_lshlrev_b16_e32 v58, 8, v55
	v_lshlrev_b16_e32 v54, 8, v54
	v_and_b32_e32 v57, 0xffffff00, v57
	v_sub_i16 v54, v58, v54 clamp
	v_or_b32_sdwa v54, v54, v57 dst_sel:DWORD dst_unused:UNUSED_PAD src0_sel:BYTE_1 src1_sel:DWORD
	v_and_b32_sdwa v57, v55, s33 dst_sel:DWORD dst_unused:UNUSED_PAD src0_sel:WORD_1 src1_sel:DWORD
	v_sub_i16 v53, v57, v53 clamp
	v_lshlrev_b16_sdwa v55, v50, v55 dst_sel:DWORD dst_unused:UNUSED_PAD src0_sel:DWORD src1_sel:WORD_1
	v_lshlrev_b16_e32 v24, 8, v24
	v_and_b32_e32 v53, 0xffffff00, v53
	v_sub_i16 v24, v55, v24 clamp
	v_or_b32_sdwa v24, v24, v53 dst_sel:WORD_1 dst_unused:UNUSED_PAD src0_sel:BYTE_1 src1_sel:DWORD
	v_bfe_i32 v53, v37, 21, 1
	v_or_b32_sdwa v24, v54, v24 dst_sel:DWORD dst_unused:UNUSED_PAD src0_sel:WORD_0 src1_sel:DWORD
	v_dot4c_i32_i8_e32 v56, v24, v2
	v_lshlrev_b32_sdwa v24, v49, v36 dst_sel:DWORD dst_unused:UNUSED_PAD src0_sel:DWORD src1_sel:BYTE_3
	global_load_dwordx2 v[54:55], v24, s[24:25]
	v_bfe_u32 v24, v37, 21, 8
	v_bcnt_u32_b32 v36, v24, 0
	v_and_b32_e32 v36, 1, v36
	v_lshlrev_b32_e32 v36, 7, v36
	v_xor_b32_e32 v24, v36, v24
	v_mul_lo_u32 v24, v24, s29
	v_and_b32_e32 v36, 0x8000000, v24
	v_lshrrev_b32_e32 v57, 8, v24
	v_lshrrev_b16_e32 v58, 1, v57
	v_cmp_ne_u16_sdwa s[24:25], v36, v9 src0_sel:BYTE_3 src1_sel:DWORD
	v_bfe_i32 v58, v58, 0, 1
	v_lshrrev_b32_e32 v59, 18, v24
	v_cndmask_b32_e64 v36, 0, -1, s[24:25]
	v_bfe_i32 v59, v59, 0, 1
	v_lshlrev_b16_e32 v36, 8, v36
	v_lshlrev_b16_e32 v58, 8, v58
	v_or_b32_sdwa v60, v59, v36 dst_sel:WORD_1 dst_unused:UNUSED_PAD src0_sel:BYTE_0 src1_sel:DWORD
	v_or_b32_sdwa v61, v53, v58 dst_sel:DWORD dst_unused:UNUSED_PAD src0_sel:BYTE_0 src1_sel:DWORD
	v_or_b32_sdwa v60, v61, v60 dst_sel:DWORD dst_unused:UNUSED_PAD src0_sel:WORD_0 src1_sel:DWORD
	v_lshlrev_b16_e32 v53, 8, v53
	s_waitcnt vmcnt(0)
	v_xor_b32_e32 v54, v54, v60
	v_and_b32_e32 v60, 0xffffff00, v54
	v_sub_i16 v58, v60, v58 clamp
	v_lshlrev_b16_e32 v60, 8, v54
	v_and_b32_e32 v58, 0xffffff00, v58
	v_sub_i16 v53, v60, v53 clamp
	v_or_b32_sdwa v53, v53, v58 dst_sel:DWORD dst_unused:UNUSED_PAD src0_sel:BYTE_1 src1_sel:DWORD
	v_and_b32_sdwa v58, v54, s33 dst_sel:DWORD dst_unused:UNUSED_PAD src0_sel:WORD_1 src1_sel:DWORD
	v_sub_i16 v36, v58, v36 clamp
	v_lshlrev_b16_sdwa v54, v50, v54 dst_sel:DWORD dst_unused:UNUSED_PAD src0_sel:DWORD src1_sel:WORD_1
	v_lshlrev_b16_e32 v58, 8, v59
	v_and_b32_e32 v36, 0xffffff00, v36
	v_sub_i16 v54, v54, v58 clamp
	v_or_b32_sdwa v36, v54, v36 dst_sel:WORD_1 dst_unused:UNUSED_PAD src0_sel:BYTE_1 src1_sel:DWORD
	v_lshrrev_b16_e32 v54, 5, v57
	v_or_b32_sdwa v36, v53, v36 dst_sel:DWORD dst_unused:UNUSED_PAD src0_sel:WORD_0 src1_sel:DWORD
	v_dot4c_i32_i8_e32 v56, v36, v3
	v_and_b32_e32 v36, 0x80000000, v24
	v_cmp_ne_u16_sdwa s[24:25], v36, v9 src0_sel:BYTE_3 src1_sel:DWORD
	v_bfe_i32 v54, v54, 0, 1
	v_lshrrev_b32_e32 v24, 22, v24
	v_cndmask_b32_e64 v36, 0, -1, s[24:25]
	v_bfe_i32 v53, v37, 25, 1
	v_bfe_i32 v24, v24, 0, 1
	v_lshlrev_b16_e32 v36, 8, v36
	v_lshlrev_b16_e32 v54, 8, v54
	v_or_b32_sdwa v57, v24, v36 dst_sel:WORD_1 dst_unused:UNUSED_PAD src0_sel:BYTE_0 src1_sel:DWORD
	v_or_b32_sdwa v58, v53, v54 dst_sel:DWORD dst_unused:UNUSED_PAD src0_sel:BYTE_0 src1_sel:DWORD
	v_or_b32_sdwa v57, v58, v57 dst_sel:DWORD dst_unused:UNUSED_PAD src0_sel:WORD_0 src1_sel:DWORD
	v_xor_b32_e32 v55, v55, v57
	v_and_b32_e32 v57, 0xffffff00, v55
	v_sub_i16 v54, v57, v54 clamp
	v_lshlrev_b16_e32 v57, 8, v55
	v_lshlrev_b16_e32 v53, 8, v53
	v_and_b32_e32 v54, 0xffffff00, v54
	v_sub_i16 v53, v57, v53 clamp
	v_or_b32_sdwa v53, v53, v54 dst_sel:DWORD dst_unused:UNUSED_PAD src0_sel:BYTE_1 src1_sel:DWORD
	v_and_b32_sdwa v54, v55, s33 dst_sel:DWORD dst_unused:UNUSED_PAD src0_sel:WORD_1 src1_sel:DWORD
	v_sub_i16 v36, v54, v36 clamp
	v_lshlrev_b16_sdwa v54, v50, v55 dst_sel:DWORD dst_unused:UNUSED_PAD src0_sel:DWORD src1_sel:WORD_1
	v_lshlrev_b16_e32 v24, 8, v24
	v_and_b32_e32 v36, 0xffffff00, v36
	v_sub_i16 v24, v54, v24 clamp
	v_or_b32_sdwa v24, v24, v36 dst_sel:WORD_1 dst_unused:UNUSED_PAD src0_sel:BYTE_1 src1_sel:DWORD
	s_nop 0
	v_or_b32_sdwa v24, v53, v24 dst_sel:DWORD dst_unused:UNUSED_PAD src0_sel:WORD_0 src1_sel:DWORD
	v_dot4c_i32_i8_e32 v56, v24, v51
	v_lshrrev_b32_e32 v24, 27, v37
	v_or_b32_e32 v24, 1, v24
	s_nop 0
	v_mul_lo_u32 v24, v56, v24
	v_ashrrev_i32_e32 v36, 31, v24
	v_lshrrev_b32_e32 v36, 29, v36
	v_add_u32_e32 v24, v24, v36
	v_ashrrev_i32_e32 v24, 3, v24
	v_cvt_f32_i32_e32 v24, v24
	v_fmac_f32_e32 v46, v34, v24
	s_branch .LBB157_17
.LBB157_22:
	s_or_b64 exec, exec, s[12:13]
	ds_write2_b32 v42, v48, v45 offset1:1
	ds_write2_b32 v41, v47, v46 offset1:1
.LBB157_23:
	s_or_b64 exec, exec, s[0:1]
	s_load_dword s15, s[2:3], 0x30
	v_cmp_eq_u32_e64 s[0:1], 0, v43
	v_cmp_ne_u32_e32 vcc, 0, v43
	v_lshlrev_b32_e32 v0, 2, v38
	s_and_saveexec_b64 s[12:13], vcc
	s_cbranch_execz .LBB157_28
; %bb.24:
	v_add_u32_e32 v1, -1, v43
	v_lshl_or_b32 v1, v1, 9, v0
	s_mov_b64 s[16:17], -1
	s_and_b64 vcc, exec, s[22:23]
	ds_write_b32 v1, v48
	s_cbranch_vccz .LBB157_26
; %bb.25:
	ds_write_b32 v1, v45 offset:256
	s_mov_b64 s[16:17], 0
.LBB157_26:
	s_andn2_b64 vcc, exec, s[16:17]
	s_cbranch_vccnz .LBB157_28
; %bb.27:
	ds_write_b32 v1, v45 offset:256
	ds_write2st64_b32 v1, v47, v46 offset0:2 offset1:3
.LBB157_28:
	s_or_b64 exec, exec, s[12:13]
	s_waitcnt lgkmcnt(0)
	s_barrier
	s_and_saveexec_b64 s[12:13], s[0:1]
	s_cbranch_execz .LBB157_61
; %bb.29:
	ds_read_b32 v2, v0
	ds_read_b32 v3, v42
	s_and_b64 vcc, exec, s[10:11]
	s_cbranch_vccnz .LBB157_31
; %bb.30:
	ds_read_b32 v1, v0 offset:512
	ds_read_b32 v4, v41
	s_waitcnt lgkmcnt(0)
	v_add_f32_e32 v1, v1, v4
	ds_write_b32 v41, v1
.LBB157_31:
	v_mbcnt_lo_u32_b32 v1, -1, 0
	v_mbcnt_hi_u32_b32 v6, -1, v1
	v_and_b32_e32 v1, 64, v6
	v_add_u32_e32 v7, 64, v1
	v_xor_b32_e32 v1, 32, v6
	v_cmp_lt_i32_e32 vcc, v1, v7
	s_waitcnt lgkmcnt(0)
	v_add_f32_e32 v3, v2, v3
	v_xor_b32_e32 v2, 16, v6
	v_cndmask_b32_e32 v1, v6, v1, vcc
	v_lshlrev_b32_e32 v1, 2, v1
	ds_bpermute_b32 v4, v1, v3
	v_cmp_lt_i32_e32 vcc, v2, v7
	v_xor_b32_e32 v10, 1, v6
	s_waitcnt lgkmcnt(0)
	v_add_f32_e32 v4, v3, v4
	v_cndmask_b32_e32 v2, v6, v2, vcc
	v_lshlrev_b32_e32 v2, 2, v2
	ds_bpermute_b32 v5, v2, v4
	v_xor_b32_e32 v3, 8, v6
	v_cmp_lt_i32_e32 vcc, v3, v7
	s_waitcnt lgkmcnt(0)
	v_add_f32_e32 v5, v4, v5
	v_cndmask_b32_e32 v3, v6, v3, vcc
	v_lshlrev_b32_e32 v3, 2, v3
	ds_bpermute_b32 v8, v3, v5
	v_xor_b32_e32 v4, 4, v6
	v_cmp_lt_i32_e32 vcc, v4, v7
	;; [unrolled: 7-line block ×3, first 2 shown]
	s_waitcnt lgkmcnt(0)
	v_add_f32_e32 v8, v8, v9
	v_cndmask_b32_e32 v5, v6, v5, vcc
	v_lshlrev_b32_e32 v5, 2, v5
	ds_bpermute_b32 v9, v5, v8
	v_cmp_lt_i32_e32 vcc, v10, v7
	s_waitcnt lgkmcnt(0)
	v_add_f32_e32 v7, v8, v9
	v_cndmask_b32_e32 v6, v6, v10, vcc
	v_lshlrev_b32_e32 v6, 2, v6
	ds_bpermute_b32 v8, v6, v7
	s_and_b64 vcc, exec, s[10:11]
	s_waitcnt lgkmcnt(0)
	v_add_f32_e32 v7, v7, v8
	ds_write_b32 v42, v7
	s_cbranch_vccnz .LBB157_33
; %bb.32:
	ds_read_b32 v7, v41
	s_waitcnt lgkmcnt(0)
	ds_bpermute_b32 v8, v1, v7
	s_waitcnt lgkmcnt(0)
	v_add_f32_e32 v7, v7, v8
	ds_bpermute_b32 v8, v2, v7
	s_waitcnt lgkmcnt(0)
	v_add_f32_e32 v7, v7, v8
	;; [unrolled: 3-line block ×6, first 2 shown]
	ds_write_b32 v41, v7
.LBB157_33:
	ds_read_b32 v7, v0 offset:256
	ds_read_b32 v8, v42 offset:4
	s_and_b64 vcc, exec, s[10:11]
	s_cbranch_vccnz .LBB157_35
; %bb.34:
	ds_read_b32 v9, v0 offset:768
	ds_read_b32 v10, v41 offset:4
	s_waitcnt lgkmcnt(0)
	v_add_f32_e32 v9, v9, v10
	ds_write_b32 v41, v9 offset:4
.LBB157_35:
	s_waitcnt lgkmcnt(0)
	v_add_f32_e32 v7, v7, v8
	ds_bpermute_b32 v8, v1, v7
	s_and_b64 vcc, exec, s[10:11]
	s_waitcnt lgkmcnt(0)
	v_add_f32_e32 v7, v7, v8
	ds_bpermute_b32 v8, v2, v7
	s_waitcnt lgkmcnt(0)
	v_add_f32_e32 v7, v7, v8
	ds_bpermute_b32 v8, v3, v7
	;; [unrolled: 3-line block ×5, first 2 shown]
	s_waitcnt lgkmcnt(0)
	v_add_f32_e32 v7, v7, v8
	ds_write_b32 v42, v7 offset:4
	s_cbranch_vccnz .LBB157_37
; %bb.36:
	ds_read_b32 v7, v41 offset:4
	s_waitcnt lgkmcnt(0)
	ds_bpermute_b32 v1, v1, v7
	s_waitcnt lgkmcnt(0)
	v_add_f32_e32 v1, v7, v1
	ds_bpermute_b32 v2, v2, v1
	s_waitcnt lgkmcnt(0)
	v_add_f32_e32 v1, v1, v2
	;; [unrolled: 3-line block ×6, first 2 shown]
	ds_write_b32 v41, v1 offset:4
.LBB157_37:
	v_add_u32_e32 v1, s20, v38
	v_cmp_gt_u32_e32 vcc, 2, v38
	v_cmp_gt_u32_e64 s[0:1], s7, v1
	s_and_b64 s[0:1], vcc, s[0:1]
	s_and_b64 exec, exec, s[0:1]
	s_cbranch_execz .LBB157_61
; %bb.38:
	v_lshl_add_u32 v1, v38, 2, v42
	ds_read_b32 v1, v1
	s_and_b64 vcc, exec, s[10:11]
	s_waitcnt vmcnt(0) lgkmcnt(0)
	v_add_f32_e32 v2, v40, v1
	v_cndmask_b32_e64 v1, v2, v1, s[8:9]
	s_cbranch_vccnz .LBB157_60
; %bb.39:
	v_lshl_add_u32 v2, v38, 2, v41
	ds_read_b32 v2, v2
	s_cmp_lt_i32 s15, 2
	s_mov_b64 s[0:1], 0
	s_waitcnt lgkmcnt(0)
	v_add_f32_e32 v3, v39, v2
	v_cndmask_b32_e64 v2, v2, v3, s[4:5]
	s_cbranch_scc1 .LBB157_43
; %bb.40:
	s_cmp_gt_i32 s15, 2
	s_cbranch_scc0 .LBB157_44
; %bb.41:
	s_cmp_eq_u32 s15, 3
	s_cbranch_scc0 .LBB157_45
; %bb.42:
	v_max_f32_e32 v3, v2, v2
	v_min_f32_e32 v3, 0x40e00000, v3
	v_mul_f32_e32 v5, 0xbfd9db23, v3
	s_mov_b32 s4, 0x3fb8aa3b
	v_mul_f32_e32 v4, 0x3fb8aa3b, v5
	v_fma_f32 v6, v5, s4, -v4
	v_rndne_f32_e32 v7, v4
	v_fmamk_f32 v6, v5, 0x32a5705f, v6
	v_sub_f32_e32 v4, v4, v7
	v_add_f32_e32 v4, v4, v6
	v_exp_f32_e32 v6, v4
	v_cvt_i32_f32_e32 v7, v7
	s_mov_b32 s4, 0xc2ce8ed0
	v_max_f32_e32 v4, v1, v1
	v_cmp_ngt_f32_e32 vcc, s4, v5
	v_ldexp_f32 v6, v6, v7
	s_mov_b32 s4, 0x42b17218
	v_min_f32_e32 v4, 0x40e00000, v4
	v_cndmask_b32_e32 v6, 0, v6, vcc
	v_mov_b32_e32 v7, 0x7f800000
	v_cmp_nlt_f32_e32 vcc, s4, v5
	v_max_f32_e32 v4, 0xc0e00000, v4
	s_nop 0
	v_cndmask_b32_e32 v5, v7, v6, vcc
	v_pk_add_f32 v[4:5], v[4:5], 1.0 op_sel_hi:[1,0]
	s_nop 0
	v_div_scale_f32 v6, s[4:5], v5, v5, v3
	v_rcp_f32_e32 v7, v6
	s_mov_b64 s[4:5], 0
	v_fma_f32 v8, -v6, v7, 1.0
	v_fmac_f32_e32 v7, v8, v7
	v_div_scale_f32 v8, vcc, v3, v5, v3
	v_mul_f32_e32 v9, v8, v7
	v_fma_f32 v10, -v6, v9, v8
	v_fmac_f32_e32 v9, v10, v7
	v_fma_f32 v6, -v6, v9, v8
	v_div_fmas_f32 v6, v6, v7, v9
	v_div_fixup_f32 v3, v6, v5, v3
	v_mul_f32_e32 v3, v4, v3
	s_branch .LBB157_46
.LBB157_43:
                                        ; implicit-def: $vgpr3
	s_mov_b64 s[4:5], 0
	s_cbranch_execnz .LBB157_50
	s_branch .LBB157_51
.LBB157_44:
	s_mov_b64 s[8:9], -1
	s_mov_b64 s[4:5], 0
                                        ; implicit-def: $vgpr3
	s_branch .LBB157_47
.LBB157_45:
	s_mov_b64 s[4:5], -1
                                        ; implicit-def: $vgpr3
.LBB157_46:
	s_mov_b64 s[8:9], 0
.LBB157_47:
	s_and_b64 vcc, exec, s[8:9]
	s_cbranch_vccz .LBB157_49
; %bb.48:
	v_mul_f32_e32 v3, 0xbfb8aa3b, v2
	s_mov_b32 s7, 0xbfb8aa3b
	v_rndne_f32_e32 v4, v3
	v_sub_f32_e32 v5, v3, v4
	v_fma_f32 v3, v2, s7, -v3
	v_fmamk_f32 v3, v2, 0xb2a5705f, v3
	v_add_f32_e32 v3, v5, v3
	v_exp_f32_e32 v3, v3
	v_cvt_i32_f32_e32 v4, v4
	s_mov_b32 s7, 0x42ce8ed0
	v_cmp_nlt_f32_e32 vcc, s7, v2
	s_mov_b32 s7, 0xc2b17218
	v_ldexp_f32 v3, v3, v4
	v_cndmask_b32_e32 v3, 0, v3, vcc
	v_mov_b32_e32 v4, 0x7f800000
	v_cmp_ngt_f32_e32 vcc, s7, v2
	s_nop 1
	v_cndmask_b32_e32 v3, v4, v3, vcc
	v_add_f32_e32 v3, 1.0, v3
	v_div_scale_f32 v4, s[8:9], v3, v3, v2
	v_rcp_f32_e32 v5, v4
	s_nop 0
	v_fma_f32 v6, -v4, v5, 1.0
	v_fmac_f32_e32 v5, v6, v5
	v_div_scale_f32 v6, vcc, v2, v3, v2
	v_mul_f32_e32 v7, v6, v5
	v_fma_f32 v8, -v4, v7, v6
	v_fmac_f32_e32 v7, v8, v5
	v_fma_f32 v4, -v4, v7, v6
	v_div_fmas_f32 v4, v4, v5, v7
	v_div_fixup_f32 v3, v4, v3, v2
	v_mul_f32_e32 v3, v1, v3
.LBB157_49:
	s_branch .LBB157_51
.LBB157_50:
	s_cmp_lg_u32 s15, 1
	s_mov_b64 s[0:1], -1
	s_cselect_b64 s[4:5], -1, 0
                                        ; implicit-def: $vgpr3
.LBB157_51:
	s_andn2_b64 vcc, exec, s[4:5]
	s_cbranch_vccz .LBB157_53
; %bb.52:
	s_andn2_b64 vcc, exec, s[0:1]
	s_cbranch_vccz .LBB157_54
	s_branch .LBB157_59
.LBB157_53:
	v_mul_f32_e32 v3, v1, v2
	s_cbranch_execnz .LBB157_59
.LBB157_54:
	v_mul_f32_e32 v4, 0x3d372713, v2
	v_mul_f32_e32 v3, 0x3f4c422a, v2
	v_fma_f32 v4, v2, v4, 1.0
	v_mul_f32_e32 v3, v3, v4
	s_mov_b32 s0, 0x3f200000
	v_cmp_nlt_f32_e64 s[0:1], |v3|, s0
                                        ; implicit-def: $vgpr4
	s_and_saveexec_b64 s[4:5], s[0:1]
	s_xor_b64 s[0:1], exec, s[4:5]
	s_cbranch_execz .LBB157_56
; %bb.55:
	v_add_f32_e64 v4, |v3|, |v3|
	v_mul_f32_e32 v5, 0x3fb8aa3b, v4
	s_mov_b32 s4, 0x3fb8aa3b
	v_rndne_f32_e32 v6, v5
	v_sub_f32_e32 v7, v5, v6
	v_fma_f32 v5, v4, s4, -v5
	v_fmamk_f32 v5, v4, 0x32a5705f, v5
	v_add_f32_e32 v5, v7, v5
	v_exp_f32_e32 v5, v5
	v_cvt_i32_f32_e32 v6, v6
	s_mov_b32 s4, 0xc2ce8ed0
	v_cmp_ngt_f32_e32 vcc, s4, v4
	s_mov_b32 s4, 0x42b17218
	v_ldexp_f32 v5, v5, v6
	v_cndmask_b32_e32 v5, 0, v5, vcc
	v_mov_b32_e32 v6, 0x7f800000
	v_cmp_nlt_f32_e32 vcc, s4, v4
	s_nop 1
	v_cndmask_b32_e32 v4, v6, v5, vcc
	v_add_f32_e32 v4, 1.0, v4
	v_rcp_f32_e32 v4, v4
	s_nop 0
	v_fma_f32 v4, v4, -2.0, 1.0
.LBB157_56:
	s_andn2_saveexec_b64 s[0:1], s[0:1]
; %bb.57:
	v_mul_f32_e32 v4, v3, v3
	v_mov_b32_e32 v5, 0x3ca908c9
	v_fmac_f32_e32 v5, 0xbbbac73d, v4
	v_fmaak_f32 v5, v4, v5, 0xbd5c1c4e
	v_fmaak_f32 v5, v4, v5, 0x3e088382
	;; [unrolled: 1-line block ×3, first 2 shown]
	v_mul_f32_e64 v5, |v3|, v5
	v_fma_f32 v4, v4, v5, |v3|
; %bb.58:
	s_or_b64 exec, exec, s[0:1]
	s_brev_b32 s0, -2
	v_bfi_b32 v3, s0, v4, v3
	v_mul_f32_e32 v2, 0.5, v2
	v_add_f32_e32 v3, 1.0, v3
	v_mul_f32_e32 v2, v2, v3
	v_mul_f32_e32 v3, v1, v2
.LBB157_59:
	v_mov_b32_e32 v1, v3
.LBB157_60:
	s_load_dwordx2 s[0:1], s[2:3], 0x38
	s_mul_i32 s4, s14, s26
	s_mul_i32 s6, s6, s30
	s_add_i32 s2, s4, s20
	s_add_i32 s2, s2, s6
	s_mov_b32 s3, 0
	s_lshl_b64 s[2:3], s[2:3], 2
	s_waitcnt lgkmcnt(0)
	s_add_u32 s0, s0, s2
	s_addc_u32 s1, s1, s3
	global_store_dword v0, v1, s[0:1]
.LBB157_61:
	s_endpgm
	.section	.rodata,"a",@progbits
	.p2align	6, 0x0
	.amdhsa_kernel _ZL13mul_mat_vec_qIL9ggml_type16ELi1ELb1ELb1EEvPKvS2_PKi31ggml_cuda_mm_fusion_args_devicePfj15HIP_vector_typeIjLj3EEjjjS8_jjjS8_jjjj
		.amdhsa_group_segment_fixed_size 3072
		.amdhsa_private_segment_fixed_size 0
		.amdhsa_kernarg_size 144
		.amdhsa_user_sgpr_count 4
		.amdhsa_user_sgpr_dispatch_ptr 1
		.amdhsa_user_sgpr_queue_ptr 0
		.amdhsa_user_sgpr_kernarg_segment_ptr 1
		.amdhsa_user_sgpr_dispatch_id 0
		.amdhsa_user_sgpr_kernarg_preload_length 0
		.amdhsa_user_sgpr_kernarg_preload_offset 0
		.amdhsa_user_sgpr_private_segment_size 0
		.amdhsa_uses_dynamic_stack 0
		.amdhsa_enable_private_segment 0
		.amdhsa_system_sgpr_workgroup_id_x 1
		.amdhsa_system_sgpr_workgroup_id_y 1
		.amdhsa_system_sgpr_workgroup_id_z 1
		.amdhsa_system_sgpr_workgroup_info 0
		.amdhsa_system_vgpr_workitem_id 2
		.amdhsa_next_free_vgpr 63
		.amdhsa_next_free_sgpr 46
		.amdhsa_accum_offset 64
		.amdhsa_reserve_vcc 1
		.amdhsa_float_round_mode_32 0
		.amdhsa_float_round_mode_16_64 0
		.amdhsa_float_denorm_mode_32 3
		.amdhsa_float_denorm_mode_16_64 3
		.amdhsa_dx10_clamp 1
		.amdhsa_ieee_mode 1
		.amdhsa_fp16_overflow 0
		.amdhsa_tg_split 0
		.amdhsa_exception_fp_ieee_invalid_op 0
		.amdhsa_exception_fp_denorm_src 0
		.amdhsa_exception_fp_ieee_div_zero 0
		.amdhsa_exception_fp_ieee_overflow 0
		.amdhsa_exception_fp_ieee_underflow 0
		.amdhsa_exception_fp_ieee_inexact 0
		.amdhsa_exception_int_div_zero 0
	.end_amdhsa_kernel
	.section	.text._ZL13mul_mat_vec_qIL9ggml_type16ELi1ELb1ELb1EEvPKvS2_PKi31ggml_cuda_mm_fusion_args_devicePfj15HIP_vector_typeIjLj3EEjjjS8_jjjS8_jjjj,"axG",@progbits,_ZL13mul_mat_vec_qIL9ggml_type16ELi1ELb1ELb1EEvPKvS2_PKi31ggml_cuda_mm_fusion_args_devicePfj15HIP_vector_typeIjLj3EEjjjS8_jjjS8_jjjj,comdat
.Lfunc_end157:
	.size	_ZL13mul_mat_vec_qIL9ggml_type16ELi1ELb1ELb1EEvPKvS2_PKi31ggml_cuda_mm_fusion_args_devicePfj15HIP_vector_typeIjLj3EEjjjS8_jjjS8_jjjj, .Lfunc_end157-_ZL13mul_mat_vec_qIL9ggml_type16ELi1ELb1ELb1EEvPKvS2_PKi31ggml_cuda_mm_fusion_args_devicePfj15HIP_vector_typeIjLj3EEjjjS8_jjjS8_jjjj
                                        ; -- End function
	.section	.AMDGPU.csdata,"",@progbits
; Kernel info:
; codeLenInByte = 10740
; NumSgprs: 52
; NumVgprs: 63
; NumAgprs: 0
; TotalNumVgprs: 63
; ScratchSize: 0
; MemoryBound: 0
; FloatMode: 240
; IeeeMode: 1
; LDSByteSize: 3072 bytes/workgroup (compile time only)
; SGPRBlocks: 6
; VGPRBlocks: 7
; NumSGPRsForWavesPerEU: 52
; NumVGPRsForWavesPerEU: 63
; AccumOffset: 64
; Occupancy: 8
; WaveLimiterHint : 0
; COMPUTE_PGM_RSRC2:SCRATCH_EN: 0
; COMPUTE_PGM_RSRC2:USER_SGPR: 4
; COMPUTE_PGM_RSRC2:TRAP_HANDLER: 0
; COMPUTE_PGM_RSRC2:TGID_X_EN: 1
; COMPUTE_PGM_RSRC2:TGID_Y_EN: 1
; COMPUTE_PGM_RSRC2:TGID_Z_EN: 1
; COMPUTE_PGM_RSRC2:TIDIG_COMP_CNT: 2
; COMPUTE_PGM_RSRC3_GFX90A:ACCUM_OFFSET: 15
; COMPUTE_PGM_RSRC3_GFX90A:TG_SPLIT: 0
	.section	.text._ZL13mul_mat_vec_qIL9ggml_type16ELi1ELb0ELb1EEvPKvS2_PKi31ggml_cuda_mm_fusion_args_devicePfj15HIP_vector_typeIjLj3EEjjjS8_jjjS8_jjjj,"axG",@progbits,_ZL13mul_mat_vec_qIL9ggml_type16ELi1ELb0ELb1EEvPKvS2_PKi31ggml_cuda_mm_fusion_args_devicePfj15HIP_vector_typeIjLj3EEjjjS8_jjjS8_jjjj,comdat
	.globl	_ZL13mul_mat_vec_qIL9ggml_type16ELi1ELb0ELb1EEvPKvS2_PKi31ggml_cuda_mm_fusion_args_devicePfj15HIP_vector_typeIjLj3EEjjjS8_jjjS8_jjjj ; -- Begin function _ZL13mul_mat_vec_qIL9ggml_type16ELi1ELb0ELb1EEvPKvS2_PKi31ggml_cuda_mm_fusion_args_devicePfj15HIP_vector_typeIjLj3EEjjjS8_jjjS8_jjjj
	.p2align	8
	.type	_ZL13mul_mat_vec_qIL9ggml_type16ELi1ELb0ELb1EEvPKvS2_PKi31ggml_cuda_mm_fusion_args_devicePfj15HIP_vector_typeIjLj3EEjjjS8_jjjS8_jjjj,@function
_ZL13mul_mat_vec_qIL9ggml_type16ELi1ELb0ELb1EEvPKvS2_PKi31ggml_cuda_mm_fusion_args_devicePfj15HIP_vector_typeIjLj3EEjjjS8_jjjS8_jjjj: ; @_ZL13mul_mat_vec_qIL9ggml_type16ELi1ELb0ELb1EEvPKvS2_PKi31ggml_cuda_mm_fusion_args_devicePfj15HIP_vector_typeIjLj3EEjjjS8_jjjS8_jjjj
; %bb.0:
	s_load_dwordx2 s[8:9], s[2:3], 0x10
	s_load_dwordx4 s[16:19], s[2:3], 0x40
	s_mov_b32 s20, s5
	s_mov_b64 s[14:15], 0
	s_waitcnt lgkmcnt(0)
	s_cmp_lg_u64 s[8:9], 0
	s_cselect_b64 s[12:13], -1, 0
	s_cmp_eq_u64 s[8:9], 0
	s_cbranch_scc1 .LBB158_5
; %bb.1:
	s_mov_b32 s21, 0
	s_lshl_b64 s[10:11], s[20:21], 2
	s_add_u32 s8, s8, s10
	s_addc_u32 s9, s9, s11
	s_load_dword s21, s[8:9], 0x0
	s_nop 0
	s_load_dwordx4 s[8:11], s[2:3], 0x68
	s_load_dword s5, s[2:3], 0x50
	s_andn2_b64 vcc, exec, s[14:15]
	s_cbranch_vccnz .LBB158_3
.LBB158_2:
	s_load_dwordx2 s[14:15], s[2:3], 0x5c
	s_waitcnt lgkmcnt(0)
	s_mul_hi_u32 s7, s14, s20
	s_add_i32 s7, s20, s7
	s_lshr_b32 s21, s7, s15
.LBB158_3:
	s_load_dword s22, s[2:3], 0x78
	s_andn2_b64 vcc, exec, s[12:13]
	s_cbranch_vccnz .LBB158_6
; %bb.4:
	s_mul_hi_u32 s7, s17, s20
	s_add_i32 s7, s20, s7
	s_lshr_b32 s7, s7, s18
	s_mul_i32 s7, s7, s19
	s_sub_i32 s17, s20, s7
	s_branch .LBB158_7
.LBB158_5:
                                        ; implicit-def: $sgpr21
	s_load_dwordx4 s[8:11], s[2:3], 0x68
	s_load_dword s5, s[2:3], 0x50
	s_branch .LBB158_2
.LBB158_6:
	s_mov_b32 s17, s20
.LBB158_7:
	s_load_dwordx2 s[18:19], s[0:1], 0x4
	s_load_dwordx4 s[12:15], s[2:3], 0x80
	v_bfe_u32 v34, v0, 10, 10
	v_and_b32_e32 v33, 0x3ff, v0
	v_bfe_u32 v0, v0, 20, 10
	s_waitcnt lgkmcnt(0)
	s_lshr_b32 s0, s18, 16
	v_mul_u32_u24_e32 v1, s19, v34
	s_mul_i32 s0, s0, s19
	v_mad_u32_u24 v1, s0, v33, v1
	v_add_lshl_u32 v1, v1, v0, 3
	v_lshl_add_u32 v0, v34, 6, v33
	s_lshr_b32 s15, s16, 8
	v_lshrrev_b32_e32 v35, 3, v0
	v_add_u32_e32 v32, 0x200, v1
	s_lshl_b32 s7, s4, 1
	v_mov_b32_e32 v11, 0
	v_cmp_gt_u32_e32 vcc, s15, v35
	v_mov_b32_e32 v10, 0
	ds_write2_b32 v1, v11, v11 offset0:128 offset1:129
	s_and_saveexec_b64 s[0:1], vcc
	s_cbranch_execz .LBB158_11
; %bb.8:
	s_mul_i32 s4, s17, s9
	s_mul_hi_u32 s9, s11, s6
	s_add_i32 s9, s6, s9
	s_lshr_b32 s9, s9, s22
	s_mul_i32 s8, s21, s8
	s_mul_i32 s9, s9, s12
	s_add_i32 s16, s9, s8
	s_add_i32 s8, s7, 1
	v_lshlrev_b32_e32 v1, 1, v33
	s_mul_i32 s11, s7, s5
	s_mul_i32 s5, s5, s8
	s_load_dwordx4 s[24:27], s[2:3], 0x0
	v_and_b32_e32 v1, 14, v1
	s_add_i32 s11, s16, s11
	s_add_i32 s16, s16, s5
	s_mul_hi_u32 s5, s4, 36
	s_mul_i32 s4, s4, 36
	v_lshlrev_b32_e32 v2, 1, v1
	v_lshrrev_b32_e32 v4, 3, v0
	v_mov_b32_e32 v0, s4
	v_mov_b32_e32 v1, s5
	s_movk_i32 s4, 0x120
	s_mul_i32 s13, s6, s13
	v_mad_u64_u32 v[0:1], s[4:5], v4, s4, v[0:1]
	v_and_b32_e32 v3, 7, v33
	v_mad_u64_u32 v[0:1], s[4:5], s13, 36, v[0:1]
	v_mad_u64_u32 v[0:1], s[4:5], v3, 36, v[0:1]
	v_mov_b32_e32 v9, 0
	s_waitcnt lgkmcnt(0)
	v_lshl_add_u64 v[0:1], v[0:1], 0, s[26:27]
	v_lshl_add_u64 v[12:13], v[0:1], 0, 16
	s_mov_b64 s[4:5], 0
	s_movk_i32 s17, 0x42
	v_mov_b64_e32 v[14:15], s[24:25]
	v_lshlrev_b32_e32 v8, 1, v2
	s_mov_b32 s18, 0x1010101
	s_movk_i32 s19, 0xff00
	s_mov_b64 s[8:9], 0x1200
	v_mov_b32_e32 v36, 3
	v_mov_b32_e32 v37, 8
	;; [unrolled: 1-line block ×4, first 2 shown]
.LBB158_9:                              ; =>This Inner Loop Header: Depth=1
	v_add_u32_e32 v16, s11, v35
	v_mad_i64_i32 v[18:19], s[12:13], v16, s17, v[14:15]
	v_lshl_add_u64 v[16:17], v[18:19], 0, v[8:9]
	global_load_dword v38, v[12:13], off offset:16
	global_load_dwordx4 v[0:3], v[12:13], off
	global_load_dwordx4 v[4:7], v[12:13], off offset:-16
	s_getpc_b64 s[12:13]
	s_add_u32 s12, s12, _ZL11iq2xxs_grid@rel32@lo+4
	s_addc_u32 s13, s13, _ZL11iq2xxs_grid@rel32@hi+12
	global_load_dwordx2 v[16:17], v[16:17], off offset:2
	v_mov_b32_e32 v39, 0
	v_lshl_add_u64 v[12:13], v[12:13], 0, s[8:9]
	s_waitcnt vmcnt(1)
	v_cvt_f32_f16_e32 v4, v4
	s_waitcnt vmcnt(0)
	v_lshlrev_b32_sdwa v20, v36, v16 dst_sel:DWORD dst_unused:UNUSED_PAD src0_sel:DWORD src1_sel:BYTE_0
	global_load_dwordx2 v[20:21], v20, s[12:13]
	v_and_b32_e32 v22, 0xff, v17
	v_bcnt_u32_b32 v23, v22, 0
	v_and_b32_e32 v23, 1, v23
	v_lshlrev_b32_e32 v23, 7, v23
	v_xor_b32_e32 v22, v23, v22
	v_mul_lo_u32 v22, v22, s18
	v_and_b32_e32 v23, 0x8000000, v22
	v_lshrrev_b32_e32 v25, 8, v22
	v_lshrrev_b16_e32 v26, 1, v25
	v_cmp_ne_u16_sdwa s[22:23], v23, v9 src0_sel:BYTE_3 src1_sel:DWORD
	v_and_b32_e32 v24, 1, v17
	v_bfe_i32 v26, v26, 0, 1
	v_lshrrev_b32_e32 v27, 18, v22
	v_cndmask_b32_e64 v23, 0, -1, s[22:23]
	v_sub_u16_e32 v24, 0, v24
	v_bfe_i32 v27, v27, 0, 1
	v_lshlrev_b16_e32 v23, 8, v23
	v_lshlrev_b16_e32 v26, 8, v26
	v_or_b32_sdwa v28, v27, v23 dst_sel:WORD_1 dst_unused:UNUSED_PAD src0_sel:BYTE_0 src1_sel:DWORD
	v_or_b32_sdwa v29, v24, v26 dst_sel:DWORD dst_unused:UNUSED_PAD src0_sel:BYTE_0 src1_sel:DWORD
	v_or_b32_sdwa v28, v29, v28 dst_sel:DWORD dst_unused:UNUSED_PAD src0_sel:WORD_0 src1_sel:DWORD
	v_lshlrev_b16_e32 v24, 8, v24
	v_bfe_i32 v43, v17, 7, 1
	v_bfe_i32 v42, v17, 14, 1
	s_waitcnt vmcnt(0)
	v_xor_b32_e32 v20, v20, v28
	v_and_b32_e32 v28, 0xffffff00, v20
	v_sub_i16 v26, v28, v26 clamp
	v_lshlrev_b16_e32 v28, 8, v20
	v_and_b32_e32 v26, 0xffffff00, v26
	v_sub_i16 v24, v28, v24 clamp
	v_or_b32_sdwa v24, v24, v26 dst_sel:DWORD dst_unused:UNUSED_PAD src0_sel:BYTE_1 src1_sel:DWORD
	v_and_b32_sdwa v26, v20, s19 dst_sel:DWORD dst_unused:UNUSED_PAD src0_sel:WORD_1 src1_sel:DWORD
	v_sub_i16 v23, v26, v23 clamp
	v_lshlrev_b16_sdwa v20, v37, v20 dst_sel:DWORD dst_unused:UNUSED_PAD src0_sel:DWORD src1_sel:WORD_1
	v_lshlrev_b16_e32 v26, 8, v27
	v_and_b32_e32 v23, 0xffffff00, v23
	v_sub_i16 v20, v20, v26 clamp
	v_or_b32_sdwa v20, v20, v23 dst_sel:WORD_1 dst_unused:UNUSED_PAD src0_sel:BYTE_1 src1_sel:DWORD
	v_bfe_i32 v23, v17, 4, 1
	v_or_b32_sdwa v20, v24, v20 dst_sel:DWORD dst_unused:UNUSED_PAD src0_sel:WORD_0 src1_sel:DWORD
	v_dot4c_i32_i8_e32 v39, v20, v5
	v_and_b32_e32 v20, 0x80000000, v22
	v_lshrrev_b16_e32 v24, 5, v25
	v_cmp_ne_u16_sdwa s[22:23], v20, v9 src0_sel:BYTE_3 src1_sel:DWORD
	v_bfe_i32 v24, v24, 0, 1
	v_lshrrev_b32_e32 v22, 22, v22
	v_cndmask_b32_e64 v20, 0, -1, s[22:23]
	v_bfe_i32 v22, v22, 0, 1
	v_lshlrev_b16_e32 v20, 8, v20
	v_lshlrev_b16_e32 v24, 8, v24
	v_or_b32_sdwa v25, v22, v20 dst_sel:WORD_1 dst_unused:UNUSED_PAD src0_sel:BYTE_0 src1_sel:DWORD
	v_or_b32_sdwa v26, v23, v24 dst_sel:DWORD dst_unused:UNUSED_PAD src0_sel:BYTE_0 src1_sel:DWORD
	v_or_b32_sdwa v25, v26, v25 dst_sel:DWORD dst_unused:UNUSED_PAD src0_sel:WORD_0 src1_sel:DWORD
	v_xor_b32_e32 v21, v21, v25
	v_and_b32_e32 v25, 0xffffff00, v21
	v_sub_i16 v24, v25, v24 clamp
	v_lshlrev_b16_e32 v25, 8, v21
	v_lshlrev_b16_e32 v23, 8, v23
	v_and_b32_e32 v24, 0xffffff00, v24
	v_sub_i16 v23, v25, v23 clamp
	v_or_b32_sdwa v23, v23, v24 dst_sel:DWORD dst_unused:UNUSED_PAD src0_sel:BYTE_1 src1_sel:DWORD
	v_and_b32_sdwa v24, v21, s19 dst_sel:DWORD dst_unused:UNUSED_PAD src0_sel:WORD_1 src1_sel:DWORD
	v_sub_i16 v20, v24, v20 clamp
	v_lshlrev_b16_sdwa v21, v37, v21 dst_sel:DWORD dst_unused:UNUSED_PAD src0_sel:DWORD src1_sel:WORD_1
	v_lshlrev_b16_e32 v22, 8, v22
	v_and_b32_e32 v20, 0xffffff00, v20
	v_sub_i16 v21, v21, v22 clamp
	v_or_b32_sdwa v20, v21, v20 dst_sel:WORD_1 dst_unused:UNUSED_PAD src0_sel:BYTE_1 src1_sel:DWORD
	s_nop 0
	v_or_b32_sdwa v20, v23, v20 dst_sel:DWORD dst_unused:UNUSED_PAD src0_sel:WORD_0 src1_sel:DWORD
	v_dot4c_i32_i8_e32 v39, v20, v6
	v_lshlrev_b32_sdwa v20, v36, v16 dst_sel:DWORD dst_unused:UNUSED_PAD src0_sel:DWORD src1_sel:BYTE_1
	global_load_dwordx2 v[30:31], v20, s[12:13]
	v_lshlrev_b32_sdwa v20, v36, v16 dst_sel:DWORD dst_unused:UNUSED_PAD src0_sel:DWORD src1_sel:BYTE_2
	global_load_dwordx2 v[28:29], v20, s[12:13]
	v_lshlrev_b32_sdwa v20, v36, v16 dst_sel:DWORD dst_unused:UNUSED_PAD src0_sel:DWORD src1_sel:BYTE_3
	global_load_dwordx2 v[24:25], v20, s[12:13]
	global_load_ushort v16, v[18:19], off
	v_add_u32_e32 v18, s16, v35
	v_mad_i64_i32 v[44:45], s[22:23], v18, s17, v[14:15]
	v_lshl_add_u64 v[18:19], v[44:45], 0, v[8:9]
	global_load_dwordx2 v[18:19], v[18:19], off offset:2
	v_add_u32_e32 v35, 16, v35
	v_cmp_le_u32_e32 vcc, s15, v35
	s_or_b64 s[4:5], vcc, s[4:5]
	s_waitcnt vmcnt(0)
	v_lshlrev_b32_sdwa v20, v36, v18 dst_sel:DWORD dst_unused:UNUSED_PAD src0_sel:DWORD src1_sel:BYTE_0
	global_load_dwordx2 v[20:21], v20, s[12:13]
	v_and_b32_e32 v22, 0xff, v19
	v_bcnt_u32_b32 v23, v22, 0
	v_and_b32_e32 v23, 1, v23
	v_lshlrev_b32_e32 v23, 7, v23
	v_xor_b32_e32 v22, v23, v22
	v_mul_lo_u32 v22, v22, s18
	v_and_b32_e32 v23, 0x8000000, v22
	v_lshrrev_b32_e32 v27, 8, v22
	v_lshrrev_b16_e32 v40, 1, v27
	v_cmp_ne_u16_sdwa s[22:23], v23, v9 src0_sel:BYTE_3 src1_sel:DWORD
	v_and_b32_e32 v26, 1, v19
	v_bfe_i32 v40, v40, 0, 1
	v_lshrrev_b32_e32 v41, 18, v22
	v_cndmask_b32_e64 v23, 0, -1, s[22:23]
	v_sub_u16_e32 v26, 0, v26
	v_bfe_i32 v41, v41, 0, 1
	v_lshlrev_b16_e32 v23, 8, v23
	v_lshlrev_b16_e32 v40, 8, v40
	v_or_b32_sdwa v46, v41, v23 dst_sel:WORD_1 dst_unused:UNUSED_PAD src0_sel:BYTE_0 src1_sel:DWORD
	v_or_b32_sdwa v47, v26, v40 dst_sel:DWORD dst_unused:UNUSED_PAD src0_sel:BYTE_0 src1_sel:DWORD
	v_or_b32_sdwa v46, v47, v46 dst_sel:DWORD dst_unused:UNUSED_PAD src0_sel:WORD_0 src1_sel:DWORD
	v_lshlrev_b16_e32 v26, 8, v26
	s_waitcnt vmcnt(0)
	v_xor_b32_e32 v20, v20, v46
	v_and_b32_e32 v46, 0xffffff00, v20
	v_sub_i16 v40, v46, v40 clamp
	v_lshlrev_b16_e32 v46, 8, v20
	v_and_b32_e32 v40, 0xffffff00, v40
	v_sub_i16 v26, v46, v26 clamp
	v_or_b32_sdwa v26, v26, v40 dst_sel:DWORD dst_unused:UNUSED_PAD src0_sel:BYTE_1 src1_sel:DWORD
	v_and_b32_sdwa v40, v20, s19 dst_sel:DWORD dst_unused:UNUSED_PAD src0_sel:WORD_1 src1_sel:DWORD
	v_sub_i16 v23, v40, v23 clamp
	v_lshlrev_b16_sdwa v20, v37, v20 dst_sel:DWORD dst_unused:UNUSED_PAD src0_sel:DWORD src1_sel:WORD_1
	v_lshlrev_b16_e32 v40, 8, v41
	v_and_b32_e32 v23, 0xffffff00, v23
	v_sub_i16 v20, v20, v40 clamp
	v_or_b32_sdwa v20, v20, v23 dst_sel:WORD_1 dst_unused:UNUSED_PAD src0_sel:BYTE_1 src1_sel:DWORD
	v_mov_b32_e32 v40, 0
	v_or_b32_sdwa v20, v26, v20 dst_sel:DWORD dst_unused:UNUSED_PAD src0_sel:WORD_0 src1_sel:DWORD
	v_dot4c_i32_i8_e32 v40, v20, v5
	v_and_b32_e32 v5, 0x80000000, v22
	v_lshrrev_b16_e32 v23, 5, v27
	v_cmp_ne_u16_sdwa s[22:23], v5, v9 src0_sel:BYTE_3 src1_sel:DWORD
	v_bfe_i32 v23, v23, 0, 1
	v_lshrrev_b32_e32 v22, 22, v22
	v_cndmask_b32_e64 v5, 0, -1, s[22:23]
	v_bfe_i32 v20, v19, 4, 1
	v_bfe_i32 v22, v22, 0, 1
	v_lshlrev_b16_e32 v5, 8, v5
	v_lshlrev_b16_e32 v23, 8, v23
	v_or_b32_sdwa v26, v22, v5 dst_sel:WORD_1 dst_unused:UNUSED_PAD src0_sel:BYTE_0 src1_sel:DWORD
	v_or_b32_sdwa v27, v20, v23 dst_sel:DWORD dst_unused:UNUSED_PAD src0_sel:BYTE_0 src1_sel:DWORD
	v_or_b32_sdwa v26, v27, v26 dst_sel:DWORD dst_unused:UNUSED_PAD src0_sel:WORD_0 src1_sel:DWORD
	v_xor_b32_e32 v21, v21, v26
	v_and_b32_e32 v26, 0xffffff00, v21
	v_sub_i16 v23, v26, v23 clamp
	v_lshlrev_b16_e32 v26, 8, v21
	v_lshlrev_b16_e32 v20, 8, v20
	v_and_b32_e32 v23, 0xffffff00, v23
	v_sub_i16 v20, v26, v20 clamp
	v_or_b32_sdwa v20, v20, v23 dst_sel:DWORD dst_unused:UNUSED_PAD src0_sel:BYTE_1 src1_sel:DWORD
	v_and_b32_sdwa v23, v21, s19 dst_sel:DWORD dst_unused:UNUSED_PAD src0_sel:WORD_1 src1_sel:DWORD
	v_sub_i16 v5, v23, v5 clamp
	v_lshlrev_b16_sdwa v21, v37, v21 dst_sel:DWORD dst_unused:UNUSED_PAD src0_sel:DWORD src1_sel:WORD_1
	v_lshlrev_b16_e32 v22, 8, v22
	v_and_b32_e32 v5, 0xffffff00, v5
	v_sub_i16 v21, v21, v22 clamp
	v_or_b32_sdwa v5, v21, v5 dst_sel:WORD_1 dst_unused:UNUSED_PAD src0_sel:BYTE_1 src1_sel:DWORD
	v_bfe_i32 v41, v19, 7, 1
	v_or_b32_sdwa v5, v20, v5 dst_sel:DWORD dst_unused:UNUSED_PAD src0_sel:WORD_0 src1_sel:DWORD
	v_dot4c_i32_i8_e32 v40, v5, v6
	v_lshlrev_b32_sdwa v5, v36, v18 dst_sel:DWORD dst_unused:UNUSED_PAD src0_sel:DWORD src1_sel:BYTE_1
	global_load_dwordx2 v[26:27], v5, s[12:13]
	v_lshlrev_b32_sdwa v5, v36, v18 dst_sel:DWORD dst_unused:UNUSED_PAD src0_sel:DWORD src1_sel:BYTE_2
	v_lshlrev_b32_sdwa v18, v36, v18 dst_sel:DWORD dst_unused:UNUSED_PAD src0_sel:DWORD src1_sel:BYTE_3
	global_load_dwordx2 v[22:23], v5, s[12:13]
	global_load_dwordx2 v[20:21], v18, s[12:13]
	s_nop 0
	global_load_ushort v5, v[44:45], off
	v_bfe_u32 v18, v17, 7, 8
	v_bcnt_u32_b32 v44, v18, 0
	v_and_b32_e32 v44, 1, v44
	v_lshlrev_b32_e32 v44, 7, v44
	v_xor_b32_e32 v18, v44, v18
	v_mul_lo_u32 v18, v18, s18
	v_and_b32_e32 v44, 0x8000000, v18
	v_lshrrev_b32_e32 v45, 8, v18
	v_lshrrev_b16_e32 v46, 1, v45
	v_cmp_ne_u16_sdwa s[12:13], v44, v9 src0_sel:BYTE_3 src1_sel:DWORD
	v_bfe_i32 v46, v46, 0, 1
	v_lshrrev_b32_e32 v47, 18, v18
	v_cndmask_b32_e64 v44, 0, -1, s[12:13]
	v_bfe_i32 v47, v47, 0, 1
	v_lshlrev_b16_e32 v44, 8, v44
	v_lshlrev_b16_e32 v46, 8, v46
	v_or_b32_sdwa v48, v47, v44 dst_sel:WORD_1 dst_unused:UNUSED_PAD src0_sel:BYTE_0 src1_sel:DWORD
	v_or_b32_sdwa v49, v43, v46 dst_sel:DWORD dst_unused:UNUSED_PAD src0_sel:BYTE_0 src1_sel:DWORD
	v_or_b32_sdwa v48, v49, v48 dst_sel:DWORD dst_unused:UNUSED_PAD src0_sel:WORD_0 src1_sel:DWORD
	v_xor_b32_e32 v30, v30, v48
	v_and_b32_e32 v48, 0xffffff00, v30
	v_sub_i16 v46, v48, v46 clamp
	v_lshlrev_b16_e32 v48, 8, v30
	v_lshlrev_b16_e32 v43, 8, v43
	v_and_b32_e32 v46, 0xffffff00, v46
	v_sub_i16 v43, v48, v43 clamp
	v_or_b32_sdwa v43, v43, v46 dst_sel:DWORD dst_unused:UNUSED_PAD src0_sel:BYTE_1 src1_sel:DWORD
	v_and_b32_sdwa v46, v30, s19 dst_sel:DWORD dst_unused:UNUSED_PAD src0_sel:WORD_1 src1_sel:DWORD
	v_sub_i16 v44, v46, v44 clamp
	v_lshlrev_b16_sdwa v30, v37, v30 dst_sel:DWORD dst_unused:UNUSED_PAD src0_sel:DWORD src1_sel:WORD_1
	v_lshlrev_b16_e32 v46, 8, v47
	v_and_b32_e32 v44, 0xffffff00, v44
	v_sub_i16 v30, v30, v46 clamp
	v_or_b32_sdwa v30, v30, v44 dst_sel:WORD_1 dst_unused:UNUSED_PAD src0_sel:BYTE_1 src1_sel:DWORD
	v_lshrrev_b16_e32 v44, 5, v45
	v_or_b32_sdwa v30, v43, v30 dst_sel:DWORD dst_unused:UNUSED_PAD src0_sel:WORD_0 src1_sel:DWORD
	v_dot4c_i32_i8_e32 v39, v30, v7
	v_and_b32_e32 v30, 0x80000000, v18
	v_cmp_ne_u16_sdwa s[12:13], v30, v9 src0_sel:BYTE_3 src1_sel:DWORD
	v_bfe_i32 v44, v44, 0, 1
	v_lshrrev_b32_e32 v18, 22, v18
	v_cndmask_b32_e64 v30, 0, -1, s[12:13]
	v_bfe_i32 v43, v17, 11, 1
	v_bfe_i32 v18, v18, 0, 1
	v_lshlrev_b16_e32 v30, 8, v30
	v_lshlrev_b16_e32 v44, 8, v44
	v_or_b32_sdwa v45, v18, v30 dst_sel:WORD_1 dst_unused:UNUSED_PAD src0_sel:BYTE_0 src1_sel:DWORD
	v_or_b32_sdwa v46, v43, v44 dst_sel:DWORD dst_unused:UNUSED_PAD src0_sel:BYTE_0 src1_sel:DWORD
	v_or_b32_sdwa v45, v46, v45 dst_sel:DWORD dst_unused:UNUSED_PAD src0_sel:WORD_0 src1_sel:DWORD
	v_xor_b32_e32 v31, v31, v45
	v_and_b32_e32 v45, 0xffffff00, v31
	v_sub_i16 v44, v45, v44 clamp
	v_lshlrev_b16_e32 v45, 8, v31
	v_lshlrev_b16_e32 v43, 8, v43
	v_and_b32_e32 v44, 0xffffff00, v44
	v_sub_i16 v43, v45, v43 clamp
	v_or_b32_sdwa v43, v43, v44 dst_sel:DWORD dst_unused:UNUSED_PAD src0_sel:BYTE_1 src1_sel:DWORD
	v_and_b32_sdwa v44, v31, s19 dst_sel:DWORD dst_unused:UNUSED_PAD src0_sel:WORD_1 src1_sel:DWORD
	v_sub_i16 v30, v44, v30 clamp
	v_lshlrev_b16_sdwa v31, v37, v31 dst_sel:DWORD dst_unused:UNUSED_PAD src0_sel:DWORD src1_sel:WORD_1
	v_lshlrev_b16_e32 v18, 8, v18
	v_and_b32_e32 v30, 0xffffff00, v30
	v_sub_i16 v18, v31, v18 clamp
	v_or_b32_sdwa v18, v18, v30 dst_sel:WORD_1 dst_unused:UNUSED_PAD src0_sel:BYTE_1 src1_sel:DWORD
	v_bfe_i32 v6, v19, 14, 1
	v_or_b32_sdwa v18, v43, v18 dst_sel:DWORD dst_unused:UNUSED_PAD src0_sel:WORD_0 src1_sel:DWORD
	v_dot4c_i32_i8_e32 v39, v18, v0
	v_bfe_u32 v18, v17, 14, 8
	v_bcnt_u32_b32 v30, v18, 0
	v_and_b32_e32 v30, 1, v30
	v_lshlrev_b32_e32 v30, 7, v30
	v_xor_b32_e32 v18, v30, v18
	v_mul_lo_u32 v18, v18, s18
	v_and_b32_e32 v30, 0x8000000, v18
	v_lshrrev_b32_e32 v31, 8, v18
	v_lshrrev_b16_e32 v43, 1, v31
	v_cmp_ne_u16_sdwa s[12:13], v30, v9 src0_sel:BYTE_3 src1_sel:DWORD
	v_bfe_i32 v43, v43, 0, 1
	v_lshrrev_b32_e32 v44, 18, v18
	v_cndmask_b32_e64 v30, 0, -1, s[12:13]
	v_bfe_i32 v44, v44, 0, 1
	v_lshlrev_b16_e32 v30, 8, v30
	v_lshlrev_b16_e32 v43, 8, v43
	v_or_b32_sdwa v45, v44, v30 dst_sel:WORD_1 dst_unused:UNUSED_PAD src0_sel:BYTE_0 src1_sel:DWORD
	v_or_b32_sdwa v46, v42, v43 dst_sel:DWORD dst_unused:UNUSED_PAD src0_sel:BYTE_0 src1_sel:DWORD
	v_or_b32_sdwa v45, v46, v45 dst_sel:DWORD dst_unused:UNUSED_PAD src0_sel:WORD_0 src1_sel:DWORD
	v_xor_b32_e32 v28, v28, v45
	v_and_b32_e32 v45, 0xffffff00, v28
	v_sub_i16 v43, v45, v43 clamp
	v_lshlrev_b16_e32 v45, 8, v28
	v_lshlrev_b16_e32 v42, 8, v42
	v_and_b32_e32 v43, 0xffffff00, v43
	v_sub_i16 v42, v45, v42 clamp
	v_or_b32_sdwa v42, v42, v43 dst_sel:DWORD dst_unused:UNUSED_PAD src0_sel:BYTE_1 src1_sel:DWORD
	v_and_b32_sdwa v43, v28, s19 dst_sel:DWORD dst_unused:UNUSED_PAD src0_sel:WORD_1 src1_sel:DWORD
	v_sub_i16 v30, v43, v30 clamp
	v_lshlrev_b16_sdwa v28, v37, v28 dst_sel:DWORD dst_unused:UNUSED_PAD src0_sel:DWORD src1_sel:WORD_1
	v_lshlrev_b16_e32 v43, 8, v44
	v_and_b32_e32 v30, 0xffffff00, v30
	v_sub_i16 v28, v28, v43 clamp
	v_or_b32_sdwa v28, v28, v30 dst_sel:WORD_1 dst_unused:UNUSED_PAD src0_sel:BYTE_1 src1_sel:DWORD
	v_lshrrev_b16_e32 v31, 5, v31
	v_or_b32_sdwa v28, v42, v28 dst_sel:DWORD dst_unused:UNUSED_PAD src0_sel:WORD_0 src1_sel:DWORD
	v_dot4c_i32_i8_e32 v39, v28, v1
	v_and_b32_e32 v28, 0x80000000, v18
	v_cmp_ne_u16_sdwa s[12:13], v28, v9 src0_sel:BYTE_3 src1_sel:DWORD
	v_bfe_i32 v31, v31, 0, 1
	v_lshrrev_b32_e32 v18, 22, v18
	v_cndmask_b32_e64 v28, 0, -1, s[12:13]
	v_bfe_i32 v30, v17, 18, 1
	v_bfe_i32 v18, v18, 0, 1
	v_lshlrev_b16_e32 v28, 8, v28
	v_lshlrev_b16_e32 v31, 8, v31
	v_or_b32_sdwa v42, v18, v28 dst_sel:WORD_1 dst_unused:UNUSED_PAD src0_sel:BYTE_0 src1_sel:DWORD
	v_or_b32_sdwa v43, v30, v31 dst_sel:DWORD dst_unused:UNUSED_PAD src0_sel:BYTE_0 src1_sel:DWORD
	v_or_b32_sdwa v42, v43, v42 dst_sel:DWORD dst_unused:UNUSED_PAD src0_sel:WORD_0 src1_sel:DWORD
	v_xor_b32_e32 v29, v29, v42
	v_and_b32_e32 v42, 0xffffff00, v29
	v_sub_i16 v31, v42, v31 clamp
	v_lshlrev_b16_e32 v42, 8, v29
	v_lshlrev_b16_e32 v30, 8, v30
	v_and_b32_e32 v31, 0xffffff00, v31
	v_sub_i16 v30, v42, v30 clamp
	v_or_b32_sdwa v30, v30, v31 dst_sel:DWORD dst_unused:UNUSED_PAD src0_sel:BYTE_1 src1_sel:DWORD
	v_and_b32_sdwa v31, v29, s19 dst_sel:DWORD dst_unused:UNUSED_PAD src0_sel:WORD_1 src1_sel:DWORD
	v_sub_i16 v28, v31, v28 clamp
	v_lshlrev_b16_sdwa v29, v37, v29 dst_sel:DWORD dst_unused:UNUSED_PAD src0_sel:DWORD src1_sel:WORD_1
	v_lshlrev_b16_e32 v18, 8, v18
	v_and_b32_e32 v28, 0xffffff00, v28
	v_sub_i16 v18, v29, v18 clamp
	v_or_b32_sdwa v18, v18, v28 dst_sel:WORD_1 dst_unused:UNUSED_PAD src0_sel:BYTE_1 src1_sel:DWORD
	v_bfe_i32 v29, v17, 21, 1
	v_or_b32_sdwa v18, v30, v18 dst_sel:DWORD dst_unused:UNUSED_PAD src0_sel:WORD_0 src1_sel:DWORD
	v_dot4c_i32_i8_e32 v39, v18, v2
	v_bfe_u32 v18, v17, 21, 8
	v_bcnt_u32_b32 v28, v18, 0
	v_and_b32_e32 v28, 1, v28
	v_lshlrev_b32_e32 v28, 7, v28
	v_xor_b32_e32 v18, v28, v18
	v_mul_lo_u32 v18, v18, s18
	v_and_b32_e32 v28, 0x8000000, v18
	v_lshrrev_b32_e32 v30, 8, v18
	v_lshrrev_b16_e32 v31, 1, v30
	v_cmp_ne_u16_sdwa s[12:13], v28, v9 src0_sel:BYTE_3 src1_sel:DWORD
	v_bfe_i32 v31, v31, 0, 1
	v_lshrrev_b32_e32 v42, 18, v18
	v_cndmask_b32_e64 v28, 0, -1, s[12:13]
	v_bfe_i32 v42, v42, 0, 1
	v_lshlrev_b16_e32 v28, 8, v28
	v_lshlrev_b16_e32 v31, 8, v31
	v_or_b32_sdwa v43, v42, v28 dst_sel:WORD_1 dst_unused:UNUSED_PAD src0_sel:BYTE_0 src1_sel:DWORD
	v_or_b32_sdwa v44, v29, v31 dst_sel:DWORD dst_unused:UNUSED_PAD src0_sel:BYTE_0 src1_sel:DWORD
	v_or_b32_sdwa v43, v44, v43 dst_sel:DWORD dst_unused:UNUSED_PAD src0_sel:WORD_0 src1_sel:DWORD
	v_xor_b32_e32 v24, v24, v43
	v_and_b32_e32 v43, 0xffffff00, v24
	v_sub_i16 v31, v43, v31 clamp
	v_lshlrev_b16_e32 v43, 8, v24
	v_lshlrev_b16_e32 v29, 8, v29
	v_and_b32_e32 v31, 0xffffff00, v31
	v_sub_i16 v29, v43, v29 clamp
	v_or_b32_sdwa v29, v29, v31 dst_sel:DWORD dst_unused:UNUSED_PAD src0_sel:BYTE_1 src1_sel:DWORD
	v_and_b32_sdwa v31, v24, s19 dst_sel:DWORD dst_unused:UNUSED_PAD src0_sel:WORD_1 src1_sel:DWORD
	v_sub_i16 v28, v31, v28 clamp
	v_lshlrev_b16_sdwa v24, v37, v24 dst_sel:DWORD dst_unused:UNUSED_PAD src0_sel:DWORD src1_sel:WORD_1
	v_lshlrev_b16_e32 v31, 8, v42
	v_and_b32_e32 v28, 0xffffff00, v28
	v_sub_i16 v24, v24, v31 clamp
	v_or_b32_sdwa v24, v24, v28 dst_sel:WORD_1 dst_unused:UNUSED_PAD src0_sel:BYTE_1 src1_sel:DWORD
	v_bfe_i32 v28, v17, 25, 1
	v_or_b32_sdwa v24, v29, v24 dst_sel:DWORD dst_unused:UNUSED_PAD src0_sel:WORD_0 src1_sel:DWORD
	v_dot4c_i32_i8_e32 v39, v24, v3
	v_and_b32_e32 v24, 0x80000000, v18
	v_lshrrev_b16_e32 v29, 5, v30
	v_cmp_ne_u16_sdwa s[12:13], v24, v9 src0_sel:BYTE_3 src1_sel:DWORD
	v_bfe_i32 v29, v29, 0, 1
	v_lshrrev_b32_e32 v18, 22, v18
	v_cndmask_b32_e64 v24, 0, -1, s[12:13]
	v_bfe_i32 v18, v18, 0, 1
	v_lshlrev_b16_e32 v24, 8, v24
	v_lshlrev_b16_e32 v29, 8, v29
	v_or_b32_sdwa v30, v18, v24 dst_sel:WORD_1 dst_unused:UNUSED_PAD src0_sel:BYTE_0 src1_sel:DWORD
	v_or_b32_sdwa v31, v28, v29 dst_sel:DWORD dst_unused:UNUSED_PAD src0_sel:BYTE_0 src1_sel:DWORD
	v_or_b32_sdwa v30, v31, v30 dst_sel:DWORD dst_unused:UNUSED_PAD src0_sel:WORD_0 src1_sel:DWORD
	v_xor_b32_e32 v25, v25, v30
	v_and_b32_e32 v30, 0xffffff00, v25
	v_sub_i16 v29, v30, v29 clamp
	v_lshlrev_b16_e32 v30, 8, v25
	v_lshlrev_b16_e32 v28, 8, v28
	v_and_b32_e32 v29, 0xffffff00, v29
	v_sub_i16 v28, v30, v28 clamp
	v_or_b32_sdwa v28, v28, v29 dst_sel:DWORD dst_unused:UNUSED_PAD src0_sel:BYTE_1 src1_sel:DWORD
	v_and_b32_sdwa v29, v25, s19 dst_sel:DWORD dst_unused:UNUSED_PAD src0_sel:WORD_1 src1_sel:DWORD
	v_sub_i16 v24, v29, v24 clamp
	v_lshlrev_b16_sdwa v25, v37, v25 dst_sel:DWORD dst_unused:UNUSED_PAD src0_sel:DWORD src1_sel:WORD_1
	v_lshlrev_b16_e32 v18, 8, v18
	v_and_b32_e32 v24, 0xffffff00, v24
	v_sub_i16 v18, v25, v18 clamp
	v_or_b32_sdwa v18, v18, v24 dst_sel:WORD_1 dst_unused:UNUSED_PAD src0_sel:BYTE_1 src1_sel:DWORD
	s_nop 0
	v_or_b32_sdwa v18, v28, v18 dst_sel:DWORD dst_unused:UNUSED_PAD src0_sel:WORD_0 src1_sel:DWORD
	v_dot4c_i32_i8_e32 v39, v18, v38
	v_bfe_u32 v18, v19, 7, 8
	v_bcnt_u32_b32 v24, v18, 0
	v_and_b32_e32 v24, 1, v24
	v_lshlrev_b32_e32 v24, 7, v24
	v_xor_b32_e32 v18, v24, v18
	v_mul_lo_u32 v18, v18, s18
	v_and_b32_e32 v24, 0x8000000, v18
	v_lshrrev_b32_e32 v25, 8, v18
	v_lshrrev_b16_e32 v28, 1, v25
	v_cmp_ne_u16_sdwa s[12:13], v24, v9 src0_sel:BYTE_3 src1_sel:DWORD
	v_bfe_i32 v28, v28, 0, 1
	v_lshrrev_b32_e32 v29, 18, v18
	v_cndmask_b32_e64 v24, 0, -1, s[12:13]
	v_bfe_i32 v29, v29, 0, 1
	v_lshlrev_b16_e32 v24, 8, v24
	v_lshlrev_b16_e32 v28, 8, v28
	v_or_b32_sdwa v30, v29, v24 dst_sel:WORD_1 dst_unused:UNUSED_PAD src0_sel:BYTE_0 src1_sel:DWORD
	v_or_b32_sdwa v31, v41, v28 dst_sel:DWORD dst_unused:UNUSED_PAD src0_sel:BYTE_0 src1_sel:DWORD
	v_or_b32_sdwa v30, v31, v30 dst_sel:DWORD dst_unused:UNUSED_PAD src0_sel:WORD_0 src1_sel:DWORD
	s_waitcnt vmcnt(3)
	v_xor_b32_e32 v26, v26, v30
	v_and_b32_e32 v30, 0xffffff00, v26
	v_sub_i16 v28, v30, v28 clamp
	v_lshlrev_b16_e32 v30, 8, v26
	v_lshlrev_b16_e32 v31, 8, v41
	v_and_b32_e32 v28, 0xffffff00, v28
	v_sub_i16 v30, v30, v31 clamp
	v_or_b32_sdwa v28, v30, v28 dst_sel:DWORD dst_unused:UNUSED_PAD src0_sel:BYTE_1 src1_sel:DWORD
	v_and_b32_sdwa v30, v26, s19 dst_sel:DWORD dst_unused:UNUSED_PAD src0_sel:WORD_1 src1_sel:DWORD
	v_sub_i16 v24, v30, v24 clamp
	v_lshlrev_b16_sdwa v26, v37, v26 dst_sel:DWORD dst_unused:UNUSED_PAD src0_sel:DWORD src1_sel:WORD_1
	v_lshlrev_b16_e32 v29, 8, v29
	v_and_b32_e32 v24, 0xffffff00, v24
	v_sub_i16 v26, v26, v29 clamp
	v_or_b32_sdwa v24, v26, v24 dst_sel:WORD_1 dst_unused:UNUSED_PAD src0_sel:BYTE_1 src1_sel:DWORD
	v_lshrrev_b16_e32 v25, 5, v25
	v_or_b32_sdwa v24, v28, v24 dst_sel:DWORD dst_unused:UNUSED_PAD src0_sel:WORD_0 src1_sel:DWORD
	v_dot4c_i32_i8_e32 v40, v24, v7
	v_and_b32_e32 v7, 0x80000000, v18
	v_cmp_ne_u16_sdwa s[12:13], v7, v9 src0_sel:BYTE_3 src1_sel:DWORD
	v_bfe_i32 v25, v25, 0, 1
	v_lshrrev_b32_e32 v18, 22, v18
	v_cndmask_b32_e64 v7, 0, -1, s[12:13]
	v_bfe_i32 v24, v19, 11, 1
	v_bfe_i32 v18, v18, 0, 1
	v_lshlrev_b16_e32 v7, 8, v7
	v_lshlrev_b16_e32 v25, 8, v25
	v_or_b32_sdwa v26, v18, v7 dst_sel:WORD_1 dst_unused:UNUSED_PAD src0_sel:BYTE_0 src1_sel:DWORD
	v_or_b32_sdwa v28, v24, v25 dst_sel:DWORD dst_unused:UNUSED_PAD src0_sel:BYTE_0 src1_sel:DWORD
	v_or_b32_sdwa v26, v28, v26 dst_sel:DWORD dst_unused:UNUSED_PAD src0_sel:WORD_0 src1_sel:DWORD
	v_xor_b32_e32 v26, v27, v26
	v_and_b32_e32 v27, 0xffffff00, v26
	v_sub_i16 v25, v27, v25 clamp
	v_lshlrev_b16_e32 v27, 8, v26
	v_lshlrev_b16_e32 v24, 8, v24
	v_and_b32_e32 v25, 0xffffff00, v25
	v_sub_i16 v24, v27, v24 clamp
	v_or_b32_sdwa v24, v24, v25 dst_sel:DWORD dst_unused:UNUSED_PAD src0_sel:BYTE_1 src1_sel:DWORD
	v_and_b32_sdwa v25, v26, s19 dst_sel:DWORD dst_unused:UNUSED_PAD src0_sel:WORD_1 src1_sel:DWORD
	v_sub_i16 v7, v25, v7 clamp
	v_lshlrev_b16_sdwa v25, v37, v26 dst_sel:DWORD dst_unused:UNUSED_PAD src0_sel:DWORD src1_sel:WORD_1
	v_lshlrev_b16_e32 v18, 8, v18
	v_and_b32_e32 v7, 0xffffff00, v7
	v_sub_i16 v18, v25, v18 clamp
	v_or_b32_sdwa v7, v18, v7 dst_sel:WORD_1 dst_unused:UNUSED_PAD src0_sel:BYTE_1 src1_sel:DWORD
	s_nop 0
	v_or_b32_sdwa v7, v24, v7 dst_sel:DWORD dst_unused:UNUSED_PAD src0_sel:WORD_0 src1_sel:DWORD
	v_dot4c_i32_i8_e32 v40, v7, v0
	v_bfe_u32 v0, v19, 14, 8
	v_bcnt_u32_b32 v7, v0, 0
	v_and_b32_e32 v7, 1, v7
	v_lshlrev_b32_e32 v7, 7, v7
	v_xor_b32_e32 v0, v7, v0
	v_mul_lo_u32 v0, v0, s18
	v_and_b32_e32 v7, 0x8000000, v0
	v_lshrrev_b32_e32 v18, 8, v0
	v_lshrrev_b16_e32 v24, 1, v18
	v_cmp_ne_u16_sdwa s[12:13], v7, v9 src0_sel:BYTE_3 src1_sel:DWORD
	v_bfe_i32 v24, v24, 0, 1
	v_lshrrev_b32_e32 v25, 18, v0
	v_cndmask_b32_e64 v7, 0, -1, s[12:13]
	v_bfe_i32 v25, v25, 0, 1
	v_lshlrev_b16_e32 v7, 8, v7
	v_lshlrev_b16_e32 v24, 8, v24
	v_or_b32_sdwa v26, v25, v7 dst_sel:WORD_1 dst_unused:UNUSED_PAD src0_sel:BYTE_0 src1_sel:DWORD
	v_or_b32_sdwa v27, v6, v24 dst_sel:DWORD dst_unused:UNUSED_PAD src0_sel:BYTE_0 src1_sel:DWORD
	v_or_b32_sdwa v26, v27, v26 dst_sel:DWORD dst_unused:UNUSED_PAD src0_sel:WORD_0 src1_sel:DWORD
	s_waitcnt vmcnt(2)
	v_xor_b32_e32 v22, v22, v26
	v_and_b32_e32 v26, 0xffffff00, v22
	v_sub_i16 v24, v26, v24 clamp
	v_lshlrev_b16_e32 v26, 8, v22
	v_lshlrev_b16_e32 v6, 8, v6
	v_and_b32_e32 v24, 0xffffff00, v24
	v_sub_i16 v6, v26, v6 clamp
	v_or_b32_sdwa v6, v6, v24 dst_sel:DWORD dst_unused:UNUSED_PAD src0_sel:BYTE_1 src1_sel:DWORD
	v_and_b32_sdwa v24, v22, s19 dst_sel:DWORD dst_unused:UNUSED_PAD src0_sel:WORD_1 src1_sel:DWORD
	v_sub_i16 v7, v24, v7 clamp
	v_lshlrev_b16_sdwa v22, v37, v22 dst_sel:DWORD dst_unused:UNUSED_PAD src0_sel:DWORD src1_sel:WORD_1
	v_lshlrev_b16_e32 v24, 8, v25
	v_and_b32_e32 v7, 0xffffff00, v7
	v_sub_i16 v22, v22, v24 clamp
	v_or_b32_sdwa v7, v22, v7 dst_sel:WORD_1 dst_unused:UNUSED_PAD src0_sel:BYTE_1 src1_sel:DWORD
	s_nop 0
	v_or_b32_sdwa v6, v6, v7 dst_sel:DWORD dst_unused:UNUSED_PAD src0_sel:WORD_0 src1_sel:DWORD
	v_dot4c_i32_i8_e32 v40, v6, v1
	v_and_b32_e32 v1, 0x80000000, v0
	v_lshrrev_b16_e32 v7, 5, v18
	v_cmp_ne_u16_sdwa s[12:13], v1, v9 src0_sel:BYTE_3 src1_sel:DWORD
	v_bfe_i32 v7, v7, 0, 1
	v_lshrrev_b32_e32 v0, 22, v0
	v_cndmask_b32_e64 v1, 0, -1, s[12:13]
	v_bfe_i32 v6, v19, 18, 1
	v_bfe_i32 v0, v0, 0, 1
	v_lshlrev_b16_e32 v1, 8, v1
	v_lshlrev_b16_e32 v7, 8, v7
	v_or_b32_sdwa v18, v0, v1 dst_sel:WORD_1 dst_unused:UNUSED_PAD src0_sel:BYTE_0 src1_sel:DWORD
	v_or_b32_sdwa v22, v6, v7 dst_sel:DWORD dst_unused:UNUSED_PAD src0_sel:BYTE_0 src1_sel:DWORD
	v_or_b32_sdwa v18, v22, v18 dst_sel:DWORD dst_unused:UNUSED_PAD src0_sel:WORD_0 src1_sel:DWORD
	v_xor_b32_e32 v18, v23, v18
	v_and_b32_e32 v22, 0xffffff00, v18
	v_sub_i16 v7, v22, v7 clamp
	v_lshlrev_b16_e32 v22, 8, v18
	v_lshlrev_b16_e32 v6, 8, v6
	v_and_b32_e32 v7, 0xffffff00, v7
	v_sub_i16 v6, v22, v6 clamp
	v_or_b32_sdwa v6, v6, v7 dst_sel:DWORD dst_unused:UNUSED_PAD src0_sel:BYTE_1 src1_sel:DWORD
	v_and_b32_sdwa v7, v18, s19 dst_sel:DWORD dst_unused:UNUSED_PAD src0_sel:WORD_1 src1_sel:DWORD
	v_sub_i16 v1, v7, v1 clamp
	v_lshlrev_b16_sdwa v7, v37, v18 dst_sel:DWORD dst_unused:UNUSED_PAD src0_sel:DWORD src1_sel:WORD_1
	v_lshlrev_b16_e32 v0, 8, v0
	v_and_b32_e32 v1, 0xffffff00, v1
	v_sub_i16 v0, v7, v0 clamp
	v_or_b32_sdwa v0, v0, v1 dst_sel:WORD_1 dst_unused:UNUSED_PAD src0_sel:BYTE_1 src1_sel:DWORD
	s_nop 0
	v_or_b32_sdwa v0, v6, v0 dst_sel:DWORD dst_unused:UNUSED_PAD src0_sel:WORD_0 src1_sel:DWORD
	v_dot4c_i32_i8_e32 v40, v0, v2
	v_bfe_u32 v0, v19, 21, 8
	v_bcnt_u32_b32 v1, v0, 0
	v_and_b32_e32 v1, 1, v1
	v_lshlrev_b32_e32 v1, 7, v1
	v_xor_b32_e32 v0, v1, v0
	v_mul_lo_u32 v0, v0, s18
	v_and_b32_e32 v1, 0x8000000, v0
	v_lshrrev_b32_e32 v6, 8, v0
	v_lshrrev_b16_e32 v7, 1, v6
	v_cmp_ne_u16_sdwa s[12:13], v1, v9 src0_sel:BYTE_3 src1_sel:DWORD
	v_bfe_i32 v7, v7, 0, 1
	v_lshrrev_b32_e32 v18, 18, v0
	v_cndmask_b32_e64 v1, 0, -1, s[12:13]
	v_bfe_i32 v2, v19, 21, 1
	v_bfe_i32 v18, v18, 0, 1
	v_lshlrev_b16_e32 v1, 8, v1
	v_lshlrev_b16_e32 v7, 8, v7
	v_or_b32_sdwa v22, v18, v1 dst_sel:WORD_1 dst_unused:UNUSED_PAD src0_sel:BYTE_0 src1_sel:DWORD
	v_or_b32_sdwa v23, v2, v7 dst_sel:DWORD dst_unused:UNUSED_PAD src0_sel:BYTE_0 src1_sel:DWORD
	v_or_b32_sdwa v22, v23, v22 dst_sel:DWORD dst_unused:UNUSED_PAD src0_sel:WORD_0 src1_sel:DWORD
	s_waitcnt vmcnt(1)
	v_xor_b32_e32 v20, v20, v22
	v_and_b32_e32 v22, 0xffffff00, v20
	v_sub_i16 v7, v22, v7 clamp
	v_lshlrev_b16_e32 v22, 8, v20
	v_lshlrev_b16_e32 v2, 8, v2
	v_and_b32_e32 v7, 0xffffff00, v7
	v_sub_i16 v2, v22, v2 clamp
	v_or_b32_sdwa v2, v2, v7 dst_sel:DWORD dst_unused:UNUSED_PAD src0_sel:BYTE_1 src1_sel:DWORD
	v_and_b32_sdwa v7, v20, s19 dst_sel:DWORD dst_unused:UNUSED_PAD src0_sel:WORD_1 src1_sel:DWORD
	v_sub_i16 v1, v7, v1 clamp
	v_lshlrev_b16_sdwa v7, v37, v20 dst_sel:DWORD dst_unused:UNUSED_PAD src0_sel:DWORD src1_sel:WORD_1
	v_lshlrev_b16_e32 v18, 8, v18
	v_and_b32_e32 v1, 0xffffff00, v1
	v_sub_i16 v7, v7, v18 clamp
	v_or_b32_sdwa v1, v7, v1 dst_sel:WORD_1 dst_unused:UNUSED_PAD src0_sel:BYTE_1 src1_sel:DWORD
	s_nop 0
	v_or_b32_sdwa v1, v2, v1 dst_sel:DWORD dst_unused:UNUSED_PAD src0_sel:WORD_0 src1_sel:DWORD
	v_dot4c_i32_i8_e32 v40, v1, v3
	v_and_b32_e32 v1, 0x80000000, v0
	v_lshrrev_b16_e32 v3, 5, v6
	v_cmp_ne_u16_sdwa s[12:13], v1, v9 src0_sel:BYTE_3 src1_sel:DWORD
	v_bfe_i32 v3, v3, 0, 1
	v_lshrrev_b32_e32 v0, 22, v0
	v_cndmask_b32_e64 v1, 0, -1, s[12:13]
	v_bfe_i32 v2, v19, 25, 1
	v_bfe_i32 v0, v0, 0, 1
	v_lshlrev_b16_e32 v1, 8, v1
	v_lshlrev_b16_e32 v3, 8, v3
	v_or_b32_sdwa v6, v0, v1 dst_sel:WORD_1 dst_unused:UNUSED_PAD src0_sel:BYTE_0 src1_sel:DWORD
	v_or_b32_sdwa v7, v2, v3 dst_sel:DWORD dst_unused:UNUSED_PAD src0_sel:BYTE_0 src1_sel:DWORD
	v_or_b32_sdwa v6, v7, v6 dst_sel:DWORD dst_unused:UNUSED_PAD src0_sel:WORD_0 src1_sel:DWORD
	v_xor_b32_e32 v6, v21, v6
	v_and_b32_e32 v7, 0xffffff00, v6
	v_sub_i16 v3, v7, v3 clamp
	v_lshlrev_b16_e32 v7, 8, v6
	v_lshlrev_b16_e32 v2, 8, v2
	v_and_b32_e32 v3, 0xffffff00, v3
	v_sub_i16 v2, v7, v2 clamp
	v_or_b32_sdwa v2, v2, v3 dst_sel:DWORD dst_unused:UNUSED_PAD src0_sel:BYTE_1 src1_sel:DWORD
	v_and_b32_sdwa v3, v6, s19 dst_sel:DWORD dst_unused:UNUSED_PAD src0_sel:WORD_1 src1_sel:DWORD
	v_sub_i16 v1, v3, v1 clamp
	v_lshlrev_b16_sdwa v3, v37, v6 dst_sel:DWORD dst_unused:UNUSED_PAD src0_sel:DWORD src1_sel:WORD_1
	v_lshlrev_b16_e32 v0, 8, v0
	v_and_b32_e32 v1, 0xffffff00, v1
	v_sub_i16 v0, v3, v0 clamp
	v_or_b32_sdwa v0, v0, v1 dst_sel:WORD_1 dst_unused:UNUSED_PAD src0_sel:BYTE_1 src1_sel:DWORD
	v_lshrrev_b32_e32 v1, 27, v17
	v_or_b32_e32 v1, 1, v1
	v_or_b32_sdwa v0, v2, v0 dst_sel:DWORD dst_unused:UNUSED_PAD src0_sel:WORD_0 src1_sel:DWORD
	v_mul_lo_u32 v1, v39, v1
	v_dot4c_i32_i8_e32 v40, v0, v38
	v_lshrrev_b32_e32 v0, 27, v19
	v_ashrrev_i32_e32 v2, 31, v1
	v_or_b32_e32 v0, 1, v0
	v_lshrrev_b32_e32 v2, 29, v2
	v_mul_lo_u32 v0, v40, v0
	v_add_u32_e32 v1, v1, v2
	v_ashrrev_i32_e32 v2, 3, v1
	v_ashrrev_i32_e32 v1, 31, v0
	v_lshrrev_b32_e32 v1, 29, v1
	v_add_u32_e32 v0, v0, v1
	v_ashrrev_i32_e32 v3, 3, v0
	s_waitcnt vmcnt(0)
	v_cvt_f32_f16_e32 v1, v5
	v_cvt_f32_f16_e32 v0, v16
	v_cvt_f32_i32_e32 v3, v3
	v_cvt_f32_i32_e32 v2, v2
	v_pk_mul_f32 v[0:1], v[4:5], v[0:1] op_sel_hi:[0,1]
	v_pk_fma_f32 v[10:11], v[0:1], v[2:3], v[10:11]
	s_andn2_b64 exec, exec, s[4:5]
	s_cbranch_execnz .LBB158_9
; %bb.10:
	s_or_b64 exec, exec, s[4:5]
	ds_write2_b32 v32, v10, v11 offset1:1
.LBB158_11:
	s_or_b64 exec, exec, s[0:1]
	v_cmp_eq_u32_e32 vcc, 0, v34
	v_cmp_ne_u32_e64 s[0:1], 0, v34
	v_lshlrev_b32_e32 v0, 2, v33
	s_and_saveexec_b64 s[4:5], s[0:1]
	s_cbranch_execz .LBB158_13
; %bb.12:
	v_lshl_or_b32 v1, v34, 9, v0
	v_add_u32_e32 v1, 0xfffffe00, v1
	ds_write2st64_b32 v1, v10, v11 offset1:1
.LBB158_13:
	s_or_b64 exec, exec, s[4:5]
	s_waitcnt lgkmcnt(0)
	s_barrier
	s_and_saveexec_b64 s[0:1], vcc
	s_cbranch_execz .LBB158_16
; %bb.14:
	v_mbcnt_lo_u32_b32 v1, -1, 0
	v_mbcnt_hi_u32_b32 v1, -1, v1
	v_and_b32_e32 v2, 64, v1
	v_add_u32_e32 v6, 64, v2
	ds_read2st64_b32 v[2:3], v0 offset1:1
	ds_read2_b32 v[4:5], v32 offset1:1
	v_xor_b32_e32 v7, 32, v1
	v_cmp_lt_i32_e32 vcc, v7, v6
	s_load_dword s0, s[2:3], 0x58
	s_mov_b32 s5, 0
	v_cndmask_b32_e32 v7, v1, v7, vcc
	v_lshlrev_b32_e32 v7, 2, v7
	s_waitcnt lgkmcnt(0)
	v_pk_add_f32 v[2:3], v[2:3], v[4:5]
	ds_bpermute_b32 v4, v7, v2
	ds_bpermute_b32 v5, v7, v3
	v_xor_b32_e32 v7, 16, v1
	v_cmp_lt_i32_e32 vcc, v7, v6
	s_waitcnt lgkmcnt(0)
	v_pk_add_f32 v[2:3], v[2:3], v[4:5]
	v_cndmask_b32_e32 v7, v1, v7, vcc
	v_lshlrev_b32_e32 v7, 2, v7
	ds_bpermute_b32 v4, v7, v2
	ds_bpermute_b32 v5, v7, v3
	v_xor_b32_e32 v7, 8, v1
	v_cmp_lt_i32_e32 vcc, v7, v6
	s_waitcnt lgkmcnt(0)
	v_pk_add_f32 v[2:3], v[2:3], v[4:5]
	v_cndmask_b32_e32 v7, v1, v7, vcc
	v_lshlrev_b32_e32 v7, 2, v7
	;; [unrolled: 8-line block ×5, first 2 shown]
	ds_bpermute_b32 v4, v1, v2
	ds_bpermute_b32 v5, v1, v3
	v_or_b32_e32 v1, s7, v33
	v_cmp_gt_u32_e32 vcc, 2, v33
	v_cmp_gt_u32_e64 s[0:1], s0, v1
	s_and_b64 s[0:1], vcc, s[0:1]
	s_waitcnt lgkmcnt(0)
	v_pk_add_f32 v[2:3], v[2:3], v[4:5]
	ds_write2_b32 v32, v2, v3 offset1:1
	s_and_b64 exec, exec, s[0:1]
	s_cbranch_execz .LBB158_16
; %bb.15:
	s_load_dwordx2 s[0:1], s[2:3], 0x38
	s_mul_i32 s2, s20, s10
	v_add_u32_e32 v1, v32, v0
	s_add_i32 s2, s2, s7
	s_mul_i32 s6, s6, s14
	ds_read_b32 v1, v1
	s_add_i32 s4, s2, s6
	s_lshl_b64 s[2:3], s[4:5], 2
	s_waitcnt lgkmcnt(0)
	s_add_u32 s0, s0, s2
	s_addc_u32 s1, s1, s3
	global_store_dword v0, v1, s[0:1]
.LBB158_16:
	s_endpgm
	.section	.rodata,"a",@progbits
	.p2align	6, 0x0
	.amdhsa_kernel _ZL13mul_mat_vec_qIL9ggml_type16ELi1ELb0ELb1EEvPKvS2_PKi31ggml_cuda_mm_fusion_args_devicePfj15HIP_vector_typeIjLj3EEjjjS8_jjjS8_jjjj
		.amdhsa_group_segment_fixed_size 1536
		.amdhsa_private_segment_fixed_size 0
		.amdhsa_kernarg_size 144
		.amdhsa_user_sgpr_count 4
		.amdhsa_user_sgpr_dispatch_ptr 1
		.amdhsa_user_sgpr_queue_ptr 0
		.amdhsa_user_sgpr_kernarg_segment_ptr 1
		.amdhsa_user_sgpr_dispatch_id 0
		.amdhsa_user_sgpr_kernarg_preload_length 0
		.amdhsa_user_sgpr_kernarg_preload_offset 0
		.amdhsa_user_sgpr_private_segment_size 0
		.amdhsa_uses_dynamic_stack 0
		.amdhsa_enable_private_segment 0
		.amdhsa_system_sgpr_workgroup_id_x 1
		.amdhsa_system_sgpr_workgroup_id_y 1
		.amdhsa_system_sgpr_workgroup_id_z 1
		.amdhsa_system_sgpr_workgroup_info 0
		.amdhsa_system_vgpr_workitem_id 2
		.amdhsa_next_free_vgpr 50
		.amdhsa_next_free_sgpr 28
		.amdhsa_accum_offset 52
		.amdhsa_reserve_vcc 1
		.amdhsa_float_round_mode_32 0
		.amdhsa_float_round_mode_16_64 0
		.amdhsa_float_denorm_mode_32 3
		.amdhsa_float_denorm_mode_16_64 3
		.amdhsa_dx10_clamp 1
		.amdhsa_ieee_mode 1
		.amdhsa_fp16_overflow 0
		.amdhsa_tg_split 0
		.amdhsa_exception_fp_ieee_invalid_op 0
		.amdhsa_exception_fp_denorm_src 0
		.amdhsa_exception_fp_ieee_div_zero 0
		.amdhsa_exception_fp_ieee_overflow 0
		.amdhsa_exception_fp_ieee_underflow 0
		.amdhsa_exception_fp_ieee_inexact 0
		.amdhsa_exception_int_div_zero 0
	.end_amdhsa_kernel
	.section	.text._ZL13mul_mat_vec_qIL9ggml_type16ELi1ELb0ELb1EEvPKvS2_PKi31ggml_cuda_mm_fusion_args_devicePfj15HIP_vector_typeIjLj3EEjjjS8_jjjS8_jjjj,"axG",@progbits,_ZL13mul_mat_vec_qIL9ggml_type16ELi1ELb0ELb1EEvPKvS2_PKi31ggml_cuda_mm_fusion_args_devicePfj15HIP_vector_typeIjLj3EEjjjS8_jjjS8_jjjj,comdat
.Lfunc_end158:
	.size	_ZL13mul_mat_vec_qIL9ggml_type16ELi1ELb0ELb1EEvPKvS2_PKi31ggml_cuda_mm_fusion_args_devicePfj15HIP_vector_typeIjLj3EEjjjS8_jjjS8_jjjj, .Lfunc_end158-_ZL13mul_mat_vec_qIL9ggml_type16ELi1ELb0ELb1EEvPKvS2_PKi31ggml_cuda_mm_fusion_args_devicePfj15HIP_vector_typeIjLj3EEjjjS8_jjjS8_jjjj
                                        ; -- End function
	.section	.AMDGPU.csdata,"",@progbits
; Kernel info:
; codeLenInByte = 5052
; NumSgprs: 34
; NumVgprs: 50
; NumAgprs: 0
; TotalNumVgprs: 50
; ScratchSize: 0
; MemoryBound: 0
; FloatMode: 240
; IeeeMode: 1
; LDSByteSize: 1536 bytes/workgroup (compile time only)
; SGPRBlocks: 4
; VGPRBlocks: 6
; NumSGPRsForWavesPerEU: 34
; NumVGPRsForWavesPerEU: 50
; AccumOffset: 52
; Occupancy: 8
; WaveLimiterHint : 0
; COMPUTE_PGM_RSRC2:SCRATCH_EN: 0
; COMPUTE_PGM_RSRC2:USER_SGPR: 4
; COMPUTE_PGM_RSRC2:TRAP_HANDLER: 0
; COMPUTE_PGM_RSRC2:TGID_X_EN: 1
; COMPUTE_PGM_RSRC2:TGID_Y_EN: 1
; COMPUTE_PGM_RSRC2:TGID_Z_EN: 1
; COMPUTE_PGM_RSRC2:TIDIG_COMP_CNT: 2
; COMPUTE_PGM_RSRC3_GFX90A:ACCUM_OFFSET: 12
; COMPUTE_PGM_RSRC3_GFX90A:TG_SPLIT: 0
	.section	.text._ZL13mul_mat_vec_qIL9ggml_type16ELi1ELb1ELb0EEvPKvS2_PKi31ggml_cuda_mm_fusion_args_devicePfj15HIP_vector_typeIjLj3EEjjjS8_jjjS8_jjjj,"axG",@progbits,_ZL13mul_mat_vec_qIL9ggml_type16ELi1ELb1ELb0EEvPKvS2_PKi31ggml_cuda_mm_fusion_args_devicePfj15HIP_vector_typeIjLj3EEjjjS8_jjjS8_jjjj,comdat
	.globl	_ZL13mul_mat_vec_qIL9ggml_type16ELi1ELb1ELb0EEvPKvS2_PKi31ggml_cuda_mm_fusion_args_devicePfj15HIP_vector_typeIjLj3EEjjjS8_jjjS8_jjjj ; -- Begin function _ZL13mul_mat_vec_qIL9ggml_type16ELi1ELb1ELb0EEvPKvS2_PKi31ggml_cuda_mm_fusion_args_devicePfj15HIP_vector_typeIjLj3EEjjjS8_jjjS8_jjjj
	.p2align	8
	.type	_ZL13mul_mat_vec_qIL9ggml_type16ELi1ELb1ELb0EEvPKvS2_PKi31ggml_cuda_mm_fusion_args_devicePfj15HIP_vector_typeIjLj3EEjjjS8_jjjS8_jjjj,@function
_ZL13mul_mat_vec_qIL9ggml_type16ELi1ELb1ELb0EEvPKvS2_PKi31ggml_cuda_mm_fusion_args_devicePfj15HIP_vector_typeIjLj3EEjjjS8_jjjS8_jjjj: ; @_ZL13mul_mat_vec_qIL9ggml_type16ELi1ELb1ELb0EEvPKvS2_PKi31ggml_cuda_mm_fusion_args_devicePfj15HIP_vector_typeIjLj3EEjjjS8_jjjS8_jjjj
; %bb.0:
	s_load_dwordx8 s[16:23], s[0:1], 0x0
	s_load_dwordx4 s[36:39], s[0:1], 0x20
	s_load_dwordx4 s[8:11], s[0:1], 0x40
	;; [unrolled: 1-line block ×3, first 2 shown]
	s_mov_b32 s14, s3
	s_waitcnt lgkmcnt(0)
	s_cmp_lg_u64 s[20:21], 0
	s_cselect_b64 s[6:7], -1, 0
	s_cmp_eq_u64 s[20:21], 0
	s_mov_b64 s[12:13], 0
	s_cbranch_scc1 .LBB159_5
; %bb.1:
	s_mov_b32 s15, 0
	s_lshl_b64 s[28:29], s[14:15], 2
	s_add_u32 s20, s20, s28
	s_addc_u32 s21, s21, s29
	s_load_dword s5, s[20:21], 0x0
	s_load_dword s15, s[0:1], 0x50
	;; [unrolled: 1-line block ×3, first 2 shown]
	s_andn2_b64 vcc, exec, s[12:13]
	s_cbranch_vccnz .LBB159_3
.LBB159_2:
	s_load_dwordx2 s[12:13], s[0:1], 0x5c
	s_waitcnt lgkmcnt(0)
	s_mul_hi_u32 s3, s12, s14
	s_add_i32 s3, s14, s3
	s_lshr_b32 s5, s3, s13
.LBB159_3:
	s_andn2_b64 vcc, exec, s[6:7]
	s_cbranch_vccnz .LBB159_6
; %bb.4:
	s_mul_hi_u32 s3, s9, s14
	s_add_i32 s3, s14, s3
	s_lshr_b32 s3, s3, s10
	s_mul_i32 s3, s3, s11
	s_sub_i32 s34, s14, s3
	s_waitcnt lgkmcnt(0)
	s_mov_b32 s3, s5
	s_branch .LBB159_7
.LBB159_5:
                                        ; implicit-def: $sgpr5
	s_load_dword s15, s[0:1], 0x50
	s_load_dword s33, s[0:1], 0x78
	s_branch .LBB159_2
.LBB159_6:
	s_mov_b32 s3, s14
	s_mov_b32 s34, s14
.LBB159_7:
	s_load_dwordx4 s[28:31], s[0:1], 0x80
	v_bfe_u32 v32, v0, 10, 10
	v_and_b32_e32 v29, 0x3ff, v0
	s_cmp_lg_u64 s[22:23], 0
	v_or_b32_e32 v0, v32, v29
	s_cselect_b64 s[12:13], -1, 0
	v_cmp_eq_u32_e32 vcc, 0, v0
	s_mov_b32 s21, 0
	s_and_b64 s[40:41], vcc, s[12:13]
	v_mov_b32_e32 v30, 0
	s_mul_i32 s10, s3, s26
	v_lshlrev_b32_e32 v28, 2, v29
	v_mov_b32_e32 v31, 0
	s_and_saveexec_b64 s[6:7], s[40:41]
	s_cbranch_execz .LBB159_9
; %bb.8:
	s_waitcnt lgkmcnt(0)
	s_mul_i32 s20, s4, s30
	s_lshl_b64 s[40:41], s[20:21], 2
	s_add_u32 s3, s22, s40
	s_mov_b32 s11, s21
	s_addc_u32 s9, s23, s41
	s_lshl_b64 s[20:21], s[10:11], 2
	s_add_u32 s11, s3, s20
	s_addc_u32 s9, s9, s21
	s_ashr_i32 s3, s2, 31
	s_lshl_b64 s[20:21], s[2:3], 2
	s_add_u32 s20, s11, s20
	s_addc_u32 s21, s9, s21
	global_load_dword v31, v28, s[20:21]
.LBB159_9:
	s_or_b64 exec, exec, s[6:7]
	s_cmp_lg_u64 s[36:37], 0
	s_cselect_b64 s[20:21], -1, 0
	s_cmp_lg_u64 s[38:39], 0
	s_cselect_b64 s[6:7], -1, 0
	s_and_b64 s[22:23], s[6:7], s[20:21]
	s_and_b64 s[40:41], vcc, s[22:23]
	s_and_saveexec_b64 s[22:23], s[40:41]
	s_cbranch_execz .LBB159_11
; %bb.10:
	s_waitcnt lgkmcnt(0)
	s_mul_i32 s40, s4, s30
	s_mov_b32 s41, 0
	s_lshl_b64 s[42:43], s[40:41], 2
	s_add_u32 s3, s38, s42
	s_mov_b32 s11, s41
	s_addc_u32 s9, s39, s43
	s_lshl_b64 s[10:11], s[10:11], 2
	s_add_u32 s31, s3, s10
	s_addc_u32 s9, s9, s11
	s_ashr_i32 s3, s2, 31
	s_lshl_b64 s[10:11], s[2:3], 2
	s_add_u32 s10, s31, s10
	s_addc_u32 s11, s9, s11
	global_load_dword v30, v28, s[10:11]
.LBB159_11:
	s_or_b64 exec, exec, s[22:23]
	v_lshl_add_u32 v0, v32, 6, v29
	s_lshr_b32 s3, s8, 8
	v_lshrrev_b32_e32 v34, 3, v0
	v_cndmask_b32_e64 v1, 0, 1, s[20:21]
	v_cmp_gt_u32_e32 vcc, s3, v34
	v_mov_b32_e32 v35, 0
	v_cmp_ne_u32_e64 s[8:9], 1, v1
	v_mov_b32_e32 v33, 0
	s_and_saveexec_b64 s[10:11], vcc
	s_cbranch_execz .LBB159_17
; %bb.12:
	s_mul_hi_u32 s21, s27, s4
	s_add_i32 s21, s4, s21
	s_waitcnt lgkmcnt(0)
	s_lshr_b32 s21, s21, s33
	s_mul_i32 s5, s5, s24
	s_mul_i32 s21, s21, s28
	;; [unrolled: 1-line block ×4, first 2 shown]
	v_lshlrev_b32_e32 v1, 1, v29
	s_add_i32 s5, s21, s5
	v_and_b32_e32 v1, 14, v1
	s_add_i32 s5, s5, s15
	s_mul_hi_u32 s15, s20, 36
	s_mul_i32 s20, s20, 36
	v_lshlrev_b32_e32 v2, 1, v1
	v_lshrrev_b32_e32 v4, 3, v0
	v_mov_b32_e32 v0, s20
	v_mov_b32_e32 v1, s15
	s_movk_i32 s15, 0x120
	s_mul_i32 s22, s4, s29
	v_mad_u64_u32 v[0:1], s[20:21], v4, s15, v[0:1]
	v_and_b32_e32 v3, 7, v29
	v_mad_u64_u32 v[0:1], s[20:21], s22, 36, v[0:1]
	v_mad_u64_u32 v[0:1], s[20:21], v3, 36, v[0:1]
	v_mov_b32_e32 v9, 0
	v_lshl_add_u64 v[0:1], v[0:1], 0, s[18:19]
	v_lshl_add_u64 v[10:11], v[0:1], 0, 16
	s_mov_b64 s[18:19], 0
	s_movk_i32 s15, 0x42
	v_mov_b64_e32 v[12:13], s[16:17]
	v_lshlrev_b32_e32 v8, 1, v2
	s_mov_b32 s22, 0x1010101
	s_mov_b32 s23, 0xffff
	s_movk_i32 s24, 0xff00
	s_mov_b64 s[16:17], 0x1200
	v_mov_b32_e32 v36, 3
	v_mov_b32_e32 v37, 8
	;; [unrolled: 1-line block ×4, first 2 shown]
	s_branch .LBB159_14
.LBB159_13:                             ;   in Loop: Header=BB159_14 Depth=1
	v_and_b32_e32 v25, 0xff, v15
	v_bcnt_u32_b32 v26, v25, 0
	v_and_b32_e32 v26, 1, v26
	v_lshlrev_b32_e32 v26, 7, v26
	v_xor_b32_e32 v25, v26, v25
	v_mul_lo_u32 v25, v25, s22
	v_and_b32_e32 v26, 0x8000000, v25
	v_lshrrev_b32_e32 v40, 8, v25
	v_lshrrev_b16_e32 v41, 1, v40
	v_cmp_ne_u16_sdwa s[20:21], v26, v9 src0_sel:BYTE_3 src1_sel:DWORD
	v_and_b32_e32 v27, 1, v15
	v_bfe_i32 v41, v41, 0, 1
	v_lshrrev_b32_e32 v42, 18, v25
	v_cndmask_b32_e64 v26, 0, -1, s[20:21]
	v_sub_u16_e32 v27, 0, v27
	v_bfe_i32 v42, v42, 0, 1
	v_lshlrev_b16_e32 v26, 8, v26
	v_lshlrev_b16_e32 v41, 8, v41
	v_or_b32_sdwa v43, v42, v26 dst_sel:WORD_1 dst_unused:UNUSED_PAD src0_sel:BYTE_0 src1_sel:DWORD
	v_or_b32_sdwa v44, v27, v41 dst_sel:DWORD dst_unused:UNUSED_PAD src0_sel:BYTE_0 src1_sel:DWORD
	v_or_b32_sdwa v43, v44, v43 dst_sel:DWORD dst_unused:UNUSED_PAD src0_sel:WORD_0 src1_sel:DWORD
	s_waitcnt vmcnt(3)
	v_xor_b32_e32 v22, v22, v43
	v_and_b32_e32 v43, 0xffffff00, v22
	v_sub_i16 v41, v43, v41 clamp
	v_lshlrev_b16_e32 v43, 8, v22
	v_lshlrev_b16_e32 v27, 8, v27
	v_and_b32_e32 v41, 0xffffff00, v41
	v_sub_i16 v27, v43, v27 clamp
	v_or_b32_sdwa v27, v27, v41 dst_sel:DWORD dst_unused:UNUSED_PAD src0_sel:BYTE_1 src1_sel:DWORD
	v_and_b32_sdwa v41, v22, s24 dst_sel:DWORD dst_unused:UNUSED_PAD src0_sel:WORD_1 src1_sel:DWORD
	v_sub_i16 v26, v41, v26 clamp
	v_lshlrev_b16_sdwa v22, v37, v22 dst_sel:DWORD dst_unused:UNUSED_PAD src0_sel:DWORD src1_sel:WORD_1
	v_lshlrev_b16_e32 v41, 8, v42
	v_and_b32_e32 v26, 0xffffff00, v26
	v_sub_i16 v22, v22, v41 clamp
	v_or_b32_sdwa v22, v22, v26 dst_sel:WORD_1 dst_unused:UNUSED_PAD src0_sel:BYTE_1 src1_sel:DWORD
	v_mov_b32_e32 v26, 0
	v_or_b32_sdwa v22, v27, v22 dst_sel:DWORD dst_unused:UNUSED_PAD src0_sel:WORD_0 src1_sel:DWORD
	v_dot4c_i32_i8_e32 v26, v22, v5
	v_and_b32_e32 v5, 0x80000000, v25
	v_lshrrev_b16_e32 v27, 5, v40
	v_cmp_ne_u16_sdwa s[20:21], v5, v9 src0_sel:BYTE_3 src1_sel:DWORD
	v_bfe_i32 v27, v27, 0, 1
	v_lshrrev_b32_e32 v25, 22, v25
	v_cndmask_b32_e64 v5, 0, -1, s[20:21]
	v_bfe_i32 v22, v15, 4, 1
	v_bfe_i32 v25, v25, 0, 1
	v_lshlrev_b16_e32 v5, 8, v5
	v_lshlrev_b16_e32 v27, 8, v27
	v_or_b32_sdwa v40, v25, v5 dst_sel:WORD_1 dst_unused:UNUSED_PAD src0_sel:BYTE_0 src1_sel:DWORD
	v_or_b32_sdwa v41, v22, v27 dst_sel:DWORD dst_unused:UNUSED_PAD src0_sel:BYTE_0 src1_sel:DWORD
	v_or_b32_sdwa v40, v41, v40 dst_sel:DWORD dst_unused:UNUSED_PAD src0_sel:WORD_0 src1_sel:DWORD
	v_xor_b32_e32 v23, v23, v40
	v_and_b32_e32 v40, 0xffffff00, v23
	v_sub_i16 v27, v40, v27 clamp
	v_lshlrev_b16_e32 v40, 8, v23
	v_lshlrev_b16_e32 v22, 8, v22
	v_and_b32_e32 v27, 0xffffff00, v27
	v_sub_i16 v22, v40, v22 clamp
	v_or_b32_sdwa v22, v22, v27 dst_sel:DWORD dst_unused:UNUSED_PAD src0_sel:BYTE_1 src1_sel:DWORD
	v_and_b32_sdwa v27, v23, s24 dst_sel:DWORD dst_unused:UNUSED_PAD src0_sel:WORD_1 src1_sel:DWORD
	v_sub_i16 v5, v27, v5 clamp
	v_lshlrev_b16_sdwa v23, v37, v23 dst_sel:DWORD dst_unused:UNUSED_PAD src0_sel:DWORD src1_sel:WORD_1
	v_lshlrev_b16_e32 v25, 8, v25
	v_and_b32_e32 v5, 0xffffff00, v5
	v_sub_i16 v23, v23, v25 clamp
	v_or_b32_sdwa v5, v23, v5 dst_sel:WORD_1 dst_unused:UNUSED_PAD src0_sel:BYTE_1 src1_sel:DWORD
	v_and_b32_e32 v24, 0xffff0000, v15
	v_or_b32_sdwa v5, v22, v5 dst_sel:DWORD dst_unused:UNUSED_PAD src0_sel:WORD_0 src1_sel:DWORD
	v_dot4c_i32_i8_e32 v26, v5, v6
	v_bfe_u32 v5, v15, 7, 8
	v_bcnt_u32_b32 v6, v5, 0
	v_and_b32_e32 v6, 1, v6
	v_lshlrev_b32_e32 v6, 7, v6
	v_xor_b32_e32 v5, v6, v5
	v_mul_lo_u32 v5, v5, s22
	v_and_b32_e32 v6, 0x8000000, v5
	v_lshrrev_b32_e32 v23, 8, v5
	v_lshrrev_b16_e32 v25, 1, v23
	v_cmp_ne_u16_sdwa s[20:21], v6, v9 src0_sel:BYTE_3 src1_sel:DWORD
	v_bfe_i32 v25, v25, 0, 1
	v_lshrrev_b32_e32 v27, 18, v5
	v_cndmask_b32_e64 v6, 0, -1, s[20:21]
	v_bfe_i32 v22, v15, 7, 1
	v_bfe_i32 v27, v27, 0, 1
	v_lshlrev_b16_e32 v25, 8, v25
	v_lshlrev_b16_e32 v6, 8, v6
	v_or_b32_sdwa v40, v22, v25 dst_sel:DWORD dst_unused:UNUSED_PAD src0_sel:BYTE_0 src1_sel:DWORD
	v_or_b32_sdwa v41, v27, v6 dst_sel:WORD_1 dst_unused:UNUSED_PAD src0_sel:BYTE_0 src1_sel:DWORD
	v_lshlrev_b16_e32 v22, 8, v22
	v_or_b32_sdwa v40, v40, v41 dst_sel:DWORD dst_unused:UNUSED_PAD src0_sel:WORD_0 src1_sel:DWORD
	s_waitcnt vmcnt(2)
	v_xor_b32_e32 v20, v20, v40
	v_and_b32_e32 v40, 0xffffff00, v20
	v_sub_i16 v25, v40, v25 clamp
	v_lshlrev_b16_e32 v40, 8, v20
	v_and_b32_e32 v25, 0xffffff00, v25
	v_sub_i16 v22, v40, v22 clamp
	v_or_b32_sdwa v22, v22, v25 dst_sel:DWORD dst_unused:UNUSED_PAD src0_sel:BYTE_1 src1_sel:DWORD
	v_and_b32_sdwa v25, v20, s24 dst_sel:DWORD dst_unused:UNUSED_PAD src0_sel:WORD_1 src1_sel:DWORD
	v_sub_i16 v6, v25, v6 clamp
	v_lshlrev_b16_sdwa v20, v37, v20 dst_sel:DWORD dst_unused:UNUSED_PAD src0_sel:DWORD src1_sel:WORD_1
	v_lshlrev_b16_e32 v25, 8, v27
	v_and_b32_e32 v6, 0xffffff00, v6
	v_sub_i16 v20, v20, v25 clamp
	v_or_b32_sdwa v6, v20, v6 dst_sel:WORD_1 dst_unused:UNUSED_PAD src0_sel:BYTE_1 src1_sel:DWORD
	v_lshrrev_b16_e32 v20, 5, v23
	v_or_b32_sdwa v6, v22, v6 dst_sel:DWORD dst_unused:UNUSED_PAD src0_sel:WORD_0 src1_sel:DWORD
	v_dot4c_i32_i8_e32 v26, v6, v7
	v_and_b32_e32 v6, 0x80000000, v5
	v_cmp_ne_u16_sdwa s[20:21], v6, v9 src0_sel:BYTE_3 src1_sel:DWORD
	v_bfe_i32 v20, v20, 0, 1
	v_lshrrev_b32_e32 v5, 22, v5
	v_cndmask_b32_e64 v6, 0, -1, s[20:21]
	v_bfe_i32 v7, v15, 11, 1
	v_bfe_i32 v5, v5, 0, 1
	v_lshlrev_b16_e32 v20, 8, v20
	v_lshlrev_b16_e32 v6, 8, v6
	v_or_b32_sdwa v22, v7, v20 dst_sel:DWORD dst_unused:UNUSED_PAD src0_sel:BYTE_0 src1_sel:DWORD
	v_or_b32_sdwa v23, v5, v6 dst_sel:WORD_1 dst_unused:UNUSED_PAD src0_sel:BYTE_0 src1_sel:DWORD
	v_lshlrev_b16_e32 v7, 8, v7
	v_or_b32_sdwa v22, v22, v23 dst_sel:DWORD dst_unused:UNUSED_PAD src0_sel:WORD_0 src1_sel:DWORD
	v_xor_b32_e32 v21, v21, v22
	v_and_b32_e32 v22, 0xffffff00, v21
	v_sub_i16 v20, v22, v20 clamp
	v_lshlrev_b16_e32 v22, 8, v21
	v_and_b32_e32 v20, 0xffffff00, v20
	v_sub_i16 v7, v22, v7 clamp
	v_or_b32_sdwa v7, v7, v20 dst_sel:DWORD dst_unused:UNUSED_PAD src0_sel:BYTE_1 src1_sel:DWORD
	v_and_b32_sdwa v20, v21, s24 dst_sel:DWORD dst_unused:UNUSED_PAD src0_sel:WORD_1 src1_sel:DWORD
	v_sub_i16 v6, v20, v6 clamp
	v_lshlrev_b16_sdwa v20, v37, v21 dst_sel:DWORD dst_unused:UNUSED_PAD src0_sel:DWORD src1_sel:WORD_1
	v_lshlrev_b16_e32 v5, 8, v5
	v_and_b32_e32 v6, 0xffffff00, v6
	v_sub_i16 v5, v20, v5 clamp
	v_or_b32_sdwa v5, v5, v6 dst_sel:WORD_1 dst_unused:UNUSED_PAD src0_sel:BYTE_1 src1_sel:DWORD
	v_and_or_b32 v24, v15, s23, v24
	v_or_b32_sdwa v5, v7, v5 dst_sel:DWORD dst_unused:UNUSED_PAD src0_sel:WORD_0 src1_sel:DWORD
	v_dot4c_i32_i8_e32 v26, v5, v0
	v_bfe_u32 v0, v24, 14, 8
	v_bcnt_u32_b32 v5, v0, 0
	v_and_b32_e32 v5, 1, v5
	v_lshlrev_b32_e32 v5, 7, v5
	v_xor_b32_e32 v0, v5, v0
	v_mul_lo_u32 v0, v0, s22
	v_and_b32_e32 v5, 0x8000000, v0
	v_lshrrev_b32_e32 v7, 8, v0
	v_lshrrev_b16_e32 v20, 1, v7
	v_cmp_ne_u16_sdwa s[20:21], v5, v9 src0_sel:BYTE_3 src1_sel:DWORD
	v_bfe_i32 v20, v20, 0, 1
	v_lshrrev_b32_e32 v21, 18, v0
	v_cndmask_b32_e64 v5, 0, -1, s[20:21]
	v_bfe_i32 v6, v15, 14, 1
	v_bfe_i32 v21, v21, 0, 1
	v_lshlrev_b16_e32 v5, 8, v5
	v_lshlrev_b16_e32 v20, 8, v20
	v_or_b32_sdwa v22, v21, v5 dst_sel:WORD_1 dst_unused:UNUSED_PAD src0_sel:BYTE_0 src1_sel:DWORD
	v_or_b32_sdwa v23, v6, v20 dst_sel:DWORD dst_unused:UNUSED_PAD src0_sel:BYTE_0 src1_sel:DWORD
	v_or_b32_sdwa v22, v23, v22 dst_sel:DWORD dst_unused:UNUSED_PAD src0_sel:WORD_0 src1_sel:DWORD
	s_waitcnt vmcnt(1)
	v_xor_b32_e32 v18, v18, v22
	v_and_b32_e32 v22, 0xffffff00, v18
	v_sub_i16 v20, v22, v20 clamp
	v_lshlrev_b16_e32 v22, 8, v18
	v_lshlrev_b16_e32 v6, 8, v6
	v_and_b32_e32 v20, 0xffffff00, v20
	v_sub_i16 v6, v22, v6 clamp
	v_or_b32_sdwa v6, v6, v20 dst_sel:DWORD dst_unused:UNUSED_PAD src0_sel:BYTE_1 src1_sel:DWORD
	v_and_b32_sdwa v20, v18, s24 dst_sel:DWORD dst_unused:UNUSED_PAD src0_sel:WORD_1 src1_sel:DWORD
	v_sub_i16 v5, v20, v5 clamp
	v_lshlrev_b16_sdwa v18, v37, v18 dst_sel:DWORD dst_unused:UNUSED_PAD src0_sel:DWORD src1_sel:WORD_1
	v_lshlrev_b16_e32 v20, 8, v21
	v_and_b32_e32 v5, 0xffffff00, v5
	v_sub_i16 v18, v18, v20 clamp
	v_or_b32_sdwa v5, v18, v5 dst_sel:WORD_1 dst_unused:UNUSED_PAD src0_sel:BYTE_1 src1_sel:DWORD
	v_lshrrev_b32_e32 v14, 16, v15
	v_or_b32_sdwa v5, v6, v5 dst_sel:DWORD dst_unused:UNUSED_PAD src0_sel:WORD_0 src1_sel:DWORD
	v_dot4c_i32_i8_e32 v26, v5, v1
	v_and_b32_e32 v1, 0x80000000, v0
	v_lshrrev_b16_e32 v6, 5, v7
	v_cmp_ne_u16_sdwa s[20:21], v1, v9 src0_sel:BYTE_3 src1_sel:DWORD
	v_bfe_i32 v6, v6, 0, 1
	v_lshrrev_b32_e32 v0, 22, v0
	v_cndmask_b32_e64 v1, 0, -1, s[20:21]
	v_bfe_i32 v5, v14, 2, 1
	v_bfe_i32 v0, v0, 0, 1
	v_lshlrev_b16_e32 v1, 8, v1
	v_lshlrev_b16_e32 v6, 8, v6
	v_or_b32_sdwa v7, v0, v1 dst_sel:WORD_1 dst_unused:UNUSED_PAD src0_sel:BYTE_0 src1_sel:DWORD
	v_or_b32_sdwa v18, v5, v6 dst_sel:DWORD dst_unused:UNUSED_PAD src0_sel:BYTE_0 src1_sel:DWORD
	v_or_b32_sdwa v7, v18, v7 dst_sel:DWORD dst_unused:UNUSED_PAD src0_sel:WORD_0 src1_sel:DWORD
	v_xor_b32_e32 v7, v19, v7
	v_and_b32_e32 v18, 0xffffff00, v7
	v_sub_i16 v6, v18, v6 clamp
	v_lshlrev_b16_e32 v18, 8, v7
	v_lshlrev_b16_e32 v5, 8, v5
	v_and_b32_e32 v6, 0xffffff00, v6
	v_sub_i16 v5, v18, v5 clamp
	v_or_b32_sdwa v5, v5, v6 dst_sel:DWORD dst_unused:UNUSED_PAD src0_sel:BYTE_1 src1_sel:DWORD
	v_and_b32_sdwa v6, v7, s24 dst_sel:DWORD dst_unused:UNUSED_PAD src0_sel:WORD_1 src1_sel:DWORD
	v_sub_i16 v1, v6, v1 clamp
	v_lshlrev_b16_sdwa v6, v37, v7 dst_sel:DWORD dst_unused:UNUSED_PAD src0_sel:DWORD src1_sel:WORD_1
	v_lshlrev_b16_e32 v0, 8, v0
	v_and_b32_e32 v1, 0xffffff00, v1
	v_sub_i16 v0, v6, v0 clamp
	v_or_b32_sdwa v0, v0, v1 dst_sel:WORD_1 dst_unused:UNUSED_PAD src0_sel:BYTE_1 src1_sel:DWORD
	v_add_u32_e32 v34, 16, v34
	v_or_b32_sdwa v0, v5, v0 dst_sel:DWORD dst_unused:UNUSED_PAD src0_sel:WORD_0 src1_sel:DWORD
	v_dot4c_i32_i8_e32 v26, v0, v2
	v_bfe_u32 v0, v15, 21, 8
	v_bcnt_u32_b32 v1, v0, 0
	v_and_b32_e32 v1, 1, v1
	v_lshlrev_b32_e32 v1, 7, v1
	v_xor_b32_e32 v0, v1, v0
	v_mul_lo_u32 v0, v0, s22
	v_and_b32_e32 v1, 0x8000000, v0
	v_lshrrev_b32_e32 v5, 8, v0
	v_lshrrev_b16_e32 v6, 1, v5
	v_cmp_ne_u16_sdwa s[20:21], v1, v9 src0_sel:BYTE_3 src1_sel:DWORD
	v_bfe_i32 v6, v6, 0, 1
	v_lshrrev_b32_e32 v7, 18, v0
	v_cndmask_b32_e64 v1, 0, -1, s[20:21]
	v_bfe_i32 v2, v14, 5, 1
	v_bfe_i32 v7, v7, 0, 1
	v_lshlrev_b16_e32 v6, 8, v6
	v_lshlrev_b16_e32 v1, 8, v1
	v_or_b32_sdwa v18, v2, v6 dst_sel:DWORD dst_unused:UNUSED_PAD src0_sel:BYTE_0 src1_sel:DWORD
	v_or_b32_sdwa v19, v7, v1 dst_sel:WORD_1 dst_unused:UNUSED_PAD src0_sel:BYTE_0 src1_sel:DWORD
	v_lshlrev_b16_e32 v2, 8, v2
	v_or_b32_sdwa v18, v18, v19 dst_sel:DWORD dst_unused:UNUSED_PAD src0_sel:WORD_0 src1_sel:DWORD
	s_waitcnt vmcnt(0)
	v_xor_b32_e32 v16, v16, v18
	v_and_b32_e32 v18, 0xffffff00, v16
	v_sub_i16 v6, v18, v6 clamp
	v_lshlrev_b16_e32 v18, 8, v16
	v_and_b32_e32 v6, 0xffffff00, v6
	v_sub_i16 v2, v18, v2 clamp
	v_or_b32_sdwa v2, v2, v6 dst_sel:DWORD dst_unused:UNUSED_PAD src0_sel:BYTE_1 src1_sel:DWORD
	v_and_b32_sdwa v6, v16, s24 dst_sel:DWORD dst_unused:UNUSED_PAD src0_sel:WORD_1 src1_sel:DWORD
	v_sub_i16 v1, v6, v1 clamp
	v_lshlrev_b16_sdwa v6, v37, v16 dst_sel:DWORD dst_unused:UNUSED_PAD src0_sel:DWORD src1_sel:WORD_1
	v_lshlrev_b16_e32 v7, 8, v7
	v_and_b32_e32 v1, 0xffffff00, v1
	v_sub_i16 v6, v6, v7 clamp
	v_or_b32_sdwa v1, v6, v1 dst_sel:WORD_1 dst_unused:UNUSED_PAD src0_sel:BYTE_1 src1_sel:DWORD
	v_cmp_le_u32_e32 vcc, s3, v34
	v_or_b32_sdwa v1, v2, v1 dst_sel:DWORD dst_unused:UNUSED_PAD src0_sel:WORD_0 src1_sel:DWORD
	v_dot4c_i32_i8_e32 v26, v1, v3
	v_and_b32_e32 v1, 0x80000000, v0
	v_lshrrev_b16_e32 v3, 5, v5
	v_cmp_ne_u16_sdwa s[20:21], v1, v9 src0_sel:BYTE_3 src1_sel:DWORD
	v_bfe_i32 v3, v3, 0, 1
	v_lshrrev_b32_e32 v0, 22, v0
	v_cndmask_b32_e64 v1, 0, -1, s[20:21]
	v_bfe_i32 v2, v14, 9, 1
	v_bfe_i32 v0, v0, 0, 1
	v_lshlrev_b16_e32 v3, 8, v3
	v_lshlrev_b16_e32 v1, 8, v1
	v_or_b32_sdwa v5, v2, v3 dst_sel:DWORD dst_unused:UNUSED_PAD src0_sel:BYTE_0 src1_sel:DWORD
	v_or_b32_sdwa v6, v0, v1 dst_sel:WORD_1 dst_unused:UNUSED_PAD src0_sel:BYTE_0 src1_sel:DWORD
	v_lshlrev_b16_e32 v2, 8, v2
	v_or_b32_sdwa v5, v5, v6 dst_sel:DWORD dst_unused:UNUSED_PAD src0_sel:WORD_0 src1_sel:DWORD
	v_xor_b32_e32 v5, v17, v5
	v_and_b32_e32 v6, 0xffffff00, v5
	v_sub_i16 v3, v6, v3 clamp
	v_lshlrev_b16_e32 v6, 8, v5
	v_and_b32_e32 v3, 0xffffff00, v3
	v_sub_i16 v2, v6, v2 clamp
	v_or_b32_sdwa v2, v2, v3 dst_sel:DWORD dst_unused:UNUSED_PAD src0_sel:BYTE_1 src1_sel:DWORD
	v_and_b32_sdwa v3, v5, s24 dst_sel:DWORD dst_unused:UNUSED_PAD src0_sel:WORD_1 src1_sel:DWORD
	v_sub_i16 v1, v3, v1 clamp
	v_lshlrev_b16_sdwa v3, v37, v5 dst_sel:DWORD dst_unused:UNUSED_PAD src0_sel:DWORD src1_sel:WORD_1
	v_lshlrev_b16_e32 v0, 8, v0
	v_and_b32_e32 v1, 0xffffff00, v1
	v_sub_i16 v0, v3, v0 clamp
	v_or_b32_sdwa v0, v0, v1 dst_sel:WORD_1 dst_unused:UNUSED_PAD src0_sel:BYTE_1 src1_sel:DWORD
	s_or_b64 s[18:19], vcc, s[18:19]
	v_or_b32_sdwa v0, v2, v0 dst_sel:DWORD dst_unused:UNUSED_PAD src0_sel:WORD_0 src1_sel:DWORD
	v_dot4c_i32_i8_e32 v26, v0, v39
	v_lshrrev_b32_e32 v0, 27, v15
	v_or_b32_e32 v0, 1, v0
	v_lshl_add_u64 v[10:11], v[10:11], 0, s[16:17]
	v_mul_lo_u32 v0, v26, v0
	v_ashrrev_i32_e32 v1, 31, v0
	v_lshrrev_b32_e32 v1, 29, v1
	v_add_u32_e32 v0, v0, v1
	v_ashrrev_i32_e32 v0, 3, v0
	v_cvt_f32_f16_e32 v1, v38
	v_cvt_f32_i32_e32 v0, v0
	v_mul_f32_e32 v1, v1, v4
	v_fmac_f32_e32 v35, v1, v0
	s_andn2_b64 exec, exec, s[18:19]
	s_cbranch_execz .LBB159_16
.LBB159_14:                             ; =>This Inner Loop Header: Depth=1
	v_add_u32_e32 v24, s5, v34
	v_mad_i64_i32 v[16:17], s[20:21], v24, s15, v[12:13]
	v_lshl_add_u64 v[0:1], v[16:17], 0, v[8:9]
	global_load_dwordx2 v[14:15], v[0:1], off offset:2
	s_getpc_b64 s[20:21]
	s_add_u32 s20, s20, _ZL11iq2xxs_grid@rel32@lo+4
	s_addc_u32 s21, s21, _ZL11iq2xxs_grid@rel32@hi+12
	global_load_dwordx4 v[4:7], v[10:11], off offset:-16
	global_load_dwordx4 v[0:3], v[10:11], off
	global_load_dword v39, v[10:11], off offset:16
	global_load_ushort v38, v[16:17], off
	s_and_b64 vcc, exec, s[8:9]
	s_waitcnt vmcnt(3)
	v_cvt_f32_f16_e32 v4, v4
	v_lshlrev_b32_sdwa v25, v36, v14 dst_sel:DWORD dst_unused:UNUSED_PAD src0_sel:DWORD src1_sel:BYTE_0
	v_lshlrev_b32_sdwa v26, v36, v14 dst_sel:DWORD dst_unused:UNUSED_PAD src0_sel:DWORD src1_sel:BYTE_1
	v_lshlrev_b32_sdwa v27, v36, v14 dst_sel:DWORD dst_unused:UNUSED_PAD src0_sel:DWORD src1_sel:BYTE_2
	v_lshlrev_b32_sdwa v14, v36, v14 dst_sel:DWORD dst_unused:UNUSED_PAD src0_sel:DWORD src1_sel:BYTE_3
	global_load_dwordx2 v[22:23], v25, s[20:21]
	global_load_dwordx2 v[20:21], v26, s[20:21]
	;; [unrolled: 1-line block ×4, first 2 shown]
	s_cbranch_vccnz .LBB159_13
; %bb.15:                               ;   in Loop: Header=BB159_14 Depth=1
	v_mov_b64_e32 v[26:27], s[36:37]
	v_mad_i64_i32 v[24:25], s[28:29], v24, s15, v[26:27]
	v_lshl_add_u64 v[26:27], v[24:25], 0, v[8:9]
	global_load_dwordx2 v[26:27], v[26:27], off offset:2
	s_nop 0
	global_load_ushort v24, v[24:25], off
	s_waitcnt vmcnt(1)
	v_lshlrev_b32_sdwa v14, v36, v26 dst_sel:DWORD dst_unused:UNUSED_PAD src0_sel:DWORD src1_sel:BYTE_0
	global_load_dwordx2 v[40:41], v14, s[20:21]
	v_and_b32_e32 v14, 0xff, v27
	v_bcnt_u32_b32 v42, v14, 0
	v_and_b32_e32 v42, 1, v42
	v_lshlrev_b32_e32 v42, 7, v42
	v_xor_b32_e32 v14, v42, v14
	v_mul_lo_u32 v14, v14, s22
	v_and_b32_e32 v42, 0x8000000, v14
	v_lshrrev_b32_e32 v44, 8, v14
	v_lshrrev_b16_e32 v45, 1, v44
	v_cmp_ne_u16_sdwa s[28:29], v42, v9 src0_sel:BYTE_3 src1_sel:DWORD
	v_and_b32_e32 v43, 1, v27
	v_bfe_i32 v45, v45, 0, 1
	v_lshrrev_b32_e32 v46, 18, v14
	v_cndmask_b32_e64 v42, 0, -1, s[28:29]
	v_sub_u16_e32 v43, 0, v43
	v_bfe_i32 v46, v46, 0, 1
	v_lshlrev_b16_e32 v42, 8, v42
	v_lshlrev_b16_e32 v45, 8, v45
	v_or_b32_sdwa v47, v46, v42 dst_sel:WORD_1 dst_unused:UNUSED_PAD src0_sel:BYTE_0 src1_sel:DWORD
	v_or_b32_sdwa v48, v43, v45 dst_sel:DWORD dst_unused:UNUSED_PAD src0_sel:BYTE_0 src1_sel:DWORD
	v_or_b32_sdwa v47, v48, v47 dst_sel:DWORD dst_unused:UNUSED_PAD src0_sel:WORD_0 src1_sel:DWORD
	v_lshlrev_b16_e32 v43, 8, v43
	v_lshrrev_b16_e32 v44, 5, v44
	v_bfe_i32 v44, v44, 0, 1
	v_lshlrev_b16_e32 v44, 8, v44
	s_waitcnt vmcnt(1)
	v_cvt_f32_f16_e32 v24, v24
	v_mul_f32_e32 v24, v4, v24
	s_waitcnt vmcnt(0)
	v_xor_b32_e32 v40, v40, v47
	v_and_b32_e32 v47, 0xffffff00, v40
	v_sub_i16 v45, v47, v45 clamp
	v_lshlrev_b16_e32 v47, 8, v40
	v_and_b32_e32 v45, 0xffffff00, v45
	v_sub_i16 v43, v47, v43 clamp
	v_or_b32_sdwa v43, v43, v45 dst_sel:DWORD dst_unused:UNUSED_PAD src0_sel:BYTE_1 src1_sel:DWORD
	v_and_b32_sdwa v45, v40, s24 dst_sel:DWORD dst_unused:UNUSED_PAD src0_sel:WORD_1 src1_sel:DWORD
	v_sub_i16 v42, v45, v42 clamp
	v_lshlrev_b16_sdwa v40, v37, v40 dst_sel:DWORD dst_unused:UNUSED_PAD src0_sel:DWORD src1_sel:WORD_1
	v_lshlrev_b16_e32 v45, 8, v46
	v_and_b32_e32 v42, 0xffffff00, v42
	v_sub_i16 v40, v40, v45 clamp
	v_or_b32_sdwa v40, v40, v42 dst_sel:WORD_1 dst_unused:UNUSED_PAD src0_sel:BYTE_1 src1_sel:DWORD
	v_mov_b32_e32 v42, 0
	v_or_b32_sdwa v40, v43, v40 dst_sel:DWORD dst_unused:UNUSED_PAD src0_sel:WORD_0 src1_sel:DWORD
	v_dot4c_i32_i8_e32 v42, v40, v5
	v_and_b32_e32 v40, 0x80000000, v14
	v_cmp_ne_u16_sdwa s[28:29], v40, v9 src0_sel:BYTE_3 src1_sel:DWORD
	v_lshrrev_b32_e32 v14, 22, v14
	v_bfe_i32 v43, v27, 4, 1
	v_cndmask_b32_e64 v40, 0, -1, s[28:29]
	v_bfe_i32 v14, v14, 0, 1
	v_lshlrev_b16_e32 v40, 8, v40
	v_or_b32_sdwa v45, v14, v40 dst_sel:WORD_1 dst_unused:UNUSED_PAD src0_sel:BYTE_0 src1_sel:DWORD
	v_or_b32_sdwa v46, v43, v44 dst_sel:DWORD dst_unused:UNUSED_PAD src0_sel:BYTE_0 src1_sel:DWORD
	v_or_b32_sdwa v45, v46, v45 dst_sel:DWORD dst_unused:UNUSED_PAD src0_sel:WORD_0 src1_sel:DWORD
	v_xor_b32_e32 v41, v41, v45
	v_and_b32_e32 v45, 0xffffff00, v41
	v_sub_i16 v44, v45, v44 clamp
	v_lshlrev_b16_e32 v45, 8, v41
	v_lshlrev_b16_e32 v43, 8, v43
	v_and_b32_e32 v44, 0xffffff00, v44
	v_sub_i16 v43, v45, v43 clamp
	v_or_b32_sdwa v43, v43, v44 dst_sel:DWORD dst_unused:UNUSED_PAD src0_sel:BYTE_1 src1_sel:DWORD
	v_and_b32_sdwa v44, v41, s24 dst_sel:DWORD dst_unused:UNUSED_PAD src0_sel:WORD_1 src1_sel:DWORD
	v_sub_i16 v40, v44, v40 clamp
	v_lshlrev_b16_sdwa v41, v37, v41 dst_sel:DWORD dst_unused:UNUSED_PAD src0_sel:DWORD src1_sel:WORD_1
	v_lshlrev_b16_e32 v14, 8, v14
	v_and_b32_e32 v40, 0xffffff00, v40
	v_sub_i16 v14, v41, v14 clamp
	v_or_b32_sdwa v14, v14, v40 dst_sel:WORD_1 dst_unused:UNUSED_PAD src0_sel:BYTE_1 src1_sel:DWORD
	v_bfe_i32 v44, v27, 7, 1
	v_or_b32_sdwa v14, v43, v14 dst_sel:DWORD dst_unused:UNUSED_PAD src0_sel:WORD_0 src1_sel:DWORD
	v_dot4c_i32_i8_e32 v42, v14, v6
	v_lshlrev_b32_sdwa v14, v36, v26 dst_sel:DWORD dst_unused:UNUSED_PAD src0_sel:DWORD src1_sel:BYTE_1
	global_load_dwordx2 v[40:41], v14, s[20:21]
	v_bfe_u32 v14, v27, 7, 8
	v_bcnt_u32_b32 v43, v14, 0
	v_and_b32_e32 v43, 1, v43
	v_lshlrev_b32_e32 v43, 7, v43
	v_xor_b32_e32 v14, v43, v14
	v_mul_lo_u32 v14, v14, s22
	v_and_b32_e32 v43, 0x8000000, v14
	v_lshrrev_b32_e32 v45, 8, v14
	v_lshrrev_b16_e32 v46, 1, v45
	v_cmp_ne_u16_sdwa s[28:29], v43, v9 src0_sel:BYTE_3 src1_sel:DWORD
	v_bfe_i32 v46, v46, 0, 1
	v_lshrrev_b32_e32 v47, 18, v14
	v_cndmask_b32_e64 v43, 0, -1, s[28:29]
	v_bfe_i32 v47, v47, 0, 1
	v_lshlrev_b16_e32 v43, 8, v43
	v_lshlrev_b16_e32 v46, 8, v46
	v_or_b32_sdwa v48, v47, v43 dst_sel:WORD_1 dst_unused:UNUSED_PAD src0_sel:BYTE_0 src1_sel:DWORD
	v_or_b32_sdwa v49, v44, v46 dst_sel:DWORD dst_unused:UNUSED_PAD src0_sel:BYTE_0 src1_sel:DWORD
	v_or_b32_sdwa v48, v49, v48 dst_sel:DWORD dst_unused:UNUSED_PAD src0_sel:WORD_0 src1_sel:DWORD
	v_lshlrev_b16_e32 v44, 8, v44
	s_waitcnt vmcnt(0)
	v_xor_b32_e32 v40, v40, v48
	v_and_b32_e32 v48, 0xffffff00, v40
	v_sub_i16 v46, v48, v46 clamp
	v_lshlrev_b16_e32 v48, 8, v40
	v_and_b32_e32 v46, 0xffffff00, v46
	v_sub_i16 v44, v48, v44 clamp
	v_or_b32_sdwa v44, v44, v46 dst_sel:DWORD dst_unused:UNUSED_PAD src0_sel:BYTE_1 src1_sel:DWORD
	v_and_b32_sdwa v46, v40, s24 dst_sel:DWORD dst_unused:UNUSED_PAD src0_sel:WORD_1 src1_sel:DWORD
	v_sub_i16 v43, v46, v43 clamp
	v_lshlrev_b16_sdwa v40, v37, v40 dst_sel:DWORD dst_unused:UNUSED_PAD src0_sel:DWORD src1_sel:WORD_1
	v_lshlrev_b16_e32 v46, 8, v47
	v_and_b32_e32 v43, 0xffffff00, v43
	v_sub_i16 v40, v40, v46 clamp
	v_or_b32_sdwa v40, v40, v43 dst_sel:WORD_1 dst_unused:UNUSED_PAD src0_sel:BYTE_1 src1_sel:DWORD
	v_bfe_i32 v43, v27, 11, 1
	v_or_b32_sdwa v40, v44, v40 dst_sel:DWORD dst_unused:UNUSED_PAD src0_sel:WORD_0 src1_sel:DWORD
	v_dot4c_i32_i8_e32 v42, v40, v7
	v_and_b32_e32 v40, 0x80000000, v14
	v_lshrrev_b16_e32 v44, 5, v45
	v_cmp_ne_u16_sdwa s[28:29], v40, v9 src0_sel:BYTE_3 src1_sel:DWORD
	v_bfe_i32 v44, v44, 0, 1
	v_lshrrev_b32_e32 v14, 22, v14
	v_cndmask_b32_e64 v40, 0, -1, s[28:29]
	v_bfe_i32 v14, v14, 0, 1
	v_lshlrev_b16_e32 v40, 8, v40
	v_lshlrev_b16_e32 v44, 8, v44
	v_or_b32_sdwa v45, v14, v40 dst_sel:WORD_1 dst_unused:UNUSED_PAD src0_sel:BYTE_0 src1_sel:DWORD
	v_or_b32_sdwa v46, v43, v44 dst_sel:DWORD dst_unused:UNUSED_PAD src0_sel:BYTE_0 src1_sel:DWORD
	v_or_b32_sdwa v45, v46, v45 dst_sel:DWORD dst_unused:UNUSED_PAD src0_sel:WORD_0 src1_sel:DWORD
	v_xor_b32_e32 v41, v41, v45
	v_and_b32_e32 v45, 0xffffff00, v41
	v_sub_i16 v44, v45, v44 clamp
	v_lshlrev_b16_e32 v45, 8, v41
	v_lshlrev_b16_e32 v43, 8, v43
	v_and_b32_e32 v44, 0xffffff00, v44
	v_sub_i16 v43, v45, v43 clamp
	v_or_b32_sdwa v43, v43, v44 dst_sel:DWORD dst_unused:UNUSED_PAD src0_sel:BYTE_1 src1_sel:DWORD
	v_and_b32_sdwa v44, v41, s24 dst_sel:DWORD dst_unused:UNUSED_PAD src0_sel:WORD_1 src1_sel:DWORD
	v_sub_i16 v40, v44, v40 clamp
	v_lshlrev_b16_sdwa v41, v37, v41 dst_sel:DWORD dst_unused:UNUSED_PAD src0_sel:DWORD src1_sel:WORD_1
	v_lshlrev_b16_e32 v14, 8, v14
	v_and_b32_e32 v40, 0xffffff00, v40
	v_sub_i16 v14, v41, v14 clamp
	v_or_b32_sdwa v14, v14, v40 dst_sel:WORD_1 dst_unused:UNUSED_PAD src0_sel:BYTE_1 src1_sel:DWORD
	v_bfe_i32 v44, v27, 14, 1
	v_or_b32_sdwa v14, v43, v14 dst_sel:DWORD dst_unused:UNUSED_PAD src0_sel:WORD_0 src1_sel:DWORD
	v_dot4c_i32_i8_e32 v42, v14, v0
	v_lshlrev_b32_sdwa v14, v36, v26 dst_sel:DWORD dst_unused:UNUSED_PAD src0_sel:DWORD src1_sel:BYTE_2
	global_load_dwordx2 v[40:41], v14, s[20:21]
	v_bfe_u32 v14, v27, 14, 8
	v_bcnt_u32_b32 v43, v14, 0
	v_and_b32_e32 v43, 1, v43
	v_lshlrev_b32_e32 v43, 7, v43
	v_xor_b32_e32 v14, v43, v14
	v_mul_lo_u32 v14, v14, s22
	v_and_b32_e32 v43, 0x8000000, v14
	v_lshrrev_b32_e32 v45, 8, v14
	v_lshrrev_b16_e32 v46, 1, v45
	v_cmp_ne_u16_sdwa s[28:29], v43, v9 src0_sel:BYTE_3 src1_sel:DWORD
	v_bfe_i32 v46, v46, 0, 1
	v_lshrrev_b32_e32 v47, 18, v14
	v_cndmask_b32_e64 v43, 0, -1, s[28:29]
	v_bfe_i32 v47, v47, 0, 1
	v_lshlrev_b16_e32 v43, 8, v43
	v_lshlrev_b16_e32 v46, 8, v46
	v_or_b32_sdwa v48, v47, v43 dst_sel:WORD_1 dst_unused:UNUSED_PAD src0_sel:BYTE_0 src1_sel:DWORD
	v_or_b32_sdwa v49, v44, v46 dst_sel:DWORD dst_unused:UNUSED_PAD src0_sel:BYTE_0 src1_sel:DWORD
	v_or_b32_sdwa v48, v49, v48 dst_sel:DWORD dst_unused:UNUSED_PAD src0_sel:WORD_0 src1_sel:DWORD
	v_lshlrev_b16_e32 v44, 8, v44
	s_waitcnt vmcnt(0)
	v_xor_b32_e32 v40, v40, v48
	v_and_b32_e32 v48, 0xffffff00, v40
	v_sub_i16 v46, v48, v46 clamp
	v_lshlrev_b16_e32 v48, 8, v40
	v_and_b32_e32 v46, 0xffffff00, v46
	v_sub_i16 v44, v48, v44 clamp
	v_or_b32_sdwa v44, v44, v46 dst_sel:DWORD dst_unused:UNUSED_PAD src0_sel:BYTE_1 src1_sel:DWORD
	v_and_b32_sdwa v46, v40, s24 dst_sel:DWORD dst_unused:UNUSED_PAD src0_sel:WORD_1 src1_sel:DWORD
	v_sub_i16 v43, v46, v43 clamp
	v_lshlrev_b16_sdwa v40, v37, v40 dst_sel:DWORD dst_unused:UNUSED_PAD src0_sel:DWORD src1_sel:WORD_1
	v_lshlrev_b16_e32 v46, 8, v47
	v_and_b32_e32 v43, 0xffffff00, v43
	v_sub_i16 v40, v40, v46 clamp
	v_or_b32_sdwa v40, v40, v43 dst_sel:WORD_1 dst_unused:UNUSED_PAD src0_sel:BYTE_1 src1_sel:DWORD
	v_bfe_i32 v43, v27, 18, 1
	v_or_b32_sdwa v40, v44, v40 dst_sel:DWORD dst_unused:UNUSED_PAD src0_sel:WORD_0 src1_sel:DWORD
	v_dot4c_i32_i8_e32 v42, v40, v1
	v_and_b32_e32 v40, 0x80000000, v14
	v_lshrrev_b16_e32 v44, 5, v45
	v_cmp_ne_u16_sdwa s[28:29], v40, v9 src0_sel:BYTE_3 src1_sel:DWORD
	v_bfe_i32 v44, v44, 0, 1
	v_lshrrev_b32_e32 v14, 22, v14
	v_cndmask_b32_e64 v40, 0, -1, s[28:29]
	v_bfe_i32 v14, v14, 0, 1
	v_lshlrev_b16_e32 v40, 8, v40
	v_lshlrev_b16_e32 v44, 8, v44
	v_or_b32_sdwa v45, v14, v40 dst_sel:WORD_1 dst_unused:UNUSED_PAD src0_sel:BYTE_0 src1_sel:DWORD
	v_or_b32_sdwa v46, v43, v44 dst_sel:DWORD dst_unused:UNUSED_PAD src0_sel:BYTE_0 src1_sel:DWORD
	v_or_b32_sdwa v45, v46, v45 dst_sel:DWORD dst_unused:UNUSED_PAD src0_sel:WORD_0 src1_sel:DWORD
	v_xor_b32_e32 v41, v41, v45
	v_and_b32_e32 v45, 0xffffff00, v41
	v_sub_i16 v44, v45, v44 clamp
	v_lshlrev_b16_e32 v45, 8, v41
	v_lshlrev_b16_e32 v43, 8, v43
	v_and_b32_e32 v44, 0xffffff00, v44
	v_sub_i16 v43, v45, v43 clamp
	v_or_b32_sdwa v43, v43, v44 dst_sel:DWORD dst_unused:UNUSED_PAD src0_sel:BYTE_1 src1_sel:DWORD
	v_and_b32_sdwa v44, v41, s24 dst_sel:DWORD dst_unused:UNUSED_PAD src0_sel:WORD_1 src1_sel:DWORD
	v_sub_i16 v40, v44, v40 clamp
	v_lshlrev_b16_sdwa v41, v37, v41 dst_sel:DWORD dst_unused:UNUSED_PAD src0_sel:DWORD src1_sel:WORD_1
	v_lshlrev_b16_e32 v14, 8, v14
	v_and_b32_e32 v40, 0xffffff00, v40
	v_sub_i16 v14, v41, v14 clamp
	v_or_b32_sdwa v14, v14, v40 dst_sel:WORD_1 dst_unused:UNUSED_PAD src0_sel:BYTE_1 src1_sel:DWORD
	s_nop 0
	v_or_b32_sdwa v14, v43, v14 dst_sel:DWORD dst_unused:UNUSED_PAD src0_sel:WORD_0 src1_sel:DWORD
	v_dot4c_i32_i8_e32 v42, v14, v2
	v_lshlrev_b32_sdwa v14, v36, v26 dst_sel:DWORD dst_unused:UNUSED_PAD src0_sel:DWORD src1_sel:BYTE_3
	global_load_dwordx2 v[40:41], v14, s[20:21]
	v_bfe_u32 v14, v27, 21, 8
	v_bcnt_u32_b32 v26, v14, 0
	v_and_b32_e32 v26, 1, v26
	v_lshlrev_b32_e32 v26, 7, v26
	v_xor_b32_e32 v14, v26, v14
	v_mul_lo_u32 v14, v14, s22
	v_and_b32_e32 v26, 0x8000000, v14
	v_lshrrev_b32_e32 v44, 8, v14
	v_lshrrev_b16_e32 v45, 1, v44
	v_cmp_ne_u16_sdwa s[20:21], v26, v9 src0_sel:BYTE_3 src1_sel:DWORD
	v_bfe_i32 v45, v45, 0, 1
	v_lshrrev_b32_e32 v46, 18, v14
	v_cndmask_b32_e64 v26, 0, -1, s[20:21]
	v_bfe_i32 v43, v27, 21, 1
	v_bfe_i32 v46, v46, 0, 1
	v_lshlrev_b16_e32 v26, 8, v26
	v_lshlrev_b16_e32 v45, 8, v45
	v_or_b32_sdwa v47, v46, v26 dst_sel:WORD_1 dst_unused:UNUSED_PAD src0_sel:BYTE_0 src1_sel:DWORD
	v_or_b32_sdwa v48, v43, v45 dst_sel:DWORD dst_unused:UNUSED_PAD src0_sel:BYTE_0 src1_sel:DWORD
	v_or_b32_sdwa v47, v48, v47 dst_sel:DWORD dst_unused:UNUSED_PAD src0_sel:WORD_0 src1_sel:DWORD
	v_lshlrev_b16_e32 v43, 8, v43
	s_waitcnt vmcnt(0)
	v_xor_b32_e32 v40, v40, v47
	v_and_b32_e32 v47, 0xffffff00, v40
	v_sub_i16 v45, v47, v45 clamp
	v_lshlrev_b16_e32 v47, 8, v40
	v_and_b32_e32 v45, 0xffffff00, v45
	v_sub_i16 v43, v47, v43 clamp
	v_or_b32_sdwa v43, v43, v45 dst_sel:DWORD dst_unused:UNUSED_PAD src0_sel:BYTE_1 src1_sel:DWORD
	v_and_b32_sdwa v45, v40, s24 dst_sel:DWORD dst_unused:UNUSED_PAD src0_sel:WORD_1 src1_sel:DWORD
	v_sub_i16 v26, v45, v26 clamp
	v_lshlrev_b16_sdwa v40, v37, v40 dst_sel:DWORD dst_unused:UNUSED_PAD src0_sel:DWORD src1_sel:WORD_1
	v_lshlrev_b16_e32 v45, 8, v46
	v_and_b32_e32 v26, 0xffffff00, v26
	v_sub_i16 v40, v40, v45 clamp
	v_or_b32_sdwa v26, v40, v26 dst_sel:WORD_1 dst_unused:UNUSED_PAD src0_sel:BYTE_1 src1_sel:DWORD
	v_bfe_i32 v40, v27, 25, 1
	v_or_b32_sdwa v26, v43, v26 dst_sel:DWORD dst_unused:UNUSED_PAD src0_sel:WORD_0 src1_sel:DWORD
	v_dot4c_i32_i8_e32 v42, v26, v3
	v_and_b32_e32 v26, 0x80000000, v14
	v_lshrrev_b16_e32 v43, 5, v44
	v_cmp_ne_u16_sdwa s[20:21], v26, v9 src0_sel:BYTE_3 src1_sel:DWORD
	v_bfe_i32 v43, v43, 0, 1
	v_lshrrev_b32_e32 v14, 22, v14
	v_cndmask_b32_e64 v26, 0, -1, s[20:21]
	v_bfe_i32 v14, v14, 0, 1
	v_lshlrev_b16_e32 v26, 8, v26
	v_lshlrev_b16_e32 v43, 8, v43
	v_or_b32_sdwa v44, v14, v26 dst_sel:WORD_1 dst_unused:UNUSED_PAD src0_sel:BYTE_0 src1_sel:DWORD
	v_or_b32_sdwa v45, v40, v43 dst_sel:DWORD dst_unused:UNUSED_PAD src0_sel:BYTE_0 src1_sel:DWORD
	v_or_b32_sdwa v44, v45, v44 dst_sel:DWORD dst_unused:UNUSED_PAD src0_sel:WORD_0 src1_sel:DWORD
	v_xor_b32_e32 v41, v41, v44
	v_and_b32_e32 v44, 0xffffff00, v41
	v_sub_i16 v43, v44, v43 clamp
	v_lshlrev_b16_e32 v44, 8, v41
	v_lshlrev_b16_e32 v40, 8, v40
	v_and_b32_e32 v43, 0xffffff00, v43
	v_sub_i16 v40, v44, v40 clamp
	v_or_b32_sdwa v40, v40, v43 dst_sel:DWORD dst_unused:UNUSED_PAD src0_sel:BYTE_1 src1_sel:DWORD
	v_and_b32_sdwa v43, v41, s24 dst_sel:DWORD dst_unused:UNUSED_PAD src0_sel:WORD_1 src1_sel:DWORD
	v_sub_i16 v26, v43, v26 clamp
	v_lshlrev_b16_sdwa v41, v37, v41 dst_sel:DWORD dst_unused:UNUSED_PAD src0_sel:DWORD src1_sel:WORD_1
	v_lshlrev_b16_e32 v14, 8, v14
	v_and_b32_e32 v26, 0xffffff00, v26
	v_sub_i16 v14, v41, v14 clamp
	v_or_b32_sdwa v14, v14, v26 dst_sel:WORD_1 dst_unused:UNUSED_PAD src0_sel:BYTE_1 src1_sel:DWORD
	s_nop 0
	v_or_b32_sdwa v14, v40, v14 dst_sel:DWORD dst_unused:UNUSED_PAD src0_sel:WORD_0 src1_sel:DWORD
	v_dot4c_i32_i8_e32 v42, v14, v39
	v_lshrrev_b32_e32 v14, 27, v27
	v_or_b32_e32 v14, 1, v14
	s_nop 0
	v_mul_lo_u32 v14, v42, v14
	v_ashrrev_i32_e32 v26, 31, v14
	v_lshrrev_b32_e32 v26, 29, v26
	v_add_u32_e32 v14, v14, v26
	v_ashrrev_i32_e32 v14, 3, v14
	v_cvt_f32_i32_e32 v14, v14
	v_fmac_f32_e32 v33, v24, v14
	s_branch .LBB159_13
.LBB159_16:
	s_or_b64 exec, exec, s[18:19]
.LBB159_17:
	s_or_b64 exec, exec, s[10:11]
	s_load_dword s3, s[0:1], 0x30
	v_cmp_eq_u32_e64 s[10:11], 0, v32
	v_cmp_ne_u32_e32 vcc, 0, v32
	s_and_saveexec_b64 s[16:17], vcc
	s_cbranch_execz .LBB159_20
; %bb.18:
	v_add_u32_e32 v0, -1, v32
	v_lshl_add_u32 v0, v0, 8, v28
	s_and_b64 vcc, exec, s[8:9]
	ds_write_b32 v0, v35
	s_cbranch_vccnz .LBB159_20
; %bb.19:
	ds_write_b32 v0, v33 offset:256
.LBB159_20:
	s_or_b64 exec, exec, s[16:17]
	s_waitcnt lgkmcnt(0)
	s_barrier
	s_and_saveexec_b64 s[16:17], s[10:11]
	s_cbranch_execz .LBB159_49
; %bb.21:
	ds_read_b32 v0, v28
	s_and_b64 vcc, exec, s[8:9]
	s_cbranch_vccnz .LBB159_23
; %bb.22:
	ds_read_b32 v1, v28 offset:256
	s_waitcnt lgkmcnt(0)
	v_add_f32_e32 v33, v33, v1
.LBB159_23:
	s_waitcnt lgkmcnt(0)
	v_add_f32_e32 v1, v35, v0
	v_mbcnt_lo_u32_b32 v0, -1, 0
	v_mbcnt_hi_u32_b32 v4, -1, v0
	v_and_b32_e32 v0, 64, v4
	v_add_u32_e32 v7, 64, v0
	v_xor_b32_e32 v0, 32, v4
	v_cmp_lt_i32_e32 vcc, v0, v7
	v_xor_b32_e32 v3, 16, v4
	v_xor_b32_e32 v5, 8, v4
	v_cndmask_b32_e32 v0, v4, v0, vcc
	v_lshlrev_b32_e32 v0, 2, v0
	ds_bpermute_b32 v2, v0, v1
	v_cmp_lt_i32_e32 vcc, v3, v7
	v_xor_b32_e32 v6, 4, v4
	v_xor_b32_e32 v8, 2, v4
	;; [unrolled: 1-line block ×3, first 2 shown]
	s_waitcnt lgkmcnt(0)
	v_add_f32_e32 v2, v1, v2
	v_cndmask_b32_e32 v1, v4, v3, vcc
	v_lshlrev_b32_e32 v1, 2, v1
	ds_bpermute_b32 v3, v1, v2
	v_cmp_lt_i32_e32 vcc, v5, v7
	s_waitcnt lgkmcnt(0)
	v_add_f32_e32 v2, v2, v3
	v_cndmask_b32_e32 v3, v4, v5, vcc
	v_lshlrev_b32_e32 v3, 2, v3
	ds_bpermute_b32 v5, v3, v2
	v_cmp_lt_i32_e32 vcc, v6, v7
	;; [unrolled: 6-line block ×4, first 2 shown]
	s_waitcnt lgkmcnt(0)
	v_add_f32_e32 v2, v2, v8
	v_cndmask_b32_e32 v4, v4, v9, vcc
	v_lshlrev_b32_e32 v7, 2, v4
	ds_bpermute_b32 v4, v7, v2
	s_and_b64 vcc, exec, s[8:9]
	s_cbranch_vccnz .LBB159_25
; %bb.24:
	ds_bpermute_b32 v0, v0, v33
	s_waitcnt lgkmcnt(0)
	v_add_f32_e32 v0, v33, v0
	ds_bpermute_b32 v1, v1, v0
	s_waitcnt lgkmcnt(0)
	v_add_f32_e32 v0, v0, v1
	;; [unrolled: 3-line block ×6, first 2 shown]
.LBB159_25:
	v_cmp_eq_u32_e32 vcc, 0, v29
	s_and_b64 exec, exec, vcc
	s_cbranch_execz .LBB159_49
; %bb.26:
	s_waitcnt lgkmcnt(0)
	v_add_f32_e32 v0, v2, v4
	s_waitcnt vmcnt(0)
	v_add_f32_e32 v1, v31, v0
	s_and_b64 vcc, exec, s[8:9]
	v_cndmask_b32_e64 v0, v0, v1, s[12:13]
	s_cbranch_vccnz .LBB159_48
; %bb.27:
	v_add_f32_e32 v1, v30, v33
	v_cndmask_b32_e64 v1, v33, v1, s[6:7]
	s_cmp_lt_i32 s3, 2
	s_mov_b64 s[6:7], 0
	s_cbranch_scc1 .LBB159_31
; %bb.28:
	s_cmp_gt_i32 s3, 2
	s_cbranch_scc0 .LBB159_32
; %bb.29:
	s_cmp_eq_u32 s3, 3
	s_cbranch_scc0 .LBB159_33
; %bb.30:
	v_max_f32_e32 v2, v1, v1
	v_min_f32_e32 v4, 0x40e00000, v2
	v_mul_f32_e32 v3, 0xbfd9db23, v4
	s_mov_b32 s5, 0x3fb8aa3b
	v_mul_f32_e32 v2, 0x3fb8aa3b, v3
	v_fma_f32 v5, v3, s5, -v2
	v_rndne_f32_e32 v6, v2
	v_fmamk_f32 v5, v3, 0x32a5705f, v5
	v_sub_f32_e32 v2, v2, v6
	v_add_f32_e32 v2, v2, v5
	v_exp_f32_e32 v5, v2
	v_cvt_i32_f32_e32 v6, v6
	s_mov_b32 s5, 0xc2ce8ed0
	v_max_f32_e32 v2, v0, v0
	v_cmp_ngt_f32_e32 vcc, s5, v3
	v_ldexp_f32 v5, v5, v6
	s_mov_b32 s5, 0x42b17218
	v_min_f32_e32 v2, 0x40e00000, v2
	v_cndmask_b32_e32 v5, 0, v5, vcc
	v_mov_b32_e32 v6, 0x7f800000
	v_cmp_nlt_f32_e32 vcc, s5, v3
	v_max_f32_e32 v2, 0xc0e00000, v2
	s_nop 0
	v_cndmask_b32_e32 v3, v6, v5, vcc
	v_pk_add_f32 v[2:3], v[2:3], 1.0 op_sel_hi:[1,0]
	s_nop 0
	v_div_scale_f32 v5, s[8:9], v3, v3, v4
	v_rcp_f32_e32 v6, v5
	s_mov_b64 s[8:9], 0
	v_fma_f32 v7, -v5, v6, 1.0
	v_fmac_f32_e32 v6, v7, v6
	v_div_scale_f32 v7, vcc, v4, v3, v4
	v_mul_f32_e32 v8, v7, v6
	v_fma_f32 v9, -v5, v8, v7
	v_fmac_f32_e32 v8, v9, v6
	v_fma_f32 v5, -v5, v8, v7
	v_div_fmas_f32 v5, v5, v6, v8
	v_div_fixup_f32 v3, v5, v3, v4
	v_mul_f32_e32 v2, v2, v3
	s_branch .LBB159_34
.LBB159_31:
                                        ; implicit-def: $vgpr2
	s_mov_b64 s[8:9], 0
	s_cbranch_execnz .LBB159_38
	s_branch .LBB159_39
.LBB159_32:
	s_mov_b64 s[10:11], -1
	s_mov_b64 s[8:9], 0
                                        ; implicit-def: $vgpr2
	s_branch .LBB159_35
.LBB159_33:
	s_mov_b64 s[8:9], -1
                                        ; implicit-def: $vgpr2
.LBB159_34:
	s_mov_b64 s[10:11], 0
.LBB159_35:
	s_and_b64 vcc, exec, s[10:11]
	s_cbranch_vccz .LBB159_37
; %bb.36:
	v_mul_f32_e32 v2, 0xbfb8aa3b, v1
	s_mov_b32 s5, 0xbfb8aa3b
	v_rndne_f32_e32 v3, v2
	v_sub_f32_e32 v4, v2, v3
	v_fma_f32 v2, v1, s5, -v2
	v_fmamk_f32 v2, v1, 0xb2a5705f, v2
	v_add_f32_e32 v2, v4, v2
	v_exp_f32_e32 v2, v2
	v_cvt_i32_f32_e32 v3, v3
	s_mov_b32 s5, 0x42ce8ed0
	v_cmp_nlt_f32_e32 vcc, s5, v1
	s_mov_b32 s5, 0xc2b17218
	v_ldexp_f32 v2, v2, v3
	v_cndmask_b32_e32 v2, 0, v2, vcc
	v_mov_b32_e32 v3, 0x7f800000
	v_cmp_ngt_f32_e32 vcc, s5, v1
	s_nop 1
	v_cndmask_b32_e32 v2, v3, v2, vcc
	v_add_f32_e32 v2, 1.0, v2
	v_div_scale_f32 v3, s[10:11], v2, v2, v1
	v_rcp_f32_e32 v4, v3
	s_nop 0
	v_fma_f32 v5, -v3, v4, 1.0
	v_fmac_f32_e32 v4, v5, v4
	v_div_scale_f32 v5, vcc, v1, v2, v1
	v_mul_f32_e32 v6, v5, v4
	v_fma_f32 v7, -v3, v6, v5
	v_fmac_f32_e32 v6, v7, v4
	v_fma_f32 v3, -v3, v6, v5
	v_div_fmas_f32 v3, v3, v4, v6
	v_div_fixup_f32 v2, v3, v2, v1
	v_mul_f32_e32 v2, v0, v2
.LBB159_37:
	s_branch .LBB159_39
.LBB159_38:
	s_cmp_lg_u32 s3, 1
	s_mov_b64 s[6:7], -1
	s_cselect_b64 s[8:9], -1, 0
                                        ; implicit-def: $vgpr2
.LBB159_39:
	s_andn2_b64 vcc, exec, s[8:9]
	s_cbranch_vccz .LBB159_41
; %bb.40:
	s_andn2_b64 vcc, exec, s[6:7]
	s_cbranch_vccz .LBB159_42
	s_branch .LBB159_47
.LBB159_41:
	v_mul_f32_e32 v2, v0, v1
	s_cbranch_execnz .LBB159_47
.LBB159_42:
	v_mul_f32_e32 v3, 0x3d372713, v1
	v_mul_f32_e32 v2, 0x3f4c422a, v1
	v_fma_f32 v3, v1, v3, 1.0
	v_mul_f32_e32 v2, v2, v3
	s_mov_b32 s3, 0x3f200000
	v_cmp_nlt_f32_e64 s[6:7], |v2|, s3
                                        ; implicit-def: $vgpr3
	s_and_saveexec_b64 s[8:9], s[6:7]
	s_xor_b64 s[6:7], exec, s[8:9]
	s_cbranch_execz .LBB159_44
; %bb.43:
	v_add_f32_e64 v3, |v2|, |v2|
	v_mul_f32_e32 v4, 0x3fb8aa3b, v3
	s_mov_b32 s3, 0x3fb8aa3b
	v_rndne_f32_e32 v5, v4
	v_sub_f32_e32 v6, v4, v5
	v_fma_f32 v4, v3, s3, -v4
	v_fmamk_f32 v4, v3, 0x32a5705f, v4
	v_add_f32_e32 v4, v6, v4
	v_exp_f32_e32 v4, v4
	v_cvt_i32_f32_e32 v5, v5
	s_mov_b32 s3, 0xc2ce8ed0
	v_cmp_ngt_f32_e32 vcc, s3, v3
	s_mov_b32 s3, 0x42b17218
	v_ldexp_f32 v4, v4, v5
	v_cndmask_b32_e32 v4, 0, v4, vcc
	v_mov_b32_e32 v5, 0x7f800000
	v_cmp_nlt_f32_e32 vcc, s3, v3
	s_nop 1
	v_cndmask_b32_e32 v3, v5, v4, vcc
	v_add_f32_e32 v3, 1.0, v3
	v_rcp_f32_e32 v3, v3
	s_nop 0
	v_fma_f32 v3, v3, -2.0, 1.0
.LBB159_44:
	s_andn2_saveexec_b64 s[6:7], s[6:7]
; %bb.45:
	v_mul_f32_e32 v3, v2, v2
	v_mov_b32_e32 v4, 0x3ca908c9
	v_fmac_f32_e32 v4, 0xbbbac73d, v3
	v_fmaak_f32 v4, v3, v4, 0xbd5c1c4e
	v_fmaak_f32 v4, v3, v4, 0x3e088382
	;; [unrolled: 1-line block ×3, first 2 shown]
	v_mul_f32_e64 v4, |v2|, v4
	v_fma_f32 v3, v3, v4, |v2|
; %bb.46:
	s_or_b64 exec, exec, s[6:7]
	s_brev_b32 s3, -2
	v_bfi_b32 v2, s3, v3, v2
	v_mul_f32_e32 v1, 0.5, v1
	v_add_f32_e32 v2, 1.0, v2
	v_mul_f32_e32 v1, v1, v2
	v_mul_f32_e32 v2, v0, v1
.LBB159_47:
	v_mov_b32_e32 v0, v2
.LBB159_48:
	s_load_dwordx2 s[0:1], s[0:1], 0x38
	s_mul_i32 s3, s14, s26
	s_mul_i32 s4, s4, s30
	s_add_i32 s2, s3, s2
	s_add_i32 s2, s2, s4
	s_mov_b32 s3, 0
	s_lshl_b64 s[2:3], s[2:3], 2
	s_waitcnt lgkmcnt(0)
	s_add_u32 s0, s0, s2
	s_addc_u32 s1, s1, s3
	global_store_dword v28, v0, s[0:1]
.LBB159_49:
	s_endpgm
	.section	.rodata,"a",@progbits
	.p2align	6, 0x0
	.amdhsa_kernel _ZL13mul_mat_vec_qIL9ggml_type16ELi1ELb1ELb0EEvPKvS2_PKi31ggml_cuda_mm_fusion_args_devicePfj15HIP_vector_typeIjLj3EEjjjS8_jjjS8_jjjj
		.amdhsa_group_segment_fixed_size 512
		.amdhsa_private_segment_fixed_size 0
		.amdhsa_kernarg_size 144
		.amdhsa_user_sgpr_count 2
		.amdhsa_user_sgpr_dispatch_ptr 0
		.amdhsa_user_sgpr_queue_ptr 0
		.amdhsa_user_sgpr_kernarg_segment_ptr 1
		.amdhsa_user_sgpr_dispatch_id 0
		.amdhsa_user_sgpr_kernarg_preload_length 0
		.amdhsa_user_sgpr_kernarg_preload_offset 0
		.amdhsa_user_sgpr_private_segment_size 0
		.amdhsa_uses_dynamic_stack 0
		.amdhsa_enable_private_segment 0
		.amdhsa_system_sgpr_workgroup_id_x 1
		.amdhsa_system_sgpr_workgroup_id_y 1
		.amdhsa_system_sgpr_workgroup_id_z 1
		.amdhsa_system_sgpr_workgroup_info 0
		.amdhsa_system_vgpr_workitem_id 1
		.amdhsa_next_free_vgpr 50
		.amdhsa_next_free_sgpr 44
		.amdhsa_accum_offset 52
		.amdhsa_reserve_vcc 1
		.amdhsa_float_round_mode_32 0
		.amdhsa_float_round_mode_16_64 0
		.amdhsa_float_denorm_mode_32 3
		.amdhsa_float_denorm_mode_16_64 3
		.amdhsa_dx10_clamp 1
		.amdhsa_ieee_mode 1
		.amdhsa_fp16_overflow 0
		.amdhsa_tg_split 0
		.amdhsa_exception_fp_ieee_invalid_op 0
		.amdhsa_exception_fp_denorm_src 0
		.amdhsa_exception_fp_ieee_div_zero 0
		.amdhsa_exception_fp_ieee_overflow 0
		.amdhsa_exception_fp_ieee_underflow 0
		.amdhsa_exception_fp_ieee_inexact 0
		.amdhsa_exception_int_div_zero 0
	.end_amdhsa_kernel
	.section	.text._ZL13mul_mat_vec_qIL9ggml_type16ELi1ELb1ELb0EEvPKvS2_PKi31ggml_cuda_mm_fusion_args_devicePfj15HIP_vector_typeIjLj3EEjjjS8_jjjS8_jjjj,"axG",@progbits,_ZL13mul_mat_vec_qIL9ggml_type16ELi1ELb1ELb0EEvPKvS2_PKi31ggml_cuda_mm_fusion_args_devicePfj15HIP_vector_typeIjLj3EEjjjS8_jjjS8_jjjj,comdat
.Lfunc_end159:
	.size	_ZL13mul_mat_vec_qIL9ggml_type16ELi1ELb1ELb0EEvPKvS2_PKi31ggml_cuda_mm_fusion_args_devicePfj15HIP_vector_typeIjLj3EEjjjS8_jjjS8_jjjj, .Lfunc_end159-_ZL13mul_mat_vec_qIL9ggml_type16ELi1ELb1ELb0EEvPKvS2_PKi31ggml_cuda_mm_fusion_args_devicePfj15HIP_vector_typeIjLj3EEjjjS8_jjjS8_jjjj
                                        ; -- End function
	.section	.AMDGPU.csdata,"",@progbits
; Kernel info:
; codeLenInByte = 6120
; NumSgprs: 50
; NumVgprs: 50
; NumAgprs: 0
; TotalNumVgprs: 50
; ScratchSize: 0
; MemoryBound: 0
; FloatMode: 240
; IeeeMode: 1
; LDSByteSize: 512 bytes/workgroup (compile time only)
; SGPRBlocks: 6
; VGPRBlocks: 6
; NumSGPRsForWavesPerEU: 50
; NumVGPRsForWavesPerEU: 50
; AccumOffset: 52
; Occupancy: 8
; WaveLimiterHint : 0
; COMPUTE_PGM_RSRC2:SCRATCH_EN: 0
; COMPUTE_PGM_RSRC2:USER_SGPR: 2
; COMPUTE_PGM_RSRC2:TRAP_HANDLER: 0
; COMPUTE_PGM_RSRC2:TGID_X_EN: 1
; COMPUTE_PGM_RSRC2:TGID_Y_EN: 1
; COMPUTE_PGM_RSRC2:TGID_Z_EN: 1
; COMPUTE_PGM_RSRC2:TIDIG_COMP_CNT: 1
; COMPUTE_PGM_RSRC3_GFX90A:ACCUM_OFFSET: 12
; COMPUTE_PGM_RSRC3_GFX90A:TG_SPLIT: 0
	.section	.text._ZL13mul_mat_vec_qIL9ggml_type16ELi1ELb0ELb0EEvPKvS2_PKi31ggml_cuda_mm_fusion_args_devicePfj15HIP_vector_typeIjLj3EEjjjS8_jjjS8_jjjj,"axG",@progbits,_ZL13mul_mat_vec_qIL9ggml_type16ELi1ELb0ELb0EEvPKvS2_PKi31ggml_cuda_mm_fusion_args_devicePfj15HIP_vector_typeIjLj3EEjjjS8_jjjS8_jjjj,comdat
	.globl	_ZL13mul_mat_vec_qIL9ggml_type16ELi1ELb0ELb0EEvPKvS2_PKi31ggml_cuda_mm_fusion_args_devicePfj15HIP_vector_typeIjLj3EEjjjS8_jjjS8_jjjj ; -- Begin function _ZL13mul_mat_vec_qIL9ggml_type16ELi1ELb0ELb0EEvPKvS2_PKi31ggml_cuda_mm_fusion_args_devicePfj15HIP_vector_typeIjLj3EEjjjS8_jjjS8_jjjj
	.p2align	8
	.type	_ZL13mul_mat_vec_qIL9ggml_type16ELi1ELb0ELb0EEvPKvS2_PKi31ggml_cuda_mm_fusion_args_devicePfj15HIP_vector_typeIjLj3EEjjjS8_jjjS8_jjjj,@function
_ZL13mul_mat_vec_qIL9ggml_type16ELi1ELb0ELb0EEvPKvS2_PKi31ggml_cuda_mm_fusion_args_devicePfj15HIP_vector_typeIjLj3EEjjjS8_jjjS8_jjjj: ; @_ZL13mul_mat_vec_qIL9ggml_type16ELi1ELb0ELb0EEvPKvS2_PKi31ggml_cuda_mm_fusion_args_devicePfj15HIP_vector_typeIjLj3EEjjjS8_jjjS8_jjjj
; %bb.0:
	s_load_dwordx2 s[8:9], s[0:1], 0x10
	s_load_dwordx4 s[16:19], s[0:1], 0x40
	s_mov_b32 s20, s3
	s_mov_b64 s[12:13], 0
	s_waitcnt lgkmcnt(0)
	s_cmp_lg_u64 s[8:9], 0
	s_cselect_b64 s[6:7], -1, 0
	s_cmp_eq_u64 s[8:9], 0
	s_cbranch_scc1 .LBB160_5
; %bb.1:
	s_mov_b32 s21, 0
	s_lshl_b64 s[10:11], s[20:21], 2
	s_add_u32 s8, s8, s10
	s_addc_u32 s9, s9, s11
	s_load_dword s5, s[8:9], 0x0
	s_nop 0
	s_load_dwordx4 s[8:11], s[0:1], 0x68
	s_load_dword s21, s[0:1], 0x50
	s_andn2_b64 vcc, exec, s[12:13]
	s_cbranch_vccnz .LBB160_3
.LBB160_2:
	s_load_dwordx2 s[12:13], s[0:1], 0x5c
	s_waitcnt lgkmcnt(0)
	s_mul_hi_u32 s3, s12, s20
	s_add_i32 s3, s20, s3
	s_lshr_b32 s5, s3, s13
.LBB160_3:
	s_load_dword s22, s[0:1], 0x78
	s_andn2_b64 vcc, exec, s[6:7]
	s_cbranch_vccnz .LBB160_6
; %bb.4:
	s_mul_hi_u32 s3, s17, s20
	s_add_i32 s3, s20, s3
	s_lshr_b32 s3, s3, s18
	s_mul_i32 s3, s3, s19
	s_sub_i32 s17, s20, s3
	s_branch .LBB160_7
.LBB160_5:
                                        ; implicit-def: $sgpr5
	s_load_dwordx4 s[8:11], s[0:1], 0x68
	s_load_dword s21, s[0:1], 0x50
	s_branch .LBB160_2
.LBB160_6:
	s_mov_b32 s17, s20
.LBB160_7:
	s_load_dwordx4 s[12:15], s[0:1], 0x80
	v_bfe_u32 v17, v0, 10, 10
	v_and_b32_e32 v16, 0x3ff, v0
	v_lshl_add_u32 v0, v17, 6, v16
	s_lshr_b32 s3, s16, 8
	v_lshrrev_b32_e32 v18, 3, v0
	v_cmp_gt_u32_e32 vcc, s3, v18
	v_mov_b32_e32 v19, 0
	s_and_saveexec_b64 s[6:7], vcc
	s_cbranch_execz .LBB160_11
; %bb.8:
	s_waitcnt lgkmcnt(0)
	s_mul_i32 s5, s5, s8
	s_mul_hi_u32 s8, s11, s4
	s_add_i32 s8, s4, s8
	s_lshr_b32 s8, s8, s22
	s_mul_i32 s9, s17, s9
	s_mul_i32 s8, s8, s12
	v_lshlrev_b32_e32 v1, 1, v16
	s_load_dwordx4 s[24:27], s[0:1], 0x0
	v_and_b32_e32 v1, 14, v1
	s_add_i32 s5, s8, s5
	s_mul_hi_u32 s8, s9, 36
	s_mul_i32 s9, s9, 36
	v_lshlrev_b32_e32 v2, 1, v1
	v_lshrrev_b32_e32 v4, 3, v0
	v_mov_b32_e32 v0, s9
	v_mov_b32_e32 v1, s8
	s_movk_i32 s8, 0x120
	s_mul_i32 s13, s4, s13
	v_mad_u64_u32 v[0:1], s[8:9], v4, s8, v[0:1]
	v_and_b32_e32 v3, 7, v16
	v_mad_u64_u32 v[0:1], s[8:9], s13, 36, v[0:1]
	v_mad_u64_u32 v[0:1], s[8:9], v3, 36, v[0:1]
	s_mul_i32 s15, s2, s21
	v_mov_b32_e32 v5, 0
	s_waitcnt lgkmcnt(0)
	v_lshl_add_u64 v[0:1], v[0:1], 0, s[26:27]
	s_add_i32 s5, s5, s15
	v_lshl_add_u64 v[6:7], v[0:1], 0, 16
	s_mov_b64 s[8:9], 0
	s_movk_i32 s11, 0x42
	v_mov_b64_e32 v[8:9], s[24:25]
	v_lshlrev_b32_e32 v4, 1, v2
	s_mov_b32 s15, 0x1010101
	s_movk_i32 s18, 0xff00
	s_mov_b64 s[12:13], 0x1200
	v_mov_b32_e32 v20, 3
	v_mov_b32_e32 v21, 8
	;; [unrolled: 1-line block ×3, first 2 shown]
.LBB160_9:                              ; =>This Inner Loop Header: Depth=1
	v_add_u32_e32 v10, s5, v18
	v_mad_i64_i32 v[12:13], s[22:23], v10, s11, v[8:9]
	v_lshl_add_u64 v[14:15], v[12:13], 0, v[4:5]
	global_load_dwordx4 v[0:3], v[6:7], off offset:-16
	global_load_dword v22, v[6:7], off offset:16
	global_load_dwordx2 v[10:11], v[14:15], off offset:2
	global_load_ushort v23, v[12:13], off
	s_getpc_b64 s[16:17]
	s_add_u32 s16, s16, _ZL11iq2xxs_grid@rel32@lo+4
	s_addc_u32 s17, s17, _ZL11iq2xxs_grid@rel32@hi+12
	v_add_u32_e32 v18, 16, v18
	v_cmp_le_u32_e32 vcc, s3, v18
	s_or_b64 s[8:9], vcc, s[8:9]
	s_waitcnt vmcnt(3)
	v_cvt_f32_f16_e32 v0, v0
	s_waitcnt vmcnt(1)
	v_lshlrev_b32_sdwa v26, v20, v10 dst_sel:DWORD dst_unused:UNUSED_PAD src0_sel:DWORD src1_sel:BYTE_0
	v_and_b32_e32 v12, 1, v11
	v_and_b32_e32 v27, 0xff, v11
	v_bfe_i32 v28, v11, 4, 1
	v_lshlrev_b32_sdwa v29, v20, v10 dst_sel:DWORD dst_unused:UNUSED_PAD src0_sel:DWORD src1_sel:BYTE_1
	v_bfe_u32 v30, v11, 7, 8
	v_bfe_i32 v31, v11, 7, 1
	v_bfe_i32 v32, v11, 11, 1
	v_lshlrev_b32_sdwa v33, v20, v10 dst_sel:DWORD dst_unused:UNUSED_PAD src0_sel:DWORD src1_sel:BYTE_2
	v_bfe_u32 v34, v11, 14, 8
	v_bfe_i32 v35, v11, 14, 1
	v_bfe_i32 v36, v11, 18, 1
	v_lshlrev_b32_sdwa v37, v20, v10 dst_sel:DWORD dst_unused:UNUSED_PAD src0_sel:DWORD src1_sel:BYTE_3
	v_bfe_u32 v38, v11, 21, 8
	v_bfe_i32 v39, v11, 21, 1
	v_bfe_i32 v40, v11, 25, 1
	v_lshrrev_b32_e32 v41, 27, v11
	v_sub_u16_e32 v43, 0, v12
	global_load_dwordx2 v[10:11], v26, s[16:17]
	global_load_dwordx2 v[12:13], v29, s[16:17]
	;; [unrolled: 1-line block ×4, first 2 shown]
	v_bcnt_u32_b32 v42, v27, 0
	v_and_b32_e32 v29, 1, v42
	v_bcnt_u32_b32 v45, v30, 0
	v_bcnt_u32_b32 v46, v34, 0
	v_lshlrev_b32_e32 v29, 7, v29
	v_and_b32_e32 v37, 1, v45
	v_and_b32_e32 v42, 1, v46
	v_xor_b32_e32 v27, v29, v27
	v_bcnt_u32_b32 v26, v38, 0
	v_lshlrev_b32_e32 v37, 7, v37
	v_lshlrev_b32_e32 v42, 7, v42
	v_mul_lo_u32 v27, v27, s15
	v_and_b32_e32 v26, 1, v26
	v_xor_b32_e32 v29, v37, v30
	v_xor_b32_e32 v30, v42, v34
	v_and_b32_e32 v34, 0x8000000, v27
	v_lshrrev_b32_e32 v37, 8, v27
	v_lshlrev_b32_e32 v26, 7, v26
	v_mul_lo_u32 v29, v29, s15
	v_and_b32_e32 v42, 0x80000000, v27
	v_lshrrev_b16_e32 v57, 1, v37
	v_cmp_ne_u16_sdwa s[16:17], v34, v5 src0_sel:BYTE_3 src1_sel:DWORD
	v_xor_b32_e32 v26, v26, v38
	v_lshrrev_b32_e32 v38, 18, v27
	v_and_b32_e32 v45, 0x8000000, v29
	v_lshrrev_b32_e32 v46, 8, v29
	v_cndmask_b32_e64 v34, 0, -1, s[16:17]
	v_lshrrev_b16_e32 v37, 5, v37
	v_cmp_ne_u16_sdwa s[16:17], v42, v5 src0_sel:BYTE_3 src1_sel:DWORD
	v_bfe_i32 v57, v57, 0, 1
	v_mul_lo_u32 v30, v30, s15
	v_lshrrev_b32_e32 v27, 22, v27
	v_and_b32_e32 v48, 0x80000000, v29
	v_bfe_i32 v38, v38, 0, 1
	v_cndmask_b32_e64 v42, 0, -1, s[16:17]
	v_lshrrev_b16_e32 v58, 1, v46
	v_cmp_ne_u16_sdwa s[16:17], v45, v5 src0_sel:BYTE_3 src1_sel:DWORD
	v_lshlrev_b16_e32 v34, 8, v34
	v_bfe_i32 v37, v37, 0, 1
	v_lshlrev_b16_e32 v57, 8, v57
	v_lshlrev_b16_e32 v33, 8, v43
	v_lshrrev_b32_e32 v47, 18, v29
	v_and_b32_e32 v49, 0x8000000, v30
	v_lshrrev_b32_e32 v50, 8, v30
	v_bfe_i32 v27, v27, 0, 1
	v_cndmask_b32_e64 v45, 0, -1, s[16:17]
	v_lshrrev_b16_e32 v46, 5, v46
	v_cmp_ne_u16_sdwa s[16:17], v48, v5 src0_sel:BYTE_3 src1_sel:DWORD
	v_lshlrev_b16_e32 v61, 8, v38
	v_lshlrev_b16_e32 v42, 8, v42
	v_bfe_i32 v58, v58, 0, 1
	v_or_b32_sdwa v38, v38, v34 dst_sel:WORD_1 dst_unused:UNUSED_PAD src0_sel:BYTE_0 src1_sel:DWORD
	v_or_b32_sdwa v43, v43, v57 dst_sel:DWORD dst_unused:UNUSED_PAD src0_sel:BYTE_0 src1_sel:DWORD
	v_lshlrev_b16_e32 v37, 8, v37
	v_lshlrev_b16_e32 v44, 8, v28
	v_mul_lo_u32 v26, v26, s15
	v_lshrrev_b32_e32 v29, 22, v29
	v_and_b32_e32 v52, 0x80000000, v30
	v_bfe_i32 v47, v47, 0, 1
	v_cndmask_b32_e64 v48, 0, -1, s[16:17]
	v_lshrrev_b16_e32 v59, 1, v50
	v_cmp_ne_u16_sdwa s[16:17], v49, v5 src0_sel:BYTE_3 src1_sel:DWORD
	v_lshlrev_b16_e32 v45, 8, v45
	v_bfe_i32 v46, v46, 0, 1
	v_or_b32_sdwa v38, v43, v38 dst_sel:DWORD dst_unused:UNUSED_PAD src0_sel:WORD_0 src1_sel:DWORD
	v_or_b32_sdwa v43, v27, v42 dst_sel:WORD_1 dst_unused:UNUSED_PAD src0_sel:BYTE_0 src1_sel:DWORD
	v_or_b32_sdwa v28, v28, v37 dst_sel:DWORD dst_unused:UNUSED_PAD src0_sel:BYTE_0 src1_sel:DWORD
	v_lshlrev_b16_e32 v58, 8, v58
	v_lshrrev_b32_e32 v51, 18, v30
	v_and_b32_e32 v53, 0x8000000, v26
	v_lshrrev_b32_e32 v54, 8, v26
	v_bfe_i32 v29, v29, 0, 1
	v_cndmask_b32_e64 v49, 0, -1, s[16:17]
	v_lshrrev_b16_e32 v50, 5, v50
	v_cmp_ne_u16_sdwa s[16:17], v52, v5 src0_sel:BYTE_3 src1_sel:DWORD
	v_lshlrev_b16_e32 v48, 8, v48
	v_bfe_i32 v59, v59, 0, 1
	v_or_b32_sdwa v28, v28, v43 dst_sel:DWORD dst_unused:UNUSED_PAD src0_sel:WORD_0 src1_sel:DWORD
	v_or_b32_sdwa v43, v47, v45 dst_sel:WORD_1 dst_unused:UNUSED_PAD src0_sel:BYTE_0 src1_sel:DWORD
	s_waitcnt vmcnt(3)
	v_xor_b32_e32 v10, v10, v38
	v_lshlrev_b16_e32 v38, 8, v46
	v_or_b32_sdwa v46, v31, v58 dst_sel:DWORD dst_unused:UNUSED_PAD src0_sel:BYTE_0 src1_sel:DWORD
	v_lshrrev_b32_e32 v30, 22, v30
	v_and_b32_e32 v56, 0x80000000, v26
	v_bfe_i32 v51, v51, 0, 1
	v_cndmask_b32_e64 v52, 0, -1, s[16:17]
	v_lshrrev_b16_e32 v60, 1, v54
	v_cmp_ne_u16_sdwa s[16:17], v53, v5 src0_sel:BYTE_3 src1_sel:DWORD
	v_lshlrev_b16_e32 v49, 8, v49
	v_bfe_i32 v50, v50, 0, 1
	v_xor_b32_e32 v28, v11, v28
	v_or_b32_sdwa v11, v29, v48 dst_sel:WORD_1 dst_unused:UNUSED_PAD src0_sel:BYTE_0 src1_sel:DWORD
	v_or_b32_sdwa v43, v46, v43 dst_sel:DWORD dst_unused:UNUSED_PAD src0_sel:WORD_0 src1_sel:DWORD
	v_or_b32_sdwa v46, v32, v38 dst_sel:DWORD dst_unused:UNUSED_PAD src0_sel:BYTE_0 src1_sel:DWORD
	v_lshlrev_b16_e32 v59, 8, v59
	v_lshrrev_b32_e32 v55, 18, v26
	v_bfe_i32 v30, v30, 0, 1
	v_cndmask_b32_e64 v53, 0, -1, s[16:17]
	v_lshrrev_b16_e32 v54, 5, v54
	v_cmp_ne_u16_sdwa s[16:17], v56, v5 src0_sel:BYTE_3 src1_sel:DWORD
	v_lshlrev_b16_e32 v52, 8, v52
	v_bfe_i32 v60, v60, 0, 1
	v_or_b32_sdwa v11, v46, v11 dst_sel:DWORD dst_unused:UNUSED_PAD src0_sel:WORD_0 src1_sel:DWORD
	v_or_b32_sdwa v46, v51, v49 dst_sel:WORD_1 dst_unused:UNUSED_PAD src0_sel:BYTE_0 src1_sel:DWORD
	s_waitcnt vmcnt(2)
	v_xor_b32_e32 v43, v12, v43
	v_lshlrev_b16_e32 v50, 8, v50
	v_or_b32_sdwa v12, v35, v59 dst_sel:DWORD dst_unused:UNUSED_PAD src0_sel:BYTE_0 src1_sel:DWORD
	v_lshrrev_b32_e32 v26, 22, v26
	v_bfe_i32 v55, v55, 0, 1
	v_cndmask_b32_e64 v56, 0, -1, s[16:17]
	v_lshlrev_b16_e32 v53, 8, v53
	v_bfe_i32 v54, v54, 0, 1
	v_xor_b32_e32 v62, v13, v11
	v_or_b32_sdwa v11, v30, v52 dst_sel:WORD_1 dst_unused:UNUSED_PAD src0_sel:BYTE_0 src1_sel:DWORD
	v_or_b32_sdwa v12, v12, v46 dst_sel:DWORD dst_unused:UNUSED_PAD src0_sel:WORD_0 src1_sel:DWORD
	v_or_b32_sdwa v13, v36, v50 dst_sel:DWORD dst_unused:UNUSED_PAD src0_sel:BYTE_0 src1_sel:DWORD
	v_lshlrev_b16_e32 v46, 8, v60
	v_bfe_i32 v26, v26, 0, 1
	v_lshlrev_b16_e32 v56, 8, v56
	v_or_b32_sdwa v11, v13, v11 dst_sel:DWORD dst_unused:UNUSED_PAD src0_sel:WORD_0 src1_sel:DWORD
	v_or_b32_sdwa v13, v55, v53 dst_sel:WORD_1 dst_unused:UNUSED_PAD src0_sel:BYTE_0 src1_sel:DWORD
	s_waitcnt vmcnt(1)
	v_xor_b32_e32 v14, v14, v12
	v_lshlrev_b16_e32 v54, 8, v54
	v_or_b32_sdwa v12, v39, v46 dst_sel:DWORD dst_unused:UNUSED_PAD src0_sel:BYTE_0 src1_sel:DWORD
	v_xor_b32_e32 v15, v15, v11
	v_or_b32_sdwa v11, v26, v56 dst_sel:WORD_1 dst_unused:UNUSED_PAD src0_sel:BYTE_0 src1_sel:DWORD
	v_or_b32_sdwa v12, v12, v13 dst_sel:DWORD dst_unused:UNUSED_PAD src0_sel:WORD_0 src1_sel:DWORD
	v_or_b32_sdwa v13, v40, v54 dst_sel:DWORD dst_unused:UNUSED_PAD src0_sel:BYTE_0 src1_sel:DWORD
	v_or_b32_sdwa v11, v13, v11 dst_sel:DWORD dst_unused:UNUSED_PAD src0_sel:WORD_0 src1_sel:DWORD
	s_waitcnt vmcnt(0)
	v_xor_b32_e32 v24, v24, v12
	v_xor_b32_e32 v25, v25, v11
	v_and_b32_e32 v11, 0xffffff00, v10
	v_lshlrev_b16_e32 v12, 8, v10
	v_and_b32_sdwa v13, v10, s18 dst_sel:DWORD dst_unused:UNUSED_PAD src0_sel:WORD_1 src1_sel:DWORD
	v_lshlrev_b16_sdwa v10, v21, v10 dst_sel:DWORD dst_unused:UNUSED_PAD src0_sel:DWORD src1_sel:WORD_1
	v_sub_i16 v57, v11, v57 clamp
	v_and_b32_e32 v11, 0xffffff00, v28
	v_sub_i16 v33, v12, v33 clamp
	v_lshlrev_b16_e32 v12, 8, v28
	v_sub_i16 v34, v13, v34 clamp
	v_and_b32_sdwa v13, v28, s18 dst_sel:DWORD dst_unused:UNUSED_PAD src0_sel:WORD_1 src1_sel:DWORD
	v_sub_i16 v60, v10, v61 clamp
	v_sub_i16 v37, v11, v37 clamp
	;; [unrolled: 1-line block ×4, first 2 shown]
	global_load_dwordx4 v[10:13], v[6:7], off
	v_lshlrev_b16_e32 v27, 8, v27
	v_lshlrev_b16_sdwa v28, v21, v28 dst_sel:DWORD dst_unused:UNUSED_PAD src0_sel:DWORD src1_sel:WORD_1
	v_sub_i16 v27, v28, v27 clamp
	v_and_b32_e32 v28, 0xffffff00, v43
	v_lshlrev_b16_e32 v31, 8, v31
	v_sub_i16 v28, v28, v58 clamp
	v_lshlrev_b16_e32 v58, 8, v43
	v_sub_i16 v31, v58, v31 clamp
	v_and_b32_sdwa v58, v43, s18 dst_sel:DWORD dst_unused:UNUSED_PAD src0_sel:WORD_1 src1_sel:DWORD
	v_lshlrev_b16_e32 v47, 8, v47
	v_lshlrev_b16_sdwa v43, v21, v43 dst_sel:DWORD dst_unused:UNUSED_PAD src0_sel:DWORD src1_sel:WORD_1
	v_sub_i16 v43, v43, v47 clamp
	v_and_b32_e32 v47, 0xffffff00, v62
	v_lshlrev_b16_e32 v32, 8, v32
	v_sub_i16 v38, v47, v38 clamp
	v_lshlrev_b16_e32 v47, 8, v62
	v_sub_i16 v32, v47, v32 clamp
	v_and_b32_sdwa v47, v62, s18 dst_sel:DWORD dst_unused:UNUSED_PAD src0_sel:WORD_1 src1_sel:DWORD
	v_sub_i16 v47, v47, v48 clamp
	v_lshlrev_b16_e32 v29, 8, v29
	v_lshlrev_b16_e32 v48, 8, v51
	;; [unrolled: 1-line block ×3, first 2 shown]
	v_lshlrev_b16_sdwa v55, v21, v62 dst_sel:DWORD dst_unused:UNUSED_PAD src0_sel:DWORD src1_sel:WORD_1
	v_sub_i16 v29, v55, v29 clamp
	v_and_b32_e32 v55, 0xffffff00, v14
	v_lshlrev_b16_e32 v35, 8, v35
	v_sub_i16 v55, v55, v59 clamp
	v_lshlrev_b16_e32 v59, 8, v14
	v_sub_i16 v35, v59, v35 clamp
	v_and_b32_sdwa v59, v14, s18 dst_sel:DWORD dst_unused:UNUSED_PAD src0_sel:WORD_1 src1_sel:DWORD
	v_lshlrev_b16_sdwa v14, v21, v14 dst_sel:DWORD dst_unused:UNUSED_PAD src0_sel:DWORD src1_sel:WORD_1
	v_sub_i16 v49, v59, v49 clamp
	v_and_b32_e32 v59, 0xffffff00, v15
	v_lshlrev_b16_e32 v36, 8, v36
	v_lshlrev_b16_e32 v30, 8, v30
	v_sub_i16 v14, v14, v48 clamp
	v_lshlrev_b16_e32 v48, 8, v15
	v_sub_i16 v50, v59, v50 clamp
	v_and_b32_sdwa v59, v15, s18 dst_sel:DWORD dst_unused:UNUSED_PAD src0_sel:WORD_1 src1_sel:DWORD
	v_lshlrev_b16_sdwa v15, v21, v15 dst_sel:DWORD dst_unused:UNUSED_PAD src0_sel:DWORD src1_sel:WORD_1
	v_lshlrev_b16_e32 v39, 8, v39
	v_sub_i16 v36, v48, v36 clamp
	v_and_b32_e32 v48, 0xffffff00, v24
	v_sub_i16 v52, v59, v52 clamp
	v_lshlrev_b16_e32 v59, 8, v24
	v_sub_i16 v15, v15, v30 clamp
	v_and_b32_sdwa v30, v24, s18 dst_sel:DWORD dst_unused:UNUSED_PAD src0_sel:WORD_1 src1_sel:DWORD
	v_lshlrev_b16_e32 v26, 8, v26
	v_sub_i16 v46, v48, v46 clamp
	v_and_b32_e32 v48, 0xffffff00, v25
	v_sub_i16 v39, v59, v39 clamp
	v_lshlrev_b16_e32 v59, 8, v25
	v_sub_i16 v30, v30, v53 clamp
	v_and_b32_sdwa v53, v25, s18 dst_sel:DWORD dst_unused:UNUSED_PAD src0_sel:WORD_1 src1_sel:DWORD
	v_lshlrev_b16_sdwa v25, v21, v25 dst_sel:DWORD dst_unused:UNUSED_PAD src0_sel:DWORD src1_sel:WORD_1
	v_sub_i16 v25, v25, v26 clamp
	v_and_b32_e32 v26, 0xffffff00, v57
	v_and_b32_e32 v34, 0xffffff00, v34
	v_sub_i16 v45, v58, v45 clamp
	v_and_b32_e32 v37, 0xffffff00, v37
	v_and_b32_e32 v42, 0xffffff00, v42
	v_or_b32_sdwa v26, v33, v26 dst_sel:DWORD dst_unused:UNUSED_PAD src0_sel:BYTE_1 src1_sel:DWORD
	v_or_b32_sdwa v33, v60, v34 dst_sel:WORD_1 dst_unused:UNUSED_PAD src0_sel:BYTE_1 src1_sel:DWORD
	v_mov_b32_e32 v58, 0
	v_and_b32_e32 v28, 0xffffff00, v28
	v_and_b32_e32 v45, 0xffffff00, v45
	v_or_b32_sdwa v34, v44, v37 dst_sel:DWORD dst_unused:UNUSED_PAD src0_sel:BYTE_1 src1_sel:DWORD
	v_or_b32_sdwa v27, v27, v42 dst_sel:WORD_1 dst_unused:UNUSED_PAD src0_sel:BYTE_1 src1_sel:DWORD
	v_or_b32_sdwa v26, v26, v33 dst_sel:DWORD dst_unused:UNUSED_PAD src0_sel:WORD_0 src1_sel:DWORD
	v_lshlrev_b16_sdwa v24, v21, v24 dst_sel:DWORD dst_unused:UNUSED_PAD src0_sel:DWORD src1_sel:WORD_1
	v_and_b32_e32 v38, 0xffffff00, v38
	v_and_b32_e32 v47, 0xffffff00, v47
	v_or_b32_sdwa v28, v31, v28 dst_sel:DWORD dst_unused:UNUSED_PAD src0_sel:BYTE_1 src1_sel:DWORD
	v_or_b32_sdwa v31, v43, v45 dst_sel:WORD_1 dst_unused:UNUSED_PAD src0_sel:BYTE_1 src1_sel:DWORD
	v_or_b32_sdwa v27, v34, v27 dst_sel:DWORD dst_unused:UNUSED_PAD src0_sel:WORD_0 src1_sel:DWORD
	v_dot4c_i32_i8_e32 v58, v26, v1
	v_sub_i16 v24, v24, v51 clamp
	v_sub_i16 v51, v53, v56 clamp
	v_and_b32_e32 v53, 0xffffff00, v55
	v_and_b32_e32 v49, 0xffffff00, v49
	v_or_b32_sdwa v32, v32, v38 dst_sel:DWORD dst_unused:UNUSED_PAD src0_sel:BYTE_1 src1_sel:DWORD
	v_or_b32_sdwa v29, v29, v47 dst_sel:WORD_1 dst_unused:UNUSED_PAD src0_sel:BYTE_1 src1_sel:DWORD
	v_or_b32_sdwa v28, v28, v31 dst_sel:DWORD dst_unused:UNUSED_PAD src0_sel:WORD_0 src1_sel:DWORD
	v_dot4c_i32_i8_e32 v58, v27, v2
	v_and_b32_e32 v50, 0xffffff00, v50
	v_and_b32_e32 v52, 0xffffff00, v52
	v_or_b32_sdwa v35, v35, v53 dst_sel:DWORD dst_unused:UNUSED_PAD src0_sel:BYTE_1 src1_sel:DWORD
	v_or_b32_sdwa v14, v14, v49 dst_sel:WORD_1 dst_unused:UNUSED_PAD src0_sel:BYTE_1 src1_sel:DWORD
	v_or_b32_sdwa v29, v32, v29 dst_sel:DWORD dst_unused:UNUSED_PAD src0_sel:WORD_0 src1_sel:DWORD
	v_dot4c_i32_i8_e32 v58, v28, v3
	v_lshlrev_b16_e32 v40, 8, v40
	v_sub_i16 v48, v48, v54 clamp
	v_and_b32_e32 v46, 0xffffff00, v46
	v_and_b32_e32 v30, 0xffffff00, v30
	v_or_b32_sdwa v36, v36, v50 dst_sel:DWORD dst_unused:UNUSED_PAD src0_sel:BYTE_1 src1_sel:DWORD
	v_or_b32_sdwa v15, v15, v52 dst_sel:WORD_1 dst_unused:UNUSED_PAD src0_sel:BYTE_1 src1_sel:DWORD
	v_or_b32_sdwa v14, v35, v14 dst_sel:DWORD dst_unused:UNUSED_PAD src0_sel:WORD_0 src1_sel:DWORD
	s_waitcnt vmcnt(0)
	v_dot4c_i32_i8_e32 v58, v29, v10
	v_sub_i16 v40, v59, v40 clamp
	v_and_b32_e32 v48, 0xffffff00, v48
	v_and_b32_e32 v51, 0xffffff00, v51
	v_or_b32_sdwa v37, v39, v46 dst_sel:DWORD dst_unused:UNUSED_PAD src0_sel:BYTE_1 src1_sel:DWORD
	v_or_b32_sdwa v24, v24, v30 dst_sel:WORD_1 dst_unused:UNUSED_PAD src0_sel:BYTE_1 src1_sel:DWORD
	v_or_b32_sdwa v15, v36, v15 dst_sel:DWORD dst_unused:UNUSED_PAD src0_sel:WORD_0 src1_sel:DWORD
	v_dot4c_i32_i8_e32 v58, v14, v11
	v_or_b32_sdwa v30, v40, v48 dst_sel:DWORD dst_unused:UNUSED_PAD src0_sel:BYTE_1 src1_sel:DWORD
	v_or_b32_sdwa v25, v25, v51 dst_sel:WORD_1 dst_unused:UNUSED_PAD src0_sel:BYTE_1 src1_sel:DWORD
	v_or_b32_sdwa v24, v37, v24 dst_sel:DWORD dst_unused:UNUSED_PAD src0_sel:WORD_0 src1_sel:DWORD
	v_dot4c_i32_i8_e32 v58, v15, v12
	v_or_b32_sdwa v25, v30, v25 dst_sel:DWORD dst_unused:UNUSED_PAD src0_sel:WORD_0 src1_sel:DWORD
	v_dot4c_i32_i8_e32 v58, v24, v13
	v_or_b32_e32 v41, 1, v41
	v_dot4c_i32_i8_e32 v58, v25, v22
	v_cvt_f32_f16_e32 v23, v23
	v_lshl_add_u64 v[6:7], v[6:7], 0, s[12:13]
	v_mul_f32_e32 v0, v23, v0
	v_mul_lo_u32 v1, v58, v41
	v_ashrrev_i32_e32 v2, 31, v1
	v_lshrrev_b32_e32 v2, 29, v2
	v_add_u32_e32 v1, v1, v2
	v_ashrrev_i32_e32 v1, 3, v1
	v_cvt_f32_i32_e32 v1, v1
	v_fmac_f32_e32 v19, v0, v1
	s_andn2_b64 exec, exec, s[8:9]
	s_cbranch_execnz .LBB160_9
; %bb.10:
	s_or_b64 exec, exec, s[8:9]
.LBB160_11:
	s_or_b64 exec, exec, s[6:7]
	v_cmp_eq_u32_e32 vcc, 0, v17
	v_cmp_ne_u32_e64 s[6:7], 0, v17
	v_lshlrev_b32_e32 v0, 2, v16
	s_waitcnt lgkmcnt(0)
	s_and_saveexec_b64 s[8:9], s[6:7]
	s_cbranch_execz .LBB160_13
; %bb.12:
	v_lshlrev_b32_e32 v1, 8, v17
	s_movk_i32 s3, 0xff00
	v_add3_u32 v1, v1, v0, s3
	ds_write_b32 v1, v19
.LBB160_13:
	s_or_b64 exec, exec, s[8:9]
	s_waitcnt lgkmcnt(0)
	s_barrier
	s_and_saveexec_b64 s[6:7], vcc
	s_cbranch_execz .LBB160_16
; %bb.14:
	v_mbcnt_lo_u32_b32 v1, -1, 0
	ds_read_b32 v0, v0
	v_mbcnt_hi_u32_b32 v1, -1, v1
	v_and_b32_e32 v2, 64, v1
	v_add_u32_e32 v2, 64, v2
	v_xor_b32_e32 v3, 32, v1
	v_cmp_lt_i32_e32 vcc, v3, v2
	s_waitcnt lgkmcnt(0)
	v_add_f32_e32 v0, v19, v0
	s_mov_b32 s3, 0
	v_cndmask_b32_e32 v3, v1, v3, vcc
	v_lshlrev_b32_e32 v3, 2, v3
	ds_bpermute_b32 v3, v3, v0
	s_waitcnt lgkmcnt(0)
	v_add_f32_e32 v0, v0, v3
	v_xor_b32_e32 v3, 16, v1
	v_cmp_lt_i32_e32 vcc, v3, v2
	s_nop 1
	v_cndmask_b32_e32 v3, v1, v3, vcc
	v_lshlrev_b32_e32 v3, 2, v3
	ds_bpermute_b32 v3, v3, v0
	s_waitcnt lgkmcnt(0)
	v_add_f32_e32 v0, v0, v3
	v_xor_b32_e32 v3, 8, v1
	v_cmp_lt_i32_e32 vcc, v3, v2
	s_nop 1
	v_cndmask_b32_e32 v3, v1, v3, vcc
	v_lshlrev_b32_e32 v3, 2, v3
	ds_bpermute_b32 v3, v3, v0
	s_waitcnt lgkmcnt(0)
	v_add_f32_e32 v0, v0, v3
	v_xor_b32_e32 v3, 4, v1
	v_cmp_lt_i32_e32 vcc, v3, v2
	s_nop 1
	v_cndmask_b32_e32 v3, v1, v3, vcc
	v_lshlrev_b32_e32 v3, 2, v3
	ds_bpermute_b32 v3, v3, v0
	s_waitcnt lgkmcnt(0)
	v_add_f32_e32 v0, v0, v3
	v_xor_b32_e32 v3, 2, v1
	v_cmp_lt_i32_e32 vcc, v3, v2
	s_nop 1
	v_cndmask_b32_e32 v3, v1, v3, vcc
	v_lshlrev_b32_e32 v3, 2, v3
	ds_bpermute_b32 v3, v3, v0
	s_waitcnt lgkmcnt(0)
	v_add_f32_e32 v0, v0, v3
	v_xor_b32_e32 v3, 1, v1
	v_cmp_lt_i32_e32 vcc, v3, v2
	s_nop 1
	v_cndmask_b32_e32 v1, v1, v3, vcc
	v_lshlrev_b32_e32 v1, 2, v1
	ds_bpermute_b32 v1, v1, v0
	v_cmp_eq_u32_e32 vcc, 0, v16
	s_and_b64 exec, exec, vcc
	s_cbranch_execz .LBB160_16
; %bb.15:
	s_load_dwordx2 s[0:1], s[0:1], 0x38
	s_mul_i32 s5, s20, s10
	s_mul_i32 s4, s4, s14
	s_add_i32 s2, s5, s2
	s_add_i32 s2, s2, s4
	s_lshl_b64 s[2:3], s[2:3], 2
	s_waitcnt lgkmcnt(0)
	s_add_u32 s0, s0, s2
	s_addc_u32 s1, s1, s3
	v_mov_b32_e32 v2, 0
	v_add_f32_e32 v0, v0, v1
	global_store_dword v2, v0, s[0:1]
.LBB160_16:
	s_endpgm
	.section	.rodata,"a",@progbits
	.p2align	6, 0x0
	.amdhsa_kernel _ZL13mul_mat_vec_qIL9ggml_type16ELi1ELb0ELb0EEvPKvS2_PKi31ggml_cuda_mm_fusion_args_devicePfj15HIP_vector_typeIjLj3EEjjjS8_jjjS8_jjjj
		.amdhsa_group_segment_fixed_size 256
		.amdhsa_private_segment_fixed_size 0
		.amdhsa_kernarg_size 144
		.amdhsa_user_sgpr_count 2
		.amdhsa_user_sgpr_dispatch_ptr 0
		.amdhsa_user_sgpr_queue_ptr 0
		.amdhsa_user_sgpr_kernarg_segment_ptr 1
		.amdhsa_user_sgpr_dispatch_id 0
		.amdhsa_user_sgpr_kernarg_preload_length 0
		.amdhsa_user_sgpr_kernarg_preload_offset 0
		.amdhsa_user_sgpr_private_segment_size 0
		.amdhsa_uses_dynamic_stack 0
		.amdhsa_enable_private_segment 0
		.amdhsa_system_sgpr_workgroup_id_x 1
		.amdhsa_system_sgpr_workgroup_id_y 1
		.amdhsa_system_sgpr_workgroup_id_z 1
		.amdhsa_system_sgpr_workgroup_info 0
		.amdhsa_system_vgpr_workitem_id 1
		.amdhsa_next_free_vgpr 63
		.amdhsa_next_free_sgpr 28
		.amdhsa_accum_offset 64
		.amdhsa_reserve_vcc 1
		.amdhsa_float_round_mode_32 0
		.amdhsa_float_round_mode_16_64 0
		.amdhsa_float_denorm_mode_32 3
		.amdhsa_float_denorm_mode_16_64 3
		.amdhsa_dx10_clamp 1
		.amdhsa_ieee_mode 1
		.amdhsa_fp16_overflow 0
		.amdhsa_tg_split 0
		.amdhsa_exception_fp_ieee_invalid_op 0
		.amdhsa_exception_fp_denorm_src 0
		.amdhsa_exception_fp_ieee_div_zero 0
		.amdhsa_exception_fp_ieee_overflow 0
		.amdhsa_exception_fp_ieee_underflow 0
		.amdhsa_exception_fp_ieee_inexact 0
		.amdhsa_exception_int_div_zero 0
	.end_amdhsa_kernel
	.section	.text._ZL13mul_mat_vec_qIL9ggml_type16ELi1ELb0ELb0EEvPKvS2_PKi31ggml_cuda_mm_fusion_args_devicePfj15HIP_vector_typeIjLj3EEjjjS8_jjjS8_jjjj,"axG",@progbits,_ZL13mul_mat_vec_qIL9ggml_type16ELi1ELb0ELb0EEvPKvS2_PKi31ggml_cuda_mm_fusion_args_devicePfj15HIP_vector_typeIjLj3EEjjjS8_jjjS8_jjjj,comdat
.Lfunc_end160:
	.size	_ZL13mul_mat_vec_qIL9ggml_type16ELi1ELb0ELb0EEvPKvS2_PKi31ggml_cuda_mm_fusion_args_devicePfj15HIP_vector_typeIjLj3EEjjjS8_jjjS8_jjjj, .Lfunc_end160-_ZL13mul_mat_vec_qIL9ggml_type16ELi1ELb0ELb0EEvPKvS2_PKi31ggml_cuda_mm_fusion_args_devicePfj15HIP_vector_typeIjLj3EEjjjS8_jjjS8_jjjj
                                        ; -- End function
	.section	.AMDGPU.csdata,"",@progbits
; Kernel info:
; codeLenInByte = 2876
; NumSgprs: 34
; NumVgprs: 63
; NumAgprs: 0
; TotalNumVgprs: 63
; ScratchSize: 0
; MemoryBound: 0
; FloatMode: 240
; IeeeMode: 1
; LDSByteSize: 256 bytes/workgroup (compile time only)
; SGPRBlocks: 4
; VGPRBlocks: 7
; NumSGPRsForWavesPerEU: 34
; NumVGPRsForWavesPerEU: 63
; AccumOffset: 64
; Occupancy: 8
; WaveLimiterHint : 0
; COMPUTE_PGM_RSRC2:SCRATCH_EN: 0
; COMPUTE_PGM_RSRC2:USER_SGPR: 2
; COMPUTE_PGM_RSRC2:TRAP_HANDLER: 0
; COMPUTE_PGM_RSRC2:TGID_X_EN: 1
; COMPUTE_PGM_RSRC2:TGID_Y_EN: 1
; COMPUTE_PGM_RSRC2:TGID_Z_EN: 1
; COMPUTE_PGM_RSRC2:TIDIG_COMP_CNT: 1
; COMPUTE_PGM_RSRC3_GFX90A:ACCUM_OFFSET: 15
; COMPUTE_PGM_RSRC3_GFX90A:TG_SPLIT: 0
	.section	.text._ZL13mul_mat_vec_qIL9ggml_type16ELi2ELb0ELb0EEvPKvS2_PKi31ggml_cuda_mm_fusion_args_devicePfj15HIP_vector_typeIjLj3EEjjjS8_jjjS8_jjjj,"axG",@progbits,_ZL13mul_mat_vec_qIL9ggml_type16ELi2ELb0ELb0EEvPKvS2_PKi31ggml_cuda_mm_fusion_args_devicePfj15HIP_vector_typeIjLj3EEjjjS8_jjjS8_jjjj,comdat
	.globl	_ZL13mul_mat_vec_qIL9ggml_type16ELi2ELb0ELb0EEvPKvS2_PKi31ggml_cuda_mm_fusion_args_devicePfj15HIP_vector_typeIjLj3EEjjjS8_jjjS8_jjjj ; -- Begin function _ZL13mul_mat_vec_qIL9ggml_type16ELi2ELb0ELb0EEvPKvS2_PKi31ggml_cuda_mm_fusion_args_devicePfj15HIP_vector_typeIjLj3EEjjjS8_jjjS8_jjjj
	.p2align	8
	.type	_ZL13mul_mat_vec_qIL9ggml_type16ELi2ELb0ELb0EEvPKvS2_PKi31ggml_cuda_mm_fusion_args_devicePfj15HIP_vector_typeIjLj3EEjjjS8_jjjS8_jjjj,@function
_ZL13mul_mat_vec_qIL9ggml_type16ELi2ELb0ELb0EEvPKvS2_PKi31ggml_cuda_mm_fusion_args_devicePfj15HIP_vector_typeIjLj3EEjjjS8_jjjS8_jjjj: ; @_ZL13mul_mat_vec_qIL9ggml_type16ELi2ELb0ELb0EEvPKvS2_PKi31ggml_cuda_mm_fusion_args_devicePfj15HIP_vector_typeIjLj3EEjjjS8_jjjS8_jjjj
; %bb.0:
	s_load_dwordx2 s[20:21], s[0:1], 0x4
	s_load_dword s7, s[2:3], 0x40
	s_load_dwordx4 s[8:11], s[2:3], 0x50
	s_load_dword s27, s[2:3], 0x60
	s_load_dwordx4 s[12:15], s[2:3], 0x68
	;; [unrolled: 2-line block ×3, first 2 shown]
	s_waitcnt lgkmcnt(0)
	s_lshr_b32 s0, s20, 16
	v_bfe_u32 v37, v0, 10, 10
	v_and_b32_e32 v15, 0x3ff, v0
	s_mul_i32 s0, s0, s21
	v_mul_u32_u24_e32 v1, s21, v37
	v_mad_u32_u24 v1, s0, v15, v1
	v_bfe_u32 v0, v0, 20, 10
	v_lshl_add_u32 v5, v37, 6, v15
	v_add_lshl_u32 v4, v1, v0, 4
	s_lshr_b32 s7, s7, 8
	v_mov_b32_e32 v0, 0
	v_lshrrev_b32_e32 v38, 3, v5
	v_add_u32_e32 v36, 0x400, v4
	s_lshl_b32 s4, s4, 1
	v_mov_b32_e32 v1, v0
	v_mov_b32_e32 v2, v0
	;; [unrolled: 1-line block ×3, first 2 shown]
	v_cmp_gt_u32_e32 vcc, s7, v38
	ds_write_b128 v4, v[0:3] offset:1024
	s_and_saveexec_b64 s[0:1], vcc
	s_cbranch_execz .LBB161_4
; %bb.1:
	s_load_dwordx4 s[20:23], s[2:3], 0x0
	s_mul_i32 s17, s6, s17
	s_mul_i32 s24, s17, 36
	;; [unrolled: 1-line block ×3, first 2 shown]
	s_mul_hi_u32 s19, s17, 36
	s_waitcnt lgkmcnt(0)
	s_add_u32 s24, s22, s24
	s_addc_u32 s19, s23, s19
	s_mul_i32 s28, s13, 36
	s_mul_hi_u32 s29, s13, 36
	s_add_u32 s24, s24, s28
	s_mul_hi_u32 s11, s11, s5
	s_addc_u32 s25, s19, s29
	s_add_i32 s11, s5, s11
	s_lshr_b32 s11, s11, s27
	s_mul_i32 s11, s11, s12
	s_mul_hi_u32 s12, s15, s6
	s_add_i32 s12, s6, s12
	s_lshr_b32 s12, s12, s26
	s_mul_i32 s12, s12, s16
	s_add_i32 s15, s12, s11
	s_add_i32 s12, s4, 1
	s_mul_i32 s13, s4, s8
	s_mul_i32 s8, s8, s12
	s_add_i32 s11, s15, s13
	s_add_i32 s15, s15, s8
	s_movk_i32 s8, 0x120
	v_mov_b64_e32 v[2:3], s[28:29]
	v_lshl_add_u32 v39, v38, 3, s9
	v_mad_u64_u32 v[2:3], s[8:9], v38, s8, v[2:3]
	v_lshlrev_b32_e32 v0, 1, v15
	v_and_b32_e32 v14, 7, v15
	v_mad_u64_u32 v[2:3], s[8:9], s17, 36, v[2:3]
	v_and_b32_e32 v0, 14, v0
	v_mad_u64_u32 v[2:3], s[8:9], v14, 36, v[2:3]
	v_lshlrev_b32_e32 v0, 1, v0
	v_mov_b32_e32 v13, 0
	v_lshl_add_u64 v[2:3], v[2:3], 0, s[22:23]
	v_lshl_add_u64 v[16:17], v[2:3], 0, 16
	s_mov_b64 s[8:9], 0
	s_movk_i32 s19, 0x42
	v_mov_b64_e32 v[18:19], s[20:21]
	v_lshlrev_b32_e32 v12, 1, v0
	s_mov_b32 s20, 0x1010101
	s_movk_i32 s21, 0xff00
	s_mov_b64 s[12:13], 0x1200
	v_mov_b32_e32 v40, 3
	v_mov_b32_e32 v41, 8
	;; [unrolled: 1-line block ×6, first 2 shown]
.LBB161_2:                              ; =>This Inner Loop Header: Depth=1
	v_add_u32_e32 v20, s11, v38
	v_mad_i64_i32 v[22:23], s[16:17], v20, s19, v[18:19]
	v_lshl_add_u64 v[20:21], v[22:23], 0, v[12:13]
	global_load_dword v44, v[16:17], off offset:16
	global_load_dwordx4 v[4:7], v[16:17], off
	global_load_dwordx4 v[8:11], v[16:17], off offset:-16
	s_getpc_b64 s[16:17]
	s_add_u32 s16, s16, _ZL11iq2xxs_grid@rel32@lo+4
	s_addc_u32 s17, s17, _ZL11iq2xxs_grid@rel32@hi+12
	global_load_dwordx2 v[20:21], v[20:21], off offset:2
	v_mov_b32_e32 v45, 0
	v_lshl_add_u64 v[16:17], v[16:17], 0, s[12:13]
	s_waitcnt vmcnt(1)
	v_cvt_f32_f16_e32 v8, v8
	s_waitcnt vmcnt(0)
	v_lshlrev_b32_sdwa v24, v40, v20 dst_sel:DWORD dst_unused:UNUSED_PAD src0_sel:DWORD src1_sel:BYTE_0
	global_load_dwordx2 v[24:25], v24, s[16:17]
	v_and_b32_e32 v26, 0xff, v21
	v_bcnt_u32_b32 v27, v26, 0
	v_and_b32_e32 v27, 1, v27
	v_lshlrev_b32_e32 v27, 7, v27
	v_xor_b32_e32 v26, v27, v26
	v_mul_lo_u32 v26, v26, s20
	v_and_b32_e32 v27, 0x8000000, v26
	v_lshrrev_b32_e32 v29, 8, v26
	v_lshrrev_b16_e32 v30, 1, v29
	v_cmp_ne_u16_sdwa s[22:23], v27, v13 src0_sel:BYTE_3 src1_sel:DWORD
	v_and_b32_e32 v28, 1, v21
	v_bfe_i32 v30, v30, 0, 1
	v_lshrrev_b32_e32 v31, 18, v26
	v_cndmask_b32_e64 v27, 0, -1, s[22:23]
	v_sub_u16_e32 v28, 0, v28
	v_bfe_i32 v31, v31, 0, 1
	v_lshlrev_b16_e32 v27, 8, v27
	v_lshlrev_b16_e32 v30, 8, v30
	v_or_b32_sdwa v32, v31, v27 dst_sel:WORD_1 dst_unused:UNUSED_PAD src0_sel:BYTE_0 src1_sel:DWORD
	v_or_b32_sdwa v33, v28, v30 dst_sel:DWORD dst_unused:UNUSED_PAD src0_sel:BYTE_0 src1_sel:DWORD
	v_or_b32_sdwa v32, v33, v32 dst_sel:DWORD dst_unused:UNUSED_PAD src0_sel:WORD_0 src1_sel:DWORD
	v_lshlrev_b16_e32 v28, 8, v28
	v_bfe_i32 v51, v21, 7, 1
	v_bfe_i32 v54, v21, 14, 1
	s_waitcnt vmcnt(0)
	v_xor_b32_e32 v24, v24, v32
	v_and_b32_e32 v32, 0xffffff00, v24
	v_sub_i16 v30, v32, v30 clamp
	v_lshlrev_b16_e32 v32, 8, v24
	v_and_b32_e32 v30, 0xffffff00, v30
	v_sub_i16 v28, v32, v28 clamp
	v_or_b32_sdwa v28, v28, v30 dst_sel:DWORD dst_unused:UNUSED_PAD src0_sel:BYTE_1 src1_sel:DWORD
	v_and_b32_sdwa v30, v24, s21 dst_sel:DWORD dst_unused:UNUSED_PAD src0_sel:WORD_1 src1_sel:DWORD
	v_sub_i16 v27, v30, v27 clamp
	v_lshlrev_b16_sdwa v24, v41, v24 dst_sel:DWORD dst_unused:UNUSED_PAD src0_sel:DWORD src1_sel:WORD_1
	v_lshlrev_b16_e32 v30, 8, v31
	v_and_b32_e32 v27, 0xffffff00, v27
	v_sub_i16 v24, v24, v30 clamp
	v_or_b32_sdwa v24, v24, v27 dst_sel:WORD_1 dst_unused:UNUSED_PAD src0_sel:BYTE_1 src1_sel:DWORD
	v_bfe_i32 v27, v21, 4, 1
	v_or_b32_sdwa v42, v28, v24 dst_sel:DWORD dst_unused:UNUSED_PAD src0_sel:WORD_0 src1_sel:DWORD
	v_and_b32_e32 v24, 0x80000000, v26
	v_lshrrev_b16_e32 v28, 5, v29
	v_cmp_ne_u16_sdwa s[22:23], v24, v13 src0_sel:BYTE_3 src1_sel:DWORD
	v_bfe_i32 v28, v28, 0, 1
	v_lshrrev_b32_e32 v26, 22, v26
	v_cndmask_b32_e64 v24, 0, -1, s[22:23]
	v_bfe_i32 v26, v26, 0, 1
	v_lshlrev_b16_e32 v24, 8, v24
	v_lshlrev_b16_e32 v28, 8, v28
	v_or_b32_sdwa v29, v26, v24 dst_sel:WORD_1 dst_unused:UNUSED_PAD src0_sel:BYTE_0 src1_sel:DWORD
	v_or_b32_sdwa v30, v27, v28 dst_sel:DWORD dst_unused:UNUSED_PAD src0_sel:BYTE_0 src1_sel:DWORD
	v_or_b32_sdwa v29, v30, v29 dst_sel:DWORD dst_unused:UNUSED_PAD src0_sel:WORD_0 src1_sel:DWORD
	v_xor_b32_e32 v25, v25, v29
	v_and_b32_e32 v29, 0xffffff00, v25
	v_sub_i16 v28, v29, v28 clamp
	v_lshlrev_b16_e32 v29, 8, v25
	v_lshlrev_b16_e32 v27, 8, v27
	v_and_b32_e32 v28, 0xffffff00, v28
	v_sub_i16 v27, v29, v27 clamp
	v_or_b32_sdwa v27, v27, v28 dst_sel:DWORD dst_unused:UNUSED_PAD src0_sel:BYTE_1 src1_sel:DWORD
	v_and_b32_sdwa v28, v25, s21 dst_sel:DWORD dst_unused:UNUSED_PAD src0_sel:WORD_1 src1_sel:DWORD
	v_sub_i16 v24, v28, v24 clamp
	v_lshlrev_b16_sdwa v25, v41, v25 dst_sel:DWORD dst_unused:UNUSED_PAD src0_sel:DWORD src1_sel:WORD_1
	v_lshlrev_b16_e32 v26, 8, v26
	v_and_b32_e32 v24, 0xffffff00, v24
	v_sub_i16 v25, v25, v26 clamp
	v_or_b32_sdwa v24, v25, v24 dst_sel:WORD_1 dst_unused:UNUSED_PAD src0_sel:BYTE_1 src1_sel:DWORD
	v_dot4c_i32_i8_e32 v45, v42, v9
	v_or_b32_sdwa v43, v27, v24 dst_sel:DWORD dst_unused:UNUSED_PAD src0_sel:WORD_0 src1_sel:DWORD
	v_lshlrev_b32_sdwa v24, v40, v20 dst_sel:DWORD dst_unused:UNUSED_PAD src0_sel:DWORD src1_sel:BYTE_1
	global_load_dwordx2 v[34:35], v24, s[16:17]
	v_lshlrev_b32_sdwa v24, v40, v20 dst_sel:DWORD dst_unused:UNUSED_PAD src0_sel:DWORD src1_sel:BYTE_2
	v_lshlrev_b32_sdwa v20, v40, v20 dst_sel:DWORD dst_unused:UNUSED_PAD src0_sel:DWORD src1_sel:BYTE_3
	global_load_dwordx2 v[32:33], v24, s[16:17]
	global_load_dwordx2 v[28:29], v20, s[16:17]
	global_load_ushort v46, v[22:23], off
	v_add_u32_e32 v20, s15, v38
	v_mad_i64_i32 v[52:53], s[22:23], v20, s19, v[18:19]
	v_lshl_add_u64 v[22:23], v[52:53], 0, v[12:13]
	global_load_dwordx2 v[22:23], v[22:23], off offset:2
	v_dot4c_i32_i8_e32 v45, v43, v10
	v_add_u32_e32 v38, 16, v38
	v_cmp_le_u32_e32 vcc, s7, v38
	s_or_b64 s[8:9], vcc, s[8:9]
	s_waitcnt vmcnt(0)
	v_lshlrev_b32_sdwa v20, v40, v22 dst_sel:DWORD dst_unused:UNUSED_PAD src0_sel:DWORD src1_sel:BYTE_0
	global_load_dwordx2 v[24:25], v20, s[16:17]
	v_and_b32_e32 v20, 0xff, v23
	v_bcnt_u32_b32 v26, v20, 0
	v_and_b32_e32 v26, 1, v26
	v_lshlrev_b32_e32 v26, 7, v26
	v_xor_b32_e32 v20, v26, v20
	v_mul_lo_u32 v26, v20, s20
	v_and_b32_e32 v20, 0x8000000, v26
	v_lshrrev_b32_e32 v30, 8, v26
	v_lshrrev_b16_e32 v31, 1, v30
	v_cmp_ne_u16_sdwa s[22:23], v20, v13 src0_sel:BYTE_3 src1_sel:DWORD
	v_and_b32_e32 v27, 1, v23
	v_bfe_i32 v31, v31, 0, 1
	v_lshrrev_b32_e32 v47, 18, v26
	v_cndmask_b32_e64 v20, 0, -1, s[22:23]
	v_sub_u16_e32 v27, 0, v27
	v_bfe_i32 v47, v47, 0, 1
	v_lshlrev_b16_e32 v20, 8, v20
	v_lshlrev_b16_e32 v31, 8, v31
	v_or_b32_sdwa v48, v47, v20 dst_sel:WORD_1 dst_unused:UNUSED_PAD src0_sel:BYTE_0 src1_sel:DWORD
	v_or_b32_sdwa v49, v27, v31 dst_sel:DWORD dst_unused:UNUSED_PAD src0_sel:BYTE_0 src1_sel:DWORD
	v_or_b32_sdwa v48, v49, v48 dst_sel:DWORD dst_unused:UNUSED_PAD src0_sel:WORD_0 src1_sel:DWORD
	v_lshlrev_b16_e32 v27, 8, v27
	v_bfe_i32 v50, v23, 7, 1
	v_bfe_i32 v49, v23, 14, 1
	s_waitcnt vmcnt(0)
	v_xor_b32_e32 v24, v24, v48
	v_and_b32_e32 v48, 0xffffff00, v24
	v_sub_i16 v31, v48, v31 clamp
	v_lshlrev_b16_e32 v48, 8, v24
	v_and_b32_e32 v31, 0xffffff00, v31
	v_sub_i16 v27, v48, v27 clamp
	v_or_b32_sdwa v27, v27, v31 dst_sel:DWORD dst_unused:UNUSED_PAD src0_sel:BYTE_1 src1_sel:DWORD
	v_and_b32_sdwa v31, v24, s21 dst_sel:DWORD dst_unused:UNUSED_PAD src0_sel:WORD_1 src1_sel:DWORD
	v_sub_i16 v20, v31, v20 clamp
	v_lshlrev_b16_sdwa v24, v41, v24 dst_sel:DWORD dst_unused:UNUSED_PAD src0_sel:DWORD src1_sel:WORD_1
	v_lshlrev_b16_e32 v31, 8, v47
	v_and_b32_e32 v20, 0xffffff00, v20
	v_sub_i16 v24, v24, v31 clamp
	v_or_b32_sdwa v20, v24, v20 dst_sel:WORD_1 dst_unused:UNUSED_PAD src0_sel:BYTE_1 src1_sel:DWORD
	v_mov_b32_e32 v47, 0
	v_or_b32_sdwa v20, v27, v20 dst_sel:DWORD dst_unused:UNUSED_PAD src0_sel:WORD_0 src1_sel:DWORD
	v_dot4c_i32_i8_e32 v47, v20, v9
	v_and_b32_e32 v9, 0x80000000, v26
	v_lshrrev_b16_e32 v27, 5, v30
	v_cmp_ne_u16_sdwa s[22:23], v9, v13 src0_sel:BYTE_3 src1_sel:DWORD
	v_bfe_i32 v27, v27, 0, 1
	v_lshrrev_b32_e32 v26, 22, v26
	v_cndmask_b32_e64 v9, 0, -1, s[22:23]
	v_bfe_i32 v24, v23, 4, 1
	v_bfe_i32 v26, v26, 0, 1
	v_lshlrev_b16_e32 v9, 8, v9
	v_lshlrev_b16_e32 v27, 8, v27
	v_or_b32_sdwa v30, v26, v9 dst_sel:WORD_1 dst_unused:UNUSED_PAD src0_sel:BYTE_0 src1_sel:DWORD
	v_or_b32_sdwa v31, v24, v27 dst_sel:DWORD dst_unused:UNUSED_PAD src0_sel:BYTE_0 src1_sel:DWORD
	v_or_b32_sdwa v30, v31, v30 dst_sel:DWORD dst_unused:UNUSED_PAD src0_sel:WORD_0 src1_sel:DWORD
	v_xor_b32_e32 v25, v25, v30
	v_and_b32_e32 v30, 0xffffff00, v25
	v_sub_i16 v27, v30, v27 clamp
	v_lshlrev_b16_e32 v30, 8, v25
	v_lshlrev_b16_e32 v24, 8, v24
	v_and_b32_e32 v27, 0xffffff00, v27
	v_sub_i16 v24, v30, v24 clamp
	v_or_b32_sdwa v24, v24, v27 dst_sel:DWORD dst_unused:UNUSED_PAD src0_sel:BYTE_1 src1_sel:DWORD
	v_and_b32_sdwa v27, v25, s21 dst_sel:DWORD dst_unused:UNUSED_PAD src0_sel:WORD_1 src1_sel:DWORD
	v_sub_i16 v9, v27, v9 clamp
	v_lshlrev_b16_sdwa v25, v41, v25 dst_sel:DWORD dst_unused:UNUSED_PAD src0_sel:DWORD src1_sel:WORD_1
	v_lshlrev_b16_e32 v26, 8, v26
	v_and_b32_e32 v9, 0xffffff00, v9
	v_sub_i16 v25, v25, v26 clamp
	v_or_b32_sdwa v9, v25, v9 dst_sel:WORD_1 dst_unused:UNUSED_PAD src0_sel:BYTE_1 src1_sel:DWORD
	s_nop 0
	v_or_b32_sdwa v9, v24, v9 dst_sel:DWORD dst_unused:UNUSED_PAD src0_sel:WORD_0 src1_sel:DWORD
	v_dot4c_i32_i8_e32 v47, v9, v10
	v_lshlrev_b32_sdwa v10, v40, v22 dst_sel:DWORD dst_unused:UNUSED_PAD src0_sel:DWORD src1_sel:BYTE_1
	global_load_dwordx2 v[30:31], v10, s[16:17]
	v_lshlrev_b32_sdwa v10, v40, v22 dst_sel:DWORD dst_unused:UNUSED_PAD src0_sel:DWORD src1_sel:BYTE_2
	global_load_dwordx2 v[26:27], v10, s[16:17]
	v_lshlrev_b32_sdwa v10, v40, v22 dst_sel:DWORD dst_unused:UNUSED_PAD src0_sel:DWORD src1_sel:BYTE_3
	global_load_dwordx2 v[24:25], v10, s[16:17]
	global_load_ushort v48, v[52:53], off
	v_bfe_u32 v10, v21, 7, 8
	v_bcnt_u32_b32 v22, v10, 0
	v_and_b32_e32 v22, 1, v22
	v_lshlrev_b32_e32 v22, 7, v22
	v_xor_b32_e32 v10, v22, v10
	v_mul_lo_u32 v22, v10, s20
	v_and_b32_e32 v10, 0x8000000, v22
	v_lshrrev_b32_e32 v52, 8, v22
	v_lshrrev_b16_e32 v53, 1, v52
	v_cmp_ne_u16_sdwa s[16:17], v10, v13 src0_sel:BYTE_3 src1_sel:DWORD
	v_bfe_i32 v53, v53, 0, 1
	v_lshrrev_b32_e32 v55, 18, v22
	v_cndmask_b32_e64 v10, 0, -1, s[16:17]
	v_bfe_i32 v55, v55, 0, 1
	v_lshlrev_b16_e32 v10, 8, v10
	v_lshlrev_b16_e32 v53, 8, v53
	v_or_b32_sdwa v56, v55, v10 dst_sel:WORD_1 dst_unused:UNUSED_PAD src0_sel:BYTE_0 src1_sel:DWORD
	v_or_b32_sdwa v57, v51, v53 dst_sel:DWORD dst_unused:UNUSED_PAD src0_sel:BYTE_0 src1_sel:DWORD
	v_or_b32_sdwa v56, v57, v56 dst_sel:DWORD dst_unused:UNUSED_PAD src0_sel:WORD_0 src1_sel:DWORD
	v_xor_b32_e32 v34, v34, v56
	v_and_b32_e32 v56, 0xffffff00, v34
	v_sub_i16 v53, v56, v53 clamp
	v_lshlrev_b16_e32 v56, 8, v34
	v_lshlrev_b16_e32 v51, 8, v51
	v_and_b32_e32 v53, 0xffffff00, v53
	v_sub_i16 v51, v56, v51 clamp
	v_or_b32_sdwa v51, v51, v53 dst_sel:DWORD dst_unused:UNUSED_PAD src0_sel:BYTE_1 src1_sel:DWORD
	v_and_b32_sdwa v53, v34, s21 dst_sel:DWORD dst_unused:UNUSED_PAD src0_sel:WORD_1 src1_sel:DWORD
	v_sub_i16 v10, v53, v10 clamp
	v_lshlrev_b16_sdwa v34, v41, v34 dst_sel:DWORD dst_unused:UNUSED_PAD src0_sel:DWORD src1_sel:WORD_1
	v_lshlrev_b16_e32 v53, 8, v55
	v_and_b32_e32 v10, 0xffffff00, v10
	v_sub_i16 v34, v34, v53 clamp
	v_or_b32_sdwa v10, v34, v10 dst_sel:WORD_1 dst_unused:UNUSED_PAD src0_sel:BYTE_1 src1_sel:DWORD
	v_and_b32_e32 v34, 0x80000000, v22
	v_lshrrev_b16_e32 v52, 5, v52
	v_cmp_ne_u16_sdwa s[16:17], v34, v13 src0_sel:BYTE_3 src1_sel:DWORD
	v_bfe_i32 v52, v52, 0, 1
	v_lshrrev_b32_e32 v22, 22, v22
	v_cndmask_b32_e64 v34, 0, -1, s[16:17]
	v_or_b32_sdwa v10, v51, v10 dst_sel:DWORD dst_unused:UNUSED_PAD src0_sel:WORD_0 src1_sel:DWORD
	v_bfe_i32 v51, v21, 11, 1
	v_bfe_i32 v22, v22, 0, 1
	v_lshlrev_b16_e32 v34, 8, v34
	v_lshlrev_b16_e32 v52, 8, v52
	v_or_b32_sdwa v53, v22, v34 dst_sel:WORD_1 dst_unused:UNUSED_PAD src0_sel:BYTE_0 src1_sel:DWORD
	v_or_b32_sdwa v55, v51, v52 dst_sel:DWORD dst_unused:UNUSED_PAD src0_sel:BYTE_0 src1_sel:DWORD
	v_or_b32_sdwa v53, v55, v53 dst_sel:DWORD dst_unused:UNUSED_PAD src0_sel:WORD_0 src1_sel:DWORD
	v_xor_b32_e32 v35, v35, v53
	v_and_b32_e32 v53, 0xffffff00, v35
	v_sub_i16 v52, v53, v52 clamp
	v_lshlrev_b16_e32 v53, 8, v35
	v_lshlrev_b16_e32 v51, 8, v51
	v_and_b32_e32 v52, 0xffffff00, v52
	v_sub_i16 v51, v53, v51 clamp
	v_or_b32_sdwa v51, v51, v52 dst_sel:DWORD dst_unused:UNUSED_PAD src0_sel:BYTE_1 src1_sel:DWORD
	v_and_b32_sdwa v52, v35, s21 dst_sel:DWORD dst_unused:UNUSED_PAD src0_sel:WORD_1 src1_sel:DWORD
	v_sub_i16 v34, v52, v34 clamp
	v_lshlrev_b16_sdwa v35, v41, v35 dst_sel:DWORD dst_unused:UNUSED_PAD src0_sel:DWORD src1_sel:WORD_1
	v_lshlrev_b16_e32 v22, 8, v22
	v_and_b32_e32 v34, 0xffffff00, v34
	v_sub_i16 v22, v35, v22 clamp
	v_or_b32_sdwa v22, v22, v34 dst_sel:WORD_1 dst_unused:UNUSED_PAD src0_sel:BYTE_1 src1_sel:DWORD
	v_bfe_u32 v34, v21, 14, 8
	v_bcnt_u32_b32 v35, v34, 0
	v_and_b32_e32 v35, 1, v35
	v_lshlrev_b32_e32 v35, 7, v35
	v_xor_b32_e32 v34, v35, v34
	v_mul_lo_u32 v34, v34, s20
	v_or_b32_sdwa v22, v51, v22 dst_sel:DWORD dst_unused:UNUSED_PAD src0_sel:WORD_0 src1_sel:DWORD
	v_and_b32_e32 v35, 0x8000000, v34
	v_lshrrev_b32_e32 v51, 8, v34
	v_lshrrev_b16_e32 v52, 1, v51
	v_cmp_ne_u16_sdwa s[16:17], v35, v13 src0_sel:BYTE_3 src1_sel:DWORD
	v_bfe_i32 v52, v52, 0, 1
	v_lshrrev_b32_e32 v53, 18, v34
	v_cndmask_b32_e64 v35, 0, -1, s[16:17]
	v_bfe_i32 v53, v53, 0, 1
	v_lshlrev_b16_e32 v35, 8, v35
	v_lshlrev_b16_e32 v52, 8, v52
	v_or_b32_sdwa v55, v53, v35 dst_sel:WORD_1 dst_unused:UNUSED_PAD src0_sel:BYTE_0 src1_sel:DWORD
	v_or_b32_sdwa v56, v54, v52 dst_sel:DWORD dst_unused:UNUSED_PAD src0_sel:BYTE_0 src1_sel:DWORD
	v_or_b32_sdwa v55, v56, v55 dst_sel:DWORD dst_unused:UNUSED_PAD src0_sel:WORD_0 src1_sel:DWORD
	v_xor_b32_e32 v32, v32, v55
	v_and_b32_e32 v55, 0xffffff00, v32
	v_sub_i16 v52, v55, v52 clamp
	v_lshlrev_b16_e32 v55, 8, v32
	v_lshlrev_b16_e32 v54, 8, v54
	v_and_b32_e32 v52, 0xffffff00, v52
	v_sub_i16 v54, v55, v54 clamp
	v_or_b32_sdwa v52, v54, v52 dst_sel:DWORD dst_unused:UNUSED_PAD src0_sel:BYTE_1 src1_sel:DWORD
	v_and_b32_sdwa v54, v32, s21 dst_sel:DWORD dst_unused:UNUSED_PAD src0_sel:WORD_1 src1_sel:DWORD
	v_sub_i16 v35, v54, v35 clamp
	v_lshlrev_b16_sdwa v32, v41, v32 dst_sel:DWORD dst_unused:UNUSED_PAD src0_sel:DWORD src1_sel:WORD_1
	v_lshlrev_b16_e32 v53, 8, v53
	v_and_b32_e32 v35, 0xffffff00, v35
	v_sub_i16 v32, v32, v53 clamp
	v_or_b32_sdwa v32, v32, v35 dst_sel:WORD_1 dst_unused:UNUSED_PAD src0_sel:BYTE_1 src1_sel:DWORD
	v_and_b32_e32 v35, 0x80000000, v34
	v_lshrrev_b16_e32 v51, 5, v51
	v_cmp_ne_u16_sdwa s[16:17], v35, v13 src0_sel:BYTE_3 src1_sel:DWORD
	v_bfe_i32 v51, v51, 0, 1
	v_lshrrev_b32_e32 v34, 22, v34
	v_cndmask_b32_e64 v35, 0, -1, s[16:17]
	v_or_b32_sdwa v32, v52, v32 dst_sel:DWORD dst_unused:UNUSED_PAD src0_sel:WORD_0 src1_sel:DWORD
	v_bfe_i32 v52, v21, 18, 1
	v_bfe_i32 v34, v34, 0, 1
	v_lshlrev_b16_e32 v35, 8, v35
	v_lshlrev_b16_e32 v51, 8, v51
	v_or_b32_sdwa v53, v34, v35 dst_sel:WORD_1 dst_unused:UNUSED_PAD src0_sel:BYTE_0 src1_sel:DWORD
	v_or_b32_sdwa v54, v52, v51 dst_sel:DWORD dst_unused:UNUSED_PAD src0_sel:BYTE_0 src1_sel:DWORD
	v_or_b32_sdwa v53, v54, v53 dst_sel:DWORD dst_unused:UNUSED_PAD src0_sel:WORD_0 src1_sel:DWORD
	v_xor_b32_e32 v33, v33, v53
	v_and_b32_e32 v53, 0xffffff00, v33
	v_sub_i16 v51, v53, v51 clamp
	v_lshlrev_b16_e32 v53, 8, v33
	v_lshlrev_b16_e32 v52, 8, v52
	v_and_b32_e32 v51, 0xffffff00, v51
	v_sub_i16 v52, v53, v52 clamp
	v_or_b32_sdwa v51, v52, v51 dst_sel:DWORD dst_unused:UNUSED_PAD src0_sel:BYTE_1 src1_sel:DWORD
	v_and_b32_sdwa v52, v33, s21 dst_sel:DWORD dst_unused:UNUSED_PAD src0_sel:WORD_1 src1_sel:DWORD
	v_sub_i16 v35, v52, v35 clamp
	v_lshlrev_b16_sdwa v33, v41, v33 dst_sel:DWORD dst_unused:UNUSED_PAD src0_sel:DWORD src1_sel:WORD_1
	v_lshlrev_b16_e32 v34, 8, v34
	v_and_b32_e32 v35, 0xffffff00, v35
	v_sub_i16 v33, v33, v34 clamp
	v_bfe_u32 v34, v21, 21, 8
	v_or_b32_sdwa v33, v33, v35 dst_sel:WORD_1 dst_unused:UNUSED_PAD src0_sel:BYTE_1 src1_sel:DWORD
	v_bcnt_u32_b32 v35, v34, 0
	v_and_b32_e32 v35, 1, v35
	v_lshlrev_b32_e32 v35, 7, v35
	v_xor_b32_e32 v34, v35, v34
	v_mul_lo_u32 v34, v34, s20
	v_and_b32_e32 v35, 0x8000000, v34
	v_lshrrev_b32_e32 v52, 8, v34
	v_lshrrev_b16_e32 v53, 1, v52
	v_cmp_ne_u16_sdwa s[16:17], v35, v13 src0_sel:BYTE_3 src1_sel:DWORD
	v_bfe_i32 v53, v53, 0, 1
	v_lshrrev_b32_e32 v54, 18, v34
	v_cndmask_b32_e64 v35, 0, -1, s[16:17]
	v_or_b32_sdwa v33, v51, v33 dst_sel:DWORD dst_unused:UNUSED_PAD src0_sel:WORD_0 src1_sel:DWORD
	v_bfe_i32 v51, v21, 21, 1
	v_bfe_i32 v54, v54, 0, 1
	v_lshlrev_b16_e32 v35, 8, v35
	v_lshlrev_b16_e32 v53, 8, v53
	v_or_b32_sdwa v55, v54, v35 dst_sel:WORD_1 dst_unused:UNUSED_PAD src0_sel:BYTE_0 src1_sel:DWORD
	v_or_b32_sdwa v56, v51, v53 dst_sel:DWORD dst_unused:UNUSED_PAD src0_sel:BYTE_0 src1_sel:DWORD
	v_or_b32_sdwa v55, v56, v55 dst_sel:DWORD dst_unused:UNUSED_PAD src0_sel:WORD_0 src1_sel:DWORD
	v_xor_b32_e32 v28, v28, v55
	v_and_b32_e32 v55, 0xffffff00, v28
	v_sub_i16 v53, v55, v53 clamp
	v_lshlrev_b16_e32 v55, 8, v28
	v_lshlrev_b16_e32 v51, 8, v51
	v_and_b32_e32 v53, 0xffffff00, v53
	v_sub_i16 v51, v55, v51 clamp
	v_or_b32_sdwa v51, v51, v53 dst_sel:DWORD dst_unused:UNUSED_PAD src0_sel:BYTE_1 src1_sel:DWORD
	v_and_b32_sdwa v53, v28, s21 dst_sel:DWORD dst_unused:UNUSED_PAD src0_sel:WORD_1 src1_sel:DWORD
	v_sub_i16 v35, v53, v35 clamp
	v_lshlrev_b16_sdwa v28, v41, v28 dst_sel:DWORD dst_unused:UNUSED_PAD src0_sel:DWORD src1_sel:WORD_1
	v_lshlrev_b16_e32 v53, 8, v54
	v_and_b32_e32 v35, 0xffffff00, v35
	v_sub_i16 v28, v28, v53 clamp
	v_or_b32_sdwa v28, v28, v35 dst_sel:WORD_1 dst_unused:UNUSED_PAD src0_sel:BYTE_1 src1_sel:DWORD
	v_and_b32_e32 v35, 0x80000000, v34
	v_lshrrev_b16_e32 v52, 5, v52
	v_cmp_ne_u16_sdwa s[16:17], v35, v13 src0_sel:BYTE_3 src1_sel:DWORD
	v_bfe_i32 v52, v52, 0, 1
	v_lshrrev_b32_e32 v34, 22, v34
	v_cndmask_b32_e64 v35, 0, -1, s[16:17]
	v_or_b32_sdwa v28, v51, v28 dst_sel:DWORD dst_unused:UNUSED_PAD src0_sel:WORD_0 src1_sel:DWORD
	v_bfe_i32 v51, v21, 25, 1
	v_bfe_i32 v34, v34, 0, 1
	v_lshlrev_b16_e32 v35, 8, v35
	v_lshlrev_b16_e32 v52, 8, v52
	v_or_b32_sdwa v53, v34, v35 dst_sel:WORD_1 dst_unused:UNUSED_PAD src0_sel:BYTE_0 src1_sel:DWORD
	v_or_b32_sdwa v54, v51, v52 dst_sel:DWORD dst_unused:UNUSED_PAD src0_sel:BYTE_0 src1_sel:DWORD
	v_or_b32_sdwa v53, v54, v53 dst_sel:DWORD dst_unused:UNUSED_PAD src0_sel:WORD_0 src1_sel:DWORD
	v_xor_b32_e32 v29, v29, v53
	v_and_b32_e32 v53, 0xffffff00, v29
	v_sub_i16 v52, v53, v52 clamp
	v_lshlrev_b16_e32 v53, 8, v29
	v_lshlrev_b16_e32 v51, 8, v51
	v_and_b32_e32 v52, 0xffffff00, v52
	v_sub_i16 v51, v53, v51 clamp
	v_or_b32_sdwa v51, v51, v52 dst_sel:DWORD dst_unused:UNUSED_PAD src0_sel:BYTE_1 src1_sel:DWORD
	v_and_b32_sdwa v52, v29, s21 dst_sel:DWORD dst_unused:UNUSED_PAD src0_sel:WORD_1 src1_sel:DWORD
	v_sub_i16 v35, v52, v35 clamp
	v_lshlrev_b16_sdwa v29, v41, v29 dst_sel:DWORD dst_unused:UNUSED_PAD src0_sel:DWORD src1_sel:WORD_1
	v_lshlrev_b16_e32 v34, 8, v34
	v_and_b32_e32 v35, 0xffffff00, v35
	v_sub_i16 v29, v29, v34 clamp
	v_bfe_u32 v34, v23, 7, 8
	v_or_b32_sdwa v29, v29, v35 dst_sel:WORD_1 dst_unused:UNUSED_PAD src0_sel:BYTE_1 src1_sel:DWORD
	v_bcnt_u32_b32 v35, v34, 0
	v_and_b32_e32 v35, 1, v35
	v_lshlrev_b32_e32 v35, 7, v35
	v_xor_b32_e32 v34, v35, v34
	v_mul_lo_u32 v34, v34, s20
	v_or_b32_sdwa v29, v51, v29 dst_sel:DWORD dst_unused:UNUSED_PAD src0_sel:WORD_0 src1_sel:DWORD
	v_and_b32_e32 v35, 0x8000000, v34
	v_lshrrev_b32_e32 v51, 8, v34
	v_lshrrev_b16_e32 v52, 1, v51
	v_cmp_ne_u16_sdwa s[16:17], v35, v13 src0_sel:BYTE_3 src1_sel:DWORD
	v_bfe_i32 v52, v52, 0, 1
	v_lshrrev_b32_e32 v53, 18, v34
	v_cndmask_b32_e64 v35, 0, -1, s[16:17]
	v_bfe_i32 v53, v53, 0, 1
	v_lshlrev_b16_e32 v35, 8, v35
	v_lshlrev_b16_e32 v52, 8, v52
	v_or_b32_sdwa v54, v53, v35 dst_sel:WORD_1 dst_unused:UNUSED_PAD src0_sel:BYTE_0 src1_sel:DWORD
	v_or_b32_sdwa v55, v50, v52 dst_sel:DWORD dst_unused:UNUSED_PAD src0_sel:BYTE_0 src1_sel:DWORD
	v_or_b32_sdwa v54, v55, v54 dst_sel:DWORD dst_unused:UNUSED_PAD src0_sel:WORD_0 src1_sel:DWORD
	s_waitcnt vmcnt(3)
	v_xor_b32_e32 v30, v30, v54
	v_and_b32_e32 v54, 0xffffff00, v30
	v_sub_i16 v52, v54, v52 clamp
	v_lshlrev_b16_e32 v54, 8, v30
	v_lshlrev_b16_e32 v50, 8, v50
	v_and_b32_e32 v52, 0xffffff00, v52
	v_sub_i16 v50, v54, v50 clamp
	v_or_b32_sdwa v50, v50, v52 dst_sel:DWORD dst_unused:UNUSED_PAD src0_sel:BYTE_1 src1_sel:DWORD
	v_and_b32_sdwa v52, v30, s21 dst_sel:DWORD dst_unused:UNUSED_PAD src0_sel:WORD_1 src1_sel:DWORD
	v_sub_i16 v35, v52, v35 clamp
	v_lshlrev_b16_sdwa v30, v41, v30 dst_sel:DWORD dst_unused:UNUSED_PAD src0_sel:DWORD src1_sel:WORD_1
	v_lshlrev_b16_e32 v52, 8, v53
	v_and_b32_e32 v35, 0xffffff00, v35
	v_sub_i16 v30, v30, v52 clamp
	v_or_b32_sdwa v30, v30, v35 dst_sel:WORD_1 dst_unused:UNUSED_PAD src0_sel:BYTE_1 src1_sel:DWORD
	v_dot4c_i32_i8_e32 v45, v10, v11
	v_or_b32_sdwa v30, v50, v30 dst_sel:DWORD dst_unused:UNUSED_PAD src0_sel:WORD_0 src1_sel:DWORD
	v_dot4c_i32_i8_e32 v47, v30, v11
	v_and_b32_e32 v11, 0x80000000, v34
	v_lshrrev_b16_e32 v50, 5, v51
	v_cmp_ne_u16_sdwa s[16:17], v11, v13 src0_sel:BYTE_3 src1_sel:DWORD
	v_bfe_i32 v50, v50, 0, 1
	v_lshrrev_b32_e32 v34, 22, v34
	v_cndmask_b32_e64 v11, 0, -1, s[16:17]
	v_bfe_i32 v35, v23, 11, 1
	v_bfe_i32 v34, v34, 0, 1
	v_lshlrev_b16_e32 v11, 8, v11
	v_lshlrev_b16_e32 v50, 8, v50
	v_or_b32_sdwa v51, v34, v11 dst_sel:WORD_1 dst_unused:UNUSED_PAD src0_sel:BYTE_0 src1_sel:DWORD
	v_or_b32_sdwa v52, v35, v50 dst_sel:DWORD dst_unused:UNUSED_PAD src0_sel:BYTE_0 src1_sel:DWORD
	v_or_b32_sdwa v51, v52, v51 dst_sel:DWORD dst_unused:UNUSED_PAD src0_sel:WORD_0 src1_sel:DWORD
	v_xor_b32_e32 v31, v31, v51
	v_and_b32_e32 v51, 0xffffff00, v31
	v_sub_i16 v50, v51, v50 clamp
	v_lshlrev_b16_e32 v51, 8, v31
	v_lshlrev_b16_e32 v35, 8, v35
	v_and_b32_e32 v50, 0xffffff00, v50
	v_sub_i16 v35, v51, v35 clamp
	v_or_b32_sdwa v35, v35, v50 dst_sel:DWORD dst_unused:UNUSED_PAD src0_sel:BYTE_1 src1_sel:DWORD
	v_and_b32_sdwa v50, v31, s21 dst_sel:DWORD dst_unused:UNUSED_PAD src0_sel:WORD_1 src1_sel:DWORD
	v_sub_i16 v11, v50, v11 clamp
	v_lshlrev_b16_sdwa v31, v41, v31 dst_sel:DWORD dst_unused:UNUSED_PAD src0_sel:DWORD src1_sel:WORD_1
	v_lshlrev_b16_e32 v34, 8, v34
	v_and_b32_e32 v11, 0xffffff00, v11
	v_sub_i16 v31, v31, v34 clamp
	v_or_b32_sdwa v11, v31, v11 dst_sel:WORD_1 dst_unused:UNUSED_PAD src0_sel:BYTE_1 src1_sel:DWORD
	v_dot4c_i32_i8_e32 v45, v22, v4
	v_or_b32_sdwa v11, v35, v11 dst_sel:DWORD dst_unused:UNUSED_PAD src0_sel:WORD_0 src1_sel:DWORD
	v_dot4c_i32_i8_e32 v47, v11, v4
	v_bfe_u32 v4, v23, 14, 8
	v_bcnt_u32_b32 v31, v4, 0
	v_and_b32_e32 v31, 1, v31
	v_lshlrev_b32_e32 v31, 7, v31
	v_xor_b32_e32 v4, v31, v4
	v_mul_lo_u32 v4, v4, s20
	v_and_b32_e32 v31, 0x8000000, v4
	v_lshrrev_b32_e32 v34, 8, v4
	v_lshrrev_b16_e32 v35, 1, v34
	v_cmp_ne_u16_sdwa s[16:17], v31, v13 src0_sel:BYTE_3 src1_sel:DWORD
	v_bfe_i32 v35, v35, 0, 1
	v_lshrrev_b32_e32 v50, 18, v4
	v_cndmask_b32_e64 v31, 0, -1, s[16:17]
	v_bfe_i32 v50, v50, 0, 1
	v_lshlrev_b16_e32 v31, 8, v31
	v_lshlrev_b16_e32 v35, 8, v35
	v_or_b32_sdwa v51, v50, v31 dst_sel:WORD_1 dst_unused:UNUSED_PAD src0_sel:BYTE_0 src1_sel:DWORD
	v_or_b32_sdwa v52, v49, v35 dst_sel:DWORD dst_unused:UNUSED_PAD src0_sel:BYTE_0 src1_sel:DWORD
	v_or_b32_sdwa v51, v52, v51 dst_sel:DWORD dst_unused:UNUSED_PAD src0_sel:WORD_0 src1_sel:DWORD
	s_waitcnt vmcnt(2)
	v_xor_b32_e32 v26, v26, v51
	v_and_b32_e32 v51, 0xffffff00, v26
	v_sub_i16 v35, v51, v35 clamp
	v_lshlrev_b16_e32 v51, 8, v26
	v_lshlrev_b16_e32 v49, 8, v49
	v_and_b32_e32 v35, 0xffffff00, v35
	v_sub_i16 v49, v51, v49 clamp
	v_or_b32_sdwa v35, v49, v35 dst_sel:DWORD dst_unused:UNUSED_PAD src0_sel:BYTE_1 src1_sel:DWORD
	v_and_b32_sdwa v49, v26, s21 dst_sel:DWORD dst_unused:UNUSED_PAD src0_sel:WORD_1 src1_sel:DWORD
	v_sub_i16 v31, v49, v31 clamp
	v_lshlrev_b16_sdwa v26, v41, v26 dst_sel:DWORD dst_unused:UNUSED_PAD src0_sel:DWORD src1_sel:WORD_1
	v_lshlrev_b16_e32 v49, 8, v50
	v_and_b32_e32 v31, 0xffffff00, v31
	v_sub_i16 v26, v26, v49 clamp
	v_or_b32_sdwa v26, v26, v31 dst_sel:WORD_1 dst_unused:UNUSED_PAD src0_sel:BYTE_1 src1_sel:DWORD
	v_dot4c_i32_i8_e32 v45, v32, v5
	v_or_b32_sdwa v26, v35, v26 dst_sel:DWORD dst_unused:UNUSED_PAD src0_sel:WORD_0 src1_sel:DWORD
	v_dot4c_i32_i8_e32 v47, v26, v5
	v_and_b32_e32 v5, 0x80000000, v4
	v_lshrrev_b16_e32 v34, 5, v34
	v_cmp_ne_u16_sdwa s[16:17], v5, v13 src0_sel:BYTE_3 src1_sel:DWORD
	v_bfe_i32 v34, v34, 0, 1
	v_lshrrev_b32_e32 v4, 22, v4
	v_cndmask_b32_e64 v5, 0, -1, s[16:17]
	v_bfe_i32 v31, v23, 18, 1
	v_bfe_i32 v4, v4, 0, 1
	v_lshlrev_b16_e32 v5, 8, v5
	v_lshlrev_b16_e32 v34, 8, v34
	v_or_b32_sdwa v35, v4, v5 dst_sel:WORD_1 dst_unused:UNUSED_PAD src0_sel:BYTE_0 src1_sel:DWORD
	v_or_b32_sdwa v49, v31, v34 dst_sel:DWORD dst_unused:UNUSED_PAD src0_sel:BYTE_0 src1_sel:DWORD
	v_or_b32_sdwa v35, v49, v35 dst_sel:DWORD dst_unused:UNUSED_PAD src0_sel:WORD_0 src1_sel:DWORD
	v_xor_b32_e32 v27, v27, v35
	v_and_b32_e32 v35, 0xffffff00, v27
	v_sub_i16 v34, v35, v34 clamp
	v_lshlrev_b16_e32 v35, 8, v27
	v_lshlrev_b16_e32 v31, 8, v31
	v_and_b32_e32 v34, 0xffffff00, v34
	v_sub_i16 v31, v35, v31 clamp
	v_or_b32_sdwa v31, v31, v34 dst_sel:DWORD dst_unused:UNUSED_PAD src0_sel:BYTE_1 src1_sel:DWORD
	v_and_b32_sdwa v34, v27, s21 dst_sel:DWORD dst_unused:UNUSED_PAD src0_sel:WORD_1 src1_sel:DWORD
	v_sub_i16 v5, v34, v5 clamp
	v_lshlrev_b16_sdwa v27, v41, v27 dst_sel:DWORD dst_unused:UNUSED_PAD src0_sel:DWORD src1_sel:WORD_1
	v_lshlrev_b16_e32 v4, 8, v4
	v_and_b32_e32 v5, 0xffffff00, v5
	v_sub_i16 v4, v27, v4 clamp
	v_or_b32_sdwa v4, v4, v5 dst_sel:WORD_1 dst_unused:UNUSED_PAD src0_sel:BYTE_1 src1_sel:DWORD
	v_dot4c_i32_i8_e32 v45, v33, v6
	v_or_b32_sdwa v27, v31, v4 dst_sel:DWORD dst_unused:UNUSED_PAD src0_sel:WORD_0 src1_sel:DWORD
	v_bfe_u32 v4, v23, 21, 8
	v_bcnt_u32_b32 v5, v4, 0
	v_and_b32_e32 v5, 1, v5
	v_lshlrev_b32_e32 v5, 7, v5
	v_xor_b32_e32 v4, v5, v4
	v_mul_lo_u32 v4, v4, s20
	v_and_b32_e32 v5, 0x8000000, v4
	v_lshrrev_b32_e32 v31, 8, v4
	v_lshrrev_b16_e32 v34, 1, v31
	v_cmp_ne_u16_sdwa s[16:17], v5, v13 src0_sel:BYTE_3 src1_sel:DWORD
	v_bfe_i32 v34, v34, 0, 1
	v_lshrrev_b32_e32 v35, 18, v4
	v_cndmask_b32_e64 v5, 0, -1, s[16:17]
	v_dot4c_i32_i8_e32 v47, v27, v6
	v_bfe_i32 v6, v23, 21, 1
	v_bfe_i32 v35, v35, 0, 1
	v_lshlrev_b16_e32 v5, 8, v5
	v_lshlrev_b16_e32 v34, 8, v34
	v_or_b32_sdwa v49, v35, v5 dst_sel:WORD_1 dst_unused:UNUSED_PAD src0_sel:BYTE_0 src1_sel:DWORD
	v_or_b32_sdwa v50, v6, v34 dst_sel:DWORD dst_unused:UNUSED_PAD src0_sel:BYTE_0 src1_sel:DWORD
	v_or_b32_sdwa v49, v50, v49 dst_sel:DWORD dst_unused:UNUSED_PAD src0_sel:WORD_0 src1_sel:DWORD
	s_waitcnt vmcnt(1)
	v_xor_b32_e32 v24, v24, v49
	v_and_b32_e32 v49, 0xffffff00, v24
	v_sub_i16 v34, v49, v34 clamp
	v_lshlrev_b16_e32 v49, 8, v24
	v_lshlrev_b16_e32 v6, 8, v6
	v_and_b32_e32 v34, 0xffffff00, v34
	v_sub_i16 v6, v49, v6 clamp
	v_or_b32_sdwa v6, v6, v34 dst_sel:DWORD dst_unused:UNUSED_PAD src0_sel:BYTE_1 src1_sel:DWORD
	v_and_b32_sdwa v34, v24, s21 dst_sel:DWORD dst_unused:UNUSED_PAD src0_sel:WORD_1 src1_sel:DWORD
	v_sub_i16 v5, v34, v5 clamp
	v_lshlrev_b16_sdwa v24, v41, v24 dst_sel:DWORD dst_unused:UNUSED_PAD src0_sel:DWORD src1_sel:WORD_1
	v_lshlrev_b16_e32 v34, 8, v35
	v_and_b32_e32 v5, 0xffffff00, v5
	v_sub_i16 v24, v24, v34 clamp
	v_or_b32_sdwa v5, v24, v5 dst_sel:WORD_1 dst_unused:UNUSED_PAD src0_sel:BYTE_1 src1_sel:DWORD
	v_dot4c_i32_i8_e32 v45, v28, v7
	v_or_b32_sdwa v34, v6, v5 dst_sel:DWORD dst_unused:UNUSED_PAD src0_sel:WORD_0 src1_sel:DWORD
	v_and_b32_e32 v5, 0x80000000, v4
	v_dot4c_i32_i8_e32 v47, v34, v7
	v_lshrrev_b16_e32 v7, 5, v31
	v_cmp_ne_u16_sdwa s[16:17], v5, v13 src0_sel:BYTE_3 src1_sel:DWORD
	v_bfe_i32 v7, v7, 0, 1
	v_lshrrev_b32_e32 v4, 22, v4
	v_cndmask_b32_e64 v5, 0, -1, s[16:17]
	v_bfe_i32 v6, v23, 25, 1
	v_bfe_i32 v4, v4, 0, 1
	v_lshlrev_b16_e32 v5, 8, v5
	v_lshlrev_b16_e32 v7, 8, v7
	v_or_b32_sdwa v24, v4, v5 dst_sel:WORD_1 dst_unused:UNUSED_PAD src0_sel:BYTE_0 src1_sel:DWORD
	v_or_b32_sdwa v31, v6, v7 dst_sel:DWORD dst_unused:UNUSED_PAD src0_sel:BYTE_0 src1_sel:DWORD
	v_or_b32_sdwa v24, v31, v24 dst_sel:DWORD dst_unused:UNUSED_PAD src0_sel:WORD_0 src1_sel:DWORD
	v_xor_b32_e32 v24, v25, v24
	v_and_b32_e32 v25, 0xffffff00, v24
	v_sub_i16 v7, v25, v7 clamp
	v_lshlrev_b16_e32 v25, 8, v24
	v_lshlrev_b16_e32 v6, 8, v6
	v_and_b32_e32 v7, 0xffffff00, v7
	v_sub_i16 v6, v25, v6 clamp
	v_or_b32_sdwa v6, v6, v7 dst_sel:DWORD dst_unused:UNUSED_PAD src0_sel:BYTE_1 src1_sel:DWORD
	v_and_b32_sdwa v7, v24, s21 dst_sel:DWORD dst_unused:UNUSED_PAD src0_sel:WORD_1 src1_sel:DWORD
	v_sub_i16 v5, v7, v5 clamp
	v_lshlrev_b16_sdwa v7, v41, v24 dst_sel:DWORD dst_unused:UNUSED_PAD src0_sel:DWORD src1_sel:WORD_1
	v_lshlrev_b16_e32 v4, 8, v4
	v_and_b32_e32 v5, 0xffffff00, v5
	v_sub_i16 v4, v7, v4 clamp
	v_or_b32_sdwa v4, v4, v5 dst_sel:WORD_1 dst_unused:UNUSED_PAD src0_sel:BYTE_1 src1_sel:DWORD
	v_lshrrev_b32_e32 v5, 27, v21
	v_dot4c_i32_i8_e32 v45, v29, v44
	v_or_b32_e32 v21, 1, v5
	v_or_b32_sdwa v31, v6, v4 dst_sel:DWORD dst_unused:UNUSED_PAD src0_sel:WORD_0 src1_sel:DWORD
	v_lshrrev_b32_e32 v4, 27, v23
	v_mul_lo_u32 v5, v45, v21
	v_ashrrev_i32_e32 v6, 31, v5
	v_dot4c_i32_i8_e32 v47, v31, v44
	v_or_b32_e32 v23, 1, v4
	v_lshrrev_b32_e32 v6, 29, v6
	v_add_u32_e32 v5, v5, v6
	v_mul_lo_u32 v4, v47, v23
	v_ashrrev_i32_e32 v24, 3, v5
	v_ashrrev_i32_e32 v5, 31, v4
	v_lshrrev_b32_e32 v5, 29, v5
	v_add_u32_e32 v4, v4, v5
	v_ashrrev_i32_e32 v25, 3, v4
	s_waitcnt vmcnt(0)
	v_cvt_f32_f16_e32 v5, v48
	v_cvt_f32_f16_e32 v4, v46
	v_cvt_f32_i32_e32 v25, v25
	v_cvt_f32_i32_e32 v24, v24
	v_pk_mul_f32 v[6:7], v[8:9], v[4:5] op_sel_hi:[0,1]
	v_pk_fma_f32 v[0:1], v[6:7], v[24:25], v[0:1]
	v_mad_u64_u32 v[6:7], s[16:17], v39, 36, s[24:25]
	v_mad_u64_u32 v[6:7], s[16:17], v14, 36, v[6:7]
	global_load_dword v8, v[6:7], off offset:32
	global_load_dwordx4 v[44:47], v[6:7], off offset:16
	global_load_dwordx4 v[48:51], v[6:7], off
	v_mov_b32_e32 v7, 0
	v_mov_b32_e32 v24, 0
	v_add_u32_e32 v39, 0x80, v39
	s_waitcnt vmcnt(0)
	v_dot4c_i32_i8_e32 v7, v42, v49
	v_dot4c_i32_i8_e32 v7, v43, v50
	;; [unrolled: 1-line block ×15, first 2 shown]
	v_mul_lo_u32 v7, v7, v21
	v_ashrrev_i32_e32 v9, 31, v7
	v_dot4c_i32_i8_e32 v24, v31, v8
	v_lshrrev_b32_e32 v9, 29, v9
	v_add_u32_e32 v7, v7, v9
	v_cvt_f32_f16_e32 v6, v48
	v_mul_lo_u32 v8, v24, v23
	v_ashrrev_i32_e32 v9, 3, v7
	v_ashrrev_i32_e32 v7, 31, v8
	v_lshrrev_b32_e32 v7, 29, v7
	v_add_u32_e32 v7, v8, v7
	v_ashrrev_i32_e32 v7, 3, v7
	v_pk_mul_f32 v[4:5], v[6:7], v[4:5] op_sel_hi:[0,1]
	v_cvt_f32_i32_e32 v7, v7
	v_cvt_f32_i32_e32 v6, v9
	v_pk_fma_f32 v[2:3], v[4:5], v[6:7], v[2:3]
	s_andn2_b64 exec, exec, s[8:9]
	s_cbranch_execnz .LBB161_2
; %bb.3:
	s_or_b64 exec, exec, s[8:9]
	ds_write_b128 v36, v[0:3]
.LBB161_4:
	s_or_b64 exec, exec, s[0:1]
	v_cmp_eq_u32_e32 vcc, 0, v37
	v_cmp_ne_u32_e64 s[0:1], 0, v37
	v_lshlrev_b32_e32 v4, 2, v15
	s_and_saveexec_b64 s[8:9], s[0:1]
	s_cbranch_execz .LBB161_6
; %bb.5:
	v_lshl_or_b32 v5, v37, 10, v4
	v_add_u32_e32 v5, 0xfffffc00, v5
	ds_write2st64_b32 v5, v0, v1 offset1:1
	ds_write2st64_b32 v5, v2, v3 offset0:2 offset1:3
.LBB161_6:
	s_or_b64 exec, exec, s[8:9]
	s_waitcnt lgkmcnt(0)
	s_barrier
	s_and_saveexec_b64 s[0:1], vcc
	s_cbranch_execz .LBB161_11
; %bb.7:
	v_mbcnt_lo_u32_b32 v0, -1, 0
	v_mbcnt_hi_u32_b32 v12, -1, v0
	ds_read2st64_b32 v[2:3], v4 offset1:1
	ds_read_b64 v[6:7], v36
	v_and_b32_e32 v0, 64, v12
	v_add_u32_e32 v13, 64, v0
	v_xor_b32_e32 v0, 32, v12
	v_cmp_lt_i32_e32 vcc, v0, v13
	s_waitcnt lgkmcnt(0)
	v_pk_add_f32 v[2:3], v[2:3], v[6:7]
	v_xor_b32_e32 v1, 16, v12
	v_cndmask_b32_e32 v0, v12, v0, vcc
	v_lshlrev_b32_e32 v0, 2, v0
	ds_bpermute_b32 v6, v0, v2
	ds_bpermute_b32 v7, v0, v3
	v_cmp_lt_i32_e32 vcc, v1, v13
	v_xor_b32_e32 v5, 2, v12
	s_load_dwordx2 s[0:1], s[2:3], 0x38
	v_cndmask_b32_e32 v1, v12, v1, vcc
	v_lshlrev_b32_e32 v1, 2, v1
	s_waitcnt lgkmcnt(0)
	v_pk_add_f32 v[6:7], v[2:3], v[6:7]
	ds_bpermute_b32 v8, v1, v6
	ds_bpermute_b32 v9, v1, v7
	v_xor_b32_e32 v2, 8, v12
	v_cmp_lt_i32_e32 vcc, v2, v13
	v_xor_b32_e32 v3, 4, v12
	s_mul_i32 s2, s5, s14
	v_cndmask_b32_e32 v2, v12, v2, vcc
	v_lshlrev_b32_e32 v2, 2, v2
	s_waitcnt lgkmcnt(0)
	v_pk_add_f32 v[6:7], v[6:7], v[8:9]
	ds_bpermute_b32 v8, v2, v6
	ds_bpermute_b32 v9, v2, v7
	v_cmp_lt_i32_e32 vcc, v3, v13
	s_mul_i32 s6, s6, s18
	s_add_i32 s2, s2, s4
	v_cndmask_b32_e32 v3, v12, v3, vcc
	v_lshlrev_b32_e32 v3, 2, v3
	s_waitcnt lgkmcnt(0)
	v_pk_add_f32 v[6:7], v[6:7], v[8:9]
	ds_bpermute_b32 v8, v3, v6
	ds_bpermute_b32 v9, v3, v7
	v_cmp_lt_i32_e32 vcc, v5, v13
	s_add_i32 s2, s2, s6
	s_mov_b32 s3, 0
	v_cndmask_b32_e32 v5, v12, v5, vcc
	v_lshlrev_b32_e32 v5, 2, v5
	s_waitcnt lgkmcnt(0)
	v_pk_add_f32 v[8:9], v[6:7], v[8:9]
	ds_bpermute_b32 v10, v5, v8
	ds_bpermute_b32 v11, v5, v9
	v_xor_b32_e32 v6, 1, v12
	v_cmp_lt_i32_e32 vcc, v6, v13
	s_lshl_b64 s[2:3], s[2:3], 2
	s_add_u32 s2, s0, s2
	v_cndmask_b32_e32 v6, v12, v6, vcc
	v_lshlrev_b32_e32 v6, 2, v6
	s_waitcnt lgkmcnt(0)
	v_pk_add_f32 v[8:9], v[8:9], v[10:11]
	ds_bpermute_b32 v10, v6, v8
	ds_bpermute_b32 v11, v6, v9
	v_or_b32_e32 v7, s4, v15
	s_addc_u32 s3, s1, s3
	v_cmp_gt_u32_e32 vcc, 2, v15
	v_cmp_gt_u32_e64 s[0:1], s10, v7
	s_and_b64 s[0:1], vcc, s[0:1]
	s_waitcnt lgkmcnt(0)
	v_pk_add_f32 v[8:9], v[8:9], v[10:11]
	ds_write_b64 v36, v[8:9]
	s_and_saveexec_b64 s[4:5], s[0:1]
	s_cbranch_execz .LBB161_9
; %bb.8:
	v_add_u32_e32 v7, v36, v4
	ds_read_b32 v7, v7
	s_waitcnt lgkmcnt(0)
	global_store_dword v4, v7, s[2:3]
.LBB161_9:
	s_or_b64 exec, exec, s[4:5]
	ds_read2st64_b32 v[8:9], v4 offset0:2 offset1:3
	ds_read_b64 v[10:11], v36 offset:8
	s_waitcnt lgkmcnt(0)
	v_pk_add_f32 v[8:9], v[8:9], v[10:11]
	ds_bpermute_b32 v10, v0, v8
	ds_bpermute_b32 v11, v0, v9
	s_waitcnt lgkmcnt(0)
	v_pk_add_f32 v[8:9], v[8:9], v[10:11]
	ds_bpermute_b32 v0, v1, v8
	ds_bpermute_b32 v1, v1, v9
	;; [unrolled: 4-line block ×6, first 2 shown]
	s_waitcnt lgkmcnt(0)
	v_pk_add_f32 v[0:1], v[0:1], v[2:3]
	ds_write_b64 v36, v[0:1] offset:8
	s_and_b64 exec, exec, s[0:1]
	s_cbranch_execz .LBB161_11
; %bb.10:
	v_lshl_add_u32 v0, v15, 2, v36
	ds_read_b32 v2, v0 offset:8
	v_add_u32_e32 v0, s10, v15
	v_mov_b32_e32 v1, 0
	v_lshl_add_u64 v[0:1], v[0:1], 2, s[2:3]
	s_waitcnt lgkmcnt(0)
	global_store_dword v[0:1], v2, off
.LBB161_11:
	s_endpgm
	.section	.rodata,"a",@progbits
	.p2align	6, 0x0
	.amdhsa_kernel _ZL13mul_mat_vec_qIL9ggml_type16ELi2ELb0ELb0EEvPKvS2_PKi31ggml_cuda_mm_fusion_args_devicePfj15HIP_vector_typeIjLj3EEjjjS8_jjjS8_jjjj
		.amdhsa_group_segment_fixed_size 3072
		.amdhsa_private_segment_fixed_size 0
		.amdhsa_kernarg_size 144
		.amdhsa_user_sgpr_count 4
		.amdhsa_user_sgpr_dispatch_ptr 1
		.amdhsa_user_sgpr_queue_ptr 0
		.amdhsa_user_sgpr_kernarg_segment_ptr 1
		.amdhsa_user_sgpr_dispatch_id 0
		.amdhsa_user_sgpr_kernarg_preload_length 0
		.amdhsa_user_sgpr_kernarg_preload_offset 0
		.amdhsa_user_sgpr_private_segment_size 0
		.amdhsa_uses_dynamic_stack 0
		.amdhsa_enable_private_segment 0
		.amdhsa_system_sgpr_workgroup_id_x 1
		.amdhsa_system_sgpr_workgroup_id_y 1
		.amdhsa_system_sgpr_workgroup_id_z 1
		.amdhsa_system_sgpr_workgroup_info 0
		.amdhsa_system_vgpr_workitem_id 2
		.amdhsa_next_free_vgpr 58
		.amdhsa_next_free_sgpr 30
		.amdhsa_accum_offset 60
		.amdhsa_reserve_vcc 1
		.amdhsa_float_round_mode_32 0
		.amdhsa_float_round_mode_16_64 0
		.amdhsa_float_denorm_mode_32 3
		.amdhsa_float_denorm_mode_16_64 3
		.amdhsa_dx10_clamp 1
		.amdhsa_ieee_mode 1
		.amdhsa_fp16_overflow 0
		.amdhsa_tg_split 0
		.amdhsa_exception_fp_ieee_invalid_op 0
		.amdhsa_exception_fp_denorm_src 0
		.amdhsa_exception_fp_ieee_div_zero 0
		.amdhsa_exception_fp_ieee_overflow 0
		.amdhsa_exception_fp_ieee_underflow 0
		.amdhsa_exception_fp_ieee_inexact 0
		.amdhsa_exception_int_div_zero 0
	.end_amdhsa_kernel
	.section	.text._ZL13mul_mat_vec_qIL9ggml_type16ELi2ELb0ELb0EEvPKvS2_PKi31ggml_cuda_mm_fusion_args_devicePfj15HIP_vector_typeIjLj3EEjjjS8_jjjS8_jjjj,"axG",@progbits,_ZL13mul_mat_vec_qIL9ggml_type16ELi2ELb0ELb0EEvPKvS2_PKi31ggml_cuda_mm_fusion_args_devicePfj15HIP_vector_typeIjLj3EEjjjS8_jjjS8_jjjj,comdat
.Lfunc_end161:
	.size	_ZL13mul_mat_vec_qIL9ggml_type16ELi2ELb0ELb0EEvPKvS2_PKi31ggml_cuda_mm_fusion_args_devicePfj15HIP_vector_typeIjLj3EEjjjS8_jjjS8_jjjj, .Lfunc_end161-_ZL13mul_mat_vec_qIL9ggml_type16ELi2ELb0ELb0EEvPKvS2_PKi31ggml_cuda_mm_fusion_args_devicePfj15HIP_vector_typeIjLj3EEjjjS8_jjjS8_jjjj
                                        ; -- End function
	.section	.AMDGPU.csdata,"",@progbits
; Kernel info:
; codeLenInByte = 5396
; NumSgprs: 36
; NumVgprs: 58
; NumAgprs: 0
; TotalNumVgprs: 58
; ScratchSize: 0
; MemoryBound: 0
; FloatMode: 240
; IeeeMode: 1
; LDSByteSize: 3072 bytes/workgroup (compile time only)
; SGPRBlocks: 4
; VGPRBlocks: 7
; NumSGPRsForWavesPerEU: 36
; NumVGPRsForWavesPerEU: 58
; AccumOffset: 60
; Occupancy: 8
; WaveLimiterHint : 0
; COMPUTE_PGM_RSRC2:SCRATCH_EN: 0
; COMPUTE_PGM_RSRC2:USER_SGPR: 4
; COMPUTE_PGM_RSRC2:TRAP_HANDLER: 0
; COMPUTE_PGM_RSRC2:TGID_X_EN: 1
; COMPUTE_PGM_RSRC2:TGID_Y_EN: 1
; COMPUTE_PGM_RSRC2:TGID_Z_EN: 1
; COMPUTE_PGM_RSRC2:TIDIG_COMP_CNT: 2
; COMPUTE_PGM_RSRC3_GFX90A:ACCUM_OFFSET: 14
; COMPUTE_PGM_RSRC3_GFX90A:TG_SPLIT: 0
	.section	.text._ZL13mul_mat_vec_qIL9ggml_type16ELi3ELb0ELb0EEvPKvS2_PKi31ggml_cuda_mm_fusion_args_devicePfj15HIP_vector_typeIjLj3EEjjjS8_jjjS8_jjjj,"axG",@progbits,_ZL13mul_mat_vec_qIL9ggml_type16ELi3ELb0ELb0EEvPKvS2_PKi31ggml_cuda_mm_fusion_args_devicePfj15HIP_vector_typeIjLj3EEjjjS8_jjjS8_jjjj,comdat
	.globl	_ZL13mul_mat_vec_qIL9ggml_type16ELi3ELb0ELb0EEvPKvS2_PKi31ggml_cuda_mm_fusion_args_devicePfj15HIP_vector_typeIjLj3EEjjjS8_jjjS8_jjjj ; -- Begin function _ZL13mul_mat_vec_qIL9ggml_type16ELi3ELb0ELb0EEvPKvS2_PKi31ggml_cuda_mm_fusion_args_devicePfj15HIP_vector_typeIjLj3EEjjjS8_jjjS8_jjjj
	.p2align	8
	.type	_ZL13mul_mat_vec_qIL9ggml_type16ELi3ELb0ELb0EEvPKvS2_PKi31ggml_cuda_mm_fusion_args_devicePfj15HIP_vector_typeIjLj3EEjjjS8_jjjS8_jjjj,@function
_ZL13mul_mat_vec_qIL9ggml_type16ELi3ELb0ELb0EEvPKvS2_PKi31ggml_cuda_mm_fusion_args_devicePfj15HIP_vector_typeIjLj3EEjjjS8_jjjS8_jjjj: ; @_ZL13mul_mat_vec_qIL9ggml_type16ELi3ELb0ELb0EEvPKvS2_PKi31ggml_cuda_mm_fusion_args_devicePfj15HIP_vector_typeIjLj3EEjjjS8_jjjS8_jjjj
; %bb.0:
	v_bfe_u32 v38, v0, 10, 10
	v_and_b32_e32 v17, 0x3ff, v0
	v_lshl_add_u32 v4, v38, 6, v17
	s_load_dword s6, s[0:1], 0x40
	s_load_dwordx4 s[8:11], s[0:1], 0x50
	s_load_dword s27, s[0:1], 0x60
	s_load_dwordx4 s[12:15], s[0:1], 0x68
	;; [unrolled: 2-line block ×3, first 2 shown]
	s_lshl_b32 s5, s2, 1
	s_waitcnt lgkmcnt(0)
	s_lshr_b32 s2, s6, 8
	v_mov_b32_e32 v0, 0
	v_lshrrev_b32_e32 v39, 3, v4
	v_mov_b32_e32 v1, v0
	v_mov_b32_e32 v2, v0
	;; [unrolled: 1-line block ×3, first 2 shown]
	v_cmp_gt_u32_e32 vcc, s2, v39
	v_mov_b32_e32 v13, v0
	v_mov_b32_e32 v12, v0
	scratch_store_dwordx2 off, v[0:1], off offset:16
	scratch_store_dwordx4 off, v[0:3], off
	s_and_saveexec_b64 s[6:7], vcc
	s_cbranch_execz .LBB162_4
; %bb.1:
	s_load_dwordx4 s[20:23], s[0:1], 0x0
	s_mul_i32 s17, s4, s17
	s_mul_i32 s24, s17, 36
	;; [unrolled: 1-line block ×3, first 2 shown]
	s_mul_hi_u32 s19, s17, 36
	s_waitcnt lgkmcnt(0)
	s_add_u32 s24, s22, s24
	s_addc_u32 s19, s23, s19
	s_mul_i32 s28, s13, 36
	s_mul_hi_u32 s29, s13, 36
	s_add_u32 s24, s24, s28
	s_mul_hi_u32 s11, s11, s3
	s_addc_u32 s25, s19, s29
	s_add_i32 s11, s3, s11
	s_lshr_b32 s11, s11, s27
	s_mul_i32 s11, s11, s12
	s_mul_hi_u32 s12, s15, s4
	s_add_i32 s12, s4, s12
	s_lshr_b32 s12, s12, s26
	s_mul_i32 s12, s12, s16
	s_add_i32 s15, s12, s11
	s_add_i32 s12, s5, 1
	s_mul_i32 s13, s5, s8
	s_mul_i32 s8, s8, s12
	s_add_i32 s11, s15, s13
	s_add_i32 s15, s15, s8
	v_lshlrev_b32_e32 v1, 3, v39
	s_movk_i32 s8, 0x120
	v_mov_b64_e32 v[2:3], s[28:29]
	v_add_u32_e32 v40, s9, v1
	v_lshl_add_u32 v41, s9, 1, v1
	v_mad_u64_u32 v[2:3], s[8:9], v39, s8, v[2:3]
	v_lshlrev_b32_e32 v0, 1, v17
	v_and_b32_e32 v16, 7, v17
	v_mad_u64_u32 v[2:3], s[8:9], s17, 36, v[2:3]
	v_and_b32_e32 v0, 14, v0
	v_mad_u64_u32 v[2:3], s[8:9], v16, 36, v[2:3]
	v_lshlrev_b32_e32 v0, 1, v0
	v_mov_b32_e32 v15, 0
	v_lshl_add_u64 v[2:3], v[2:3], 0, s[22:23]
	v_lshl_add_u64 v[18:19], v[2:3], 0, 32
	s_mov_b64 s[8:9], 0
	s_movk_i32 s19, 0x42
	v_mov_b64_e32 v[20:21], s[20:21]
	v_lshlrev_b32_e32 v14, 1, v0
	s_mov_b32 s20, 0x1010101
	s_movk_i32 s21, 0xff00
	s_mov_b64 s[12:13], 0x1200
	v_mov_b32_e32 v42, 3
	v_mov_b32_e32 v43, 8
	v_mov_b32_e32 v0, v15
	v_mov_b32_e32 v1, v15
	v_mov_b32_e32 v2, v15
	v_mov_b32_e32 v3, v15
	v_mov_b32_e32 v12, v15
	v_mov_b32_e32 v13, v15
.LBB162_2:                              ; =>This Inner Loop Header: Depth=1
	v_add_u32_e32 v22, s11, v39
	v_mad_i64_i32 v[24:25], s[16:17], v22, s19, v[20:21]
	v_lshl_add_u64 v[22:23], v[24:25], 0, v[14:15]
	global_load_dword v46, v[18:19], off
	global_load_dwordx4 v[4:7], v[18:19], off offset:-16
	global_load_dwordx4 v[8:11], v[18:19], off offset:-32
	s_getpc_b64 s[16:17]
	s_add_u32 s16, s16, _ZL11iq2xxs_grid@rel32@lo+4
	s_addc_u32 s17, s17, _ZL11iq2xxs_grid@rel32@hi+12
	global_load_dwordx2 v[22:23], v[22:23], off offset:2
	v_mov_b32_e32 v47, 0
	v_lshl_add_u64 v[18:19], v[18:19], 0, s[12:13]
	s_waitcnt vmcnt(1)
	v_cvt_f32_f16_e32 v8, v8
	s_waitcnt vmcnt(0)
	v_lshlrev_b32_sdwa v26, v42, v22 dst_sel:DWORD dst_unused:UNUSED_PAD src0_sel:DWORD src1_sel:BYTE_0
	global_load_dwordx2 v[26:27], v26, s[16:17]
	v_and_b32_e32 v28, 0xff, v23
	v_bcnt_u32_b32 v29, v28, 0
	v_and_b32_e32 v29, 1, v29
	v_lshlrev_b32_e32 v29, 7, v29
	v_xor_b32_e32 v28, v29, v28
	v_mul_lo_u32 v28, v28, s20
	v_and_b32_e32 v29, 0x8000000, v28
	v_lshrrev_b32_e32 v31, 8, v28
	v_lshrrev_b16_e32 v32, 1, v31
	v_cmp_ne_u16_sdwa s[22:23], v29, v15 src0_sel:BYTE_3 src1_sel:DWORD
	v_and_b32_e32 v30, 1, v23
	v_bfe_i32 v32, v32, 0, 1
	v_lshrrev_b32_e32 v33, 18, v28
	v_cndmask_b32_e64 v29, 0, -1, s[22:23]
	v_sub_u16_e32 v30, 0, v30
	v_bfe_i32 v33, v33, 0, 1
	v_lshlrev_b16_e32 v29, 8, v29
	v_lshlrev_b16_e32 v32, 8, v32
	v_or_b32_sdwa v34, v33, v29 dst_sel:WORD_1 dst_unused:UNUSED_PAD src0_sel:BYTE_0 src1_sel:DWORD
	v_or_b32_sdwa v35, v30, v32 dst_sel:DWORD dst_unused:UNUSED_PAD src0_sel:BYTE_0 src1_sel:DWORD
	v_or_b32_sdwa v34, v35, v34 dst_sel:DWORD dst_unused:UNUSED_PAD src0_sel:WORD_0 src1_sel:DWORD
	v_lshlrev_b16_e32 v30, 8, v30
	v_bfe_i32 v53, v23, 7, 1
	v_bfe_i32 v56, v23, 14, 1
	s_waitcnt vmcnt(0)
	v_xor_b32_e32 v26, v26, v34
	v_and_b32_e32 v34, 0xffffff00, v26
	v_sub_i16 v32, v34, v32 clamp
	v_lshlrev_b16_e32 v34, 8, v26
	v_and_b32_e32 v32, 0xffffff00, v32
	v_sub_i16 v30, v34, v30 clamp
	v_or_b32_sdwa v30, v30, v32 dst_sel:DWORD dst_unused:UNUSED_PAD src0_sel:BYTE_1 src1_sel:DWORD
	v_and_b32_sdwa v32, v26, s21 dst_sel:DWORD dst_unused:UNUSED_PAD src0_sel:WORD_1 src1_sel:DWORD
	v_sub_i16 v29, v32, v29 clamp
	v_lshlrev_b16_sdwa v26, v43, v26 dst_sel:DWORD dst_unused:UNUSED_PAD src0_sel:DWORD src1_sel:WORD_1
	v_lshlrev_b16_e32 v32, 8, v33
	v_and_b32_e32 v29, 0xffffff00, v29
	v_sub_i16 v26, v26, v32 clamp
	v_or_b32_sdwa v26, v26, v29 dst_sel:WORD_1 dst_unused:UNUSED_PAD src0_sel:BYTE_1 src1_sel:DWORD
	v_bfe_i32 v29, v23, 4, 1
	v_or_b32_sdwa v44, v30, v26 dst_sel:DWORD dst_unused:UNUSED_PAD src0_sel:WORD_0 src1_sel:DWORD
	v_and_b32_e32 v26, 0x80000000, v28
	v_lshrrev_b16_e32 v30, 5, v31
	v_cmp_ne_u16_sdwa s[22:23], v26, v15 src0_sel:BYTE_3 src1_sel:DWORD
	v_bfe_i32 v30, v30, 0, 1
	v_lshrrev_b32_e32 v28, 22, v28
	v_cndmask_b32_e64 v26, 0, -1, s[22:23]
	v_bfe_i32 v28, v28, 0, 1
	v_lshlrev_b16_e32 v26, 8, v26
	v_lshlrev_b16_e32 v30, 8, v30
	v_or_b32_sdwa v31, v28, v26 dst_sel:WORD_1 dst_unused:UNUSED_PAD src0_sel:BYTE_0 src1_sel:DWORD
	v_or_b32_sdwa v32, v29, v30 dst_sel:DWORD dst_unused:UNUSED_PAD src0_sel:BYTE_0 src1_sel:DWORD
	v_or_b32_sdwa v31, v32, v31 dst_sel:DWORD dst_unused:UNUSED_PAD src0_sel:WORD_0 src1_sel:DWORD
	v_xor_b32_e32 v27, v27, v31
	v_and_b32_e32 v31, 0xffffff00, v27
	v_sub_i16 v30, v31, v30 clamp
	v_lshlrev_b16_e32 v31, 8, v27
	v_lshlrev_b16_e32 v29, 8, v29
	v_and_b32_e32 v30, 0xffffff00, v30
	v_sub_i16 v29, v31, v29 clamp
	v_or_b32_sdwa v29, v29, v30 dst_sel:DWORD dst_unused:UNUSED_PAD src0_sel:BYTE_1 src1_sel:DWORD
	v_and_b32_sdwa v30, v27, s21 dst_sel:DWORD dst_unused:UNUSED_PAD src0_sel:WORD_1 src1_sel:DWORD
	v_sub_i16 v26, v30, v26 clamp
	v_lshlrev_b16_sdwa v27, v43, v27 dst_sel:DWORD dst_unused:UNUSED_PAD src0_sel:DWORD src1_sel:WORD_1
	v_lshlrev_b16_e32 v28, 8, v28
	v_and_b32_e32 v26, 0xffffff00, v26
	v_sub_i16 v27, v27, v28 clamp
	v_or_b32_sdwa v26, v27, v26 dst_sel:WORD_1 dst_unused:UNUSED_PAD src0_sel:BYTE_1 src1_sel:DWORD
	v_dot4c_i32_i8_e32 v47, v44, v9
	v_or_b32_sdwa v45, v29, v26 dst_sel:DWORD dst_unused:UNUSED_PAD src0_sel:WORD_0 src1_sel:DWORD
	v_lshlrev_b32_sdwa v26, v42, v22 dst_sel:DWORD dst_unused:UNUSED_PAD src0_sel:DWORD src1_sel:BYTE_1
	global_load_dwordx2 v[36:37], v26, s[16:17]
	v_lshlrev_b32_sdwa v26, v42, v22 dst_sel:DWORD dst_unused:UNUSED_PAD src0_sel:DWORD src1_sel:BYTE_2
	v_lshlrev_b32_sdwa v22, v42, v22 dst_sel:DWORD dst_unused:UNUSED_PAD src0_sel:DWORD src1_sel:BYTE_3
	global_load_dwordx2 v[34:35], v26, s[16:17]
	global_load_dwordx2 v[32:33], v22, s[16:17]
	global_load_ushort v48, v[24:25], off
	v_add_u32_e32 v22, s15, v39
	v_mad_i64_i32 v[54:55], s[22:23], v22, s19, v[20:21]
	v_lshl_add_u64 v[24:25], v[54:55], 0, v[14:15]
	global_load_dwordx2 v[24:25], v[24:25], off offset:2
	v_dot4c_i32_i8_e32 v47, v45, v10
	v_add_u32_e32 v39, 16, v39
	v_cmp_le_u32_e32 vcc, s2, v39
	s_or_b64 s[8:9], vcc, s[8:9]
	s_waitcnt vmcnt(0)
	v_lshlrev_b32_sdwa v22, v42, v24 dst_sel:DWORD dst_unused:UNUSED_PAD src0_sel:DWORD src1_sel:BYTE_0
	global_load_dwordx2 v[26:27], v22, s[16:17]
	v_and_b32_e32 v22, 0xff, v25
	v_bcnt_u32_b32 v28, v22, 0
	v_and_b32_e32 v28, 1, v28
	v_lshlrev_b32_e32 v28, 7, v28
	v_xor_b32_e32 v22, v28, v22
	v_mul_lo_u32 v28, v22, s20
	v_and_b32_e32 v22, 0x8000000, v28
	v_lshrrev_b32_e32 v30, 8, v28
	v_lshrrev_b16_e32 v31, 1, v30
	v_cmp_ne_u16_sdwa s[22:23], v22, v15 src0_sel:BYTE_3 src1_sel:DWORD
	v_and_b32_e32 v29, 1, v25
	v_bfe_i32 v31, v31, 0, 1
	v_lshrrev_b32_e32 v49, 18, v28
	v_cndmask_b32_e64 v22, 0, -1, s[22:23]
	v_sub_u16_e32 v29, 0, v29
	v_bfe_i32 v49, v49, 0, 1
	v_lshlrev_b16_e32 v22, 8, v22
	v_lshlrev_b16_e32 v31, 8, v31
	v_or_b32_sdwa v50, v49, v22 dst_sel:WORD_1 dst_unused:UNUSED_PAD src0_sel:BYTE_0 src1_sel:DWORD
	v_or_b32_sdwa v51, v29, v31 dst_sel:DWORD dst_unused:UNUSED_PAD src0_sel:BYTE_0 src1_sel:DWORD
	v_or_b32_sdwa v50, v51, v50 dst_sel:DWORD dst_unused:UNUSED_PAD src0_sel:WORD_0 src1_sel:DWORD
	v_lshlrev_b16_e32 v29, 8, v29
	v_bfe_i32 v52, v25, 7, 1
	v_bfe_i32 v51, v25, 14, 1
	s_waitcnt vmcnt(0)
	v_xor_b32_e32 v26, v26, v50
	v_and_b32_e32 v50, 0xffffff00, v26
	v_sub_i16 v31, v50, v31 clamp
	v_lshlrev_b16_e32 v50, 8, v26
	v_and_b32_e32 v31, 0xffffff00, v31
	v_sub_i16 v29, v50, v29 clamp
	v_or_b32_sdwa v29, v29, v31 dst_sel:DWORD dst_unused:UNUSED_PAD src0_sel:BYTE_1 src1_sel:DWORD
	v_and_b32_sdwa v31, v26, s21 dst_sel:DWORD dst_unused:UNUSED_PAD src0_sel:WORD_1 src1_sel:DWORD
	v_sub_i16 v22, v31, v22 clamp
	v_lshlrev_b16_sdwa v26, v43, v26 dst_sel:DWORD dst_unused:UNUSED_PAD src0_sel:DWORD src1_sel:WORD_1
	v_lshlrev_b16_e32 v31, 8, v49
	v_and_b32_e32 v22, 0xffffff00, v22
	v_sub_i16 v26, v26, v31 clamp
	v_or_b32_sdwa v22, v26, v22 dst_sel:WORD_1 dst_unused:UNUSED_PAD src0_sel:BYTE_1 src1_sel:DWORD
	v_mov_b32_e32 v49, 0
	v_or_b32_sdwa v22, v29, v22 dst_sel:DWORD dst_unused:UNUSED_PAD src0_sel:WORD_0 src1_sel:DWORD
	v_dot4c_i32_i8_e32 v49, v22, v9
	v_and_b32_e32 v9, 0x80000000, v28
	v_lshrrev_b16_e32 v29, 5, v30
	v_cmp_ne_u16_sdwa s[22:23], v9, v15 src0_sel:BYTE_3 src1_sel:DWORD
	v_bfe_i32 v29, v29, 0, 1
	v_lshrrev_b32_e32 v28, 22, v28
	v_cndmask_b32_e64 v9, 0, -1, s[22:23]
	v_bfe_i32 v26, v25, 4, 1
	v_bfe_i32 v28, v28, 0, 1
	v_lshlrev_b16_e32 v9, 8, v9
	v_lshlrev_b16_e32 v29, 8, v29
	v_or_b32_sdwa v30, v28, v9 dst_sel:WORD_1 dst_unused:UNUSED_PAD src0_sel:BYTE_0 src1_sel:DWORD
	v_or_b32_sdwa v31, v26, v29 dst_sel:DWORD dst_unused:UNUSED_PAD src0_sel:BYTE_0 src1_sel:DWORD
	v_or_b32_sdwa v30, v31, v30 dst_sel:DWORD dst_unused:UNUSED_PAD src0_sel:WORD_0 src1_sel:DWORD
	v_xor_b32_e32 v27, v27, v30
	v_and_b32_e32 v30, 0xffffff00, v27
	v_sub_i16 v29, v30, v29 clamp
	v_lshlrev_b16_e32 v30, 8, v27
	v_lshlrev_b16_e32 v26, 8, v26
	v_and_b32_e32 v29, 0xffffff00, v29
	v_sub_i16 v26, v30, v26 clamp
	v_or_b32_sdwa v26, v26, v29 dst_sel:DWORD dst_unused:UNUSED_PAD src0_sel:BYTE_1 src1_sel:DWORD
	v_and_b32_sdwa v29, v27, s21 dst_sel:DWORD dst_unused:UNUSED_PAD src0_sel:WORD_1 src1_sel:DWORD
	v_sub_i16 v9, v29, v9 clamp
	v_lshlrev_b16_sdwa v27, v43, v27 dst_sel:DWORD dst_unused:UNUSED_PAD src0_sel:DWORD src1_sel:WORD_1
	v_lshlrev_b16_e32 v28, 8, v28
	v_and_b32_e32 v9, 0xffffff00, v9
	v_sub_i16 v27, v27, v28 clamp
	v_or_b32_sdwa v9, v27, v9 dst_sel:WORD_1 dst_unused:UNUSED_PAD src0_sel:BYTE_1 src1_sel:DWORD
	s_nop 0
	v_or_b32_sdwa v9, v26, v9 dst_sel:DWORD dst_unused:UNUSED_PAD src0_sel:WORD_0 src1_sel:DWORD
	v_dot4c_i32_i8_e32 v49, v9, v10
	v_lshlrev_b32_sdwa v10, v42, v24 dst_sel:DWORD dst_unused:UNUSED_PAD src0_sel:DWORD src1_sel:BYTE_1
	global_load_dwordx2 v[30:31], v10, s[16:17]
	v_lshlrev_b32_sdwa v10, v42, v24 dst_sel:DWORD dst_unused:UNUSED_PAD src0_sel:DWORD src1_sel:BYTE_2
	global_load_dwordx2 v[28:29], v10, s[16:17]
	v_lshlrev_b32_sdwa v10, v42, v24 dst_sel:DWORD dst_unused:UNUSED_PAD src0_sel:DWORD src1_sel:BYTE_3
	global_load_dwordx2 v[26:27], v10, s[16:17]
	global_load_ushort v50, v[54:55], off
	v_bfe_u32 v10, v23, 7, 8
	v_bcnt_u32_b32 v24, v10, 0
	v_and_b32_e32 v24, 1, v24
	v_lshlrev_b32_e32 v24, 7, v24
	v_xor_b32_e32 v10, v24, v10
	v_mul_lo_u32 v24, v10, s20
	v_and_b32_e32 v10, 0x8000000, v24
	v_lshrrev_b32_e32 v54, 8, v24
	v_lshrrev_b16_e32 v55, 1, v54
	v_cmp_ne_u16_sdwa s[16:17], v10, v15 src0_sel:BYTE_3 src1_sel:DWORD
	v_bfe_i32 v55, v55, 0, 1
	v_lshrrev_b32_e32 v57, 18, v24
	v_cndmask_b32_e64 v10, 0, -1, s[16:17]
	v_bfe_i32 v57, v57, 0, 1
	v_lshlrev_b16_e32 v10, 8, v10
	v_lshlrev_b16_e32 v55, 8, v55
	v_or_b32_sdwa v58, v57, v10 dst_sel:WORD_1 dst_unused:UNUSED_PAD src0_sel:BYTE_0 src1_sel:DWORD
	v_or_b32_sdwa v59, v53, v55 dst_sel:DWORD dst_unused:UNUSED_PAD src0_sel:BYTE_0 src1_sel:DWORD
	v_or_b32_sdwa v58, v59, v58 dst_sel:DWORD dst_unused:UNUSED_PAD src0_sel:WORD_0 src1_sel:DWORD
	v_xor_b32_e32 v36, v36, v58
	v_and_b32_e32 v58, 0xffffff00, v36
	v_sub_i16 v55, v58, v55 clamp
	v_lshlrev_b16_e32 v58, 8, v36
	v_lshlrev_b16_e32 v53, 8, v53
	v_and_b32_e32 v55, 0xffffff00, v55
	v_sub_i16 v53, v58, v53 clamp
	v_or_b32_sdwa v53, v53, v55 dst_sel:DWORD dst_unused:UNUSED_PAD src0_sel:BYTE_1 src1_sel:DWORD
	v_and_b32_sdwa v55, v36, s21 dst_sel:DWORD dst_unused:UNUSED_PAD src0_sel:WORD_1 src1_sel:DWORD
	v_sub_i16 v10, v55, v10 clamp
	v_lshlrev_b16_sdwa v36, v43, v36 dst_sel:DWORD dst_unused:UNUSED_PAD src0_sel:DWORD src1_sel:WORD_1
	v_lshlrev_b16_e32 v55, 8, v57
	v_and_b32_e32 v10, 0xffffff00, v10
	v_sub_i16 v36, v36, v55 clamp
	v_or_b32_sdwa v10, v36, v10 dst_sel:WORD_1 dst_unused:UNUSED_PAD src0_sel:BYTE_1 src1_sel:DWORD
	v_and_b32_e32 v36, 0x80000000, v24
	v_lshrrev_b16_e32 v54, 5, v54
	v_cmp_ne_u16_sdwa s[16:17], v36, v15 src0_sel:BYTE_3 src1_sel:DWORD
	v_bfe_i32 v54, v54, 0, 1
	v_lshrrev_b32_e32 v24, 22, v24
	v_cndmask_b32_e64 v36, 0, -1, s[16:17]
	v_or_b32_sdwa v10, v53, v10 dst_sel:DWORD dst_unused:UNUSED_PAD src0_sel:WORD_0 src1_sel:DWORD
	v_bfe_i32 v53, v23, 11, 1
	v_bfe_i32 v24, v24, 0, 1
	v_lshlrev_b16_e32 v36, 8, v36
	v_lshlrev_b16_e32 v54, 8, v54
	v_or_b32_sdwa v55, v24, v36 dst_sel:WORD_1 dst_unused:UNUSED_PAD src0_sel:BYTE_0 src1_sel:DWORD
	v_or_b32_sdwa v57, v53, v54 dst_sel:DWORD dst_unused:UNUSED_PAD src0_sel:BYTE_0 src1_sel:DWORD
	v_or_b32_sdwa v55, v57, v55 dst_sel:DWORD dst_unused:UNUSED_PAD src0_sel:WORD_0 src1_sel:DWORD
	v_xor_b32_e32 v37, v37, v55
	v_and_b32_e32 v55, 0xffffff00, v37
	v_sub_i16 v54, v55, v54 clamp
	v_lshlrev_b16_e32 v55, 8, v37
	v_lshlrev_b16_e32 v53, 8, v53
	v_and_b32_e32 v54, 0xffffff00, v54
	v_sub_i16 v53, v55, v53 clamp
	v_or_b32_sdwa v53, v53, v54 dst_sel:DWORD dst_unused:UNUSED_PAD src0_sel:BYTE_1 src1_sel:DWORD
	v_and_b32_sdwa v54, v37, s21 dst_sel:DWORD dst_unused:UNUSED_PAD src0_sel:WORD_1 src1_sel:DWORD
	v_sub_i16 v36, v54, v36 clamp
	v_lshlrev_b16_sdwa v37, v43, v37 dst_sel:DWORD dst_unused:UNUSED_PAD src0_sel:DWORD src1_sel:WORD_1
	v_lshlrev_b16_e32 v24, 8, v24
	v_and_b32_e32 v36, 0xffffff00, v36
	v_sub_i16 v24, v37, v24 clamp
	v_or_b32_sdwa v24, v24, v36 dst_sel:WORD_1 dst_unused:UNUSED_PAD src0_sel:BYTE_1 src1_sel:DWORD
	v_bfe_u32 v36, v23, 14, 8
	v_bcnt_u32_b32 v37, v36, 0
	v_and_b32_e32 v37, 1, v37
	v_lshlrev_b32_e32 v37, 7, v37
	v_xor_b32_e32 v36, v37, v36
	v_mul_lo_u32 v36, v36, s20
	v_or_b32_sdwa v24, v53, v24 dst_sel:DWORD dst_unused:UNUSED_PAD src0_sel:WORD_0 src1_sel:DWORD
	v_and_b32_e32 v37, 0x8000000, v36
	v_lshrrev_b32_e32 v53, 8, v36
	v_lshrrev_b16_e32 v54, 1, v53
	v_cmp_ne_u16_sdwa s[16:17], v37, v15 src0_sel:BYTE_3 src1_sel:DWORD
	v_bfe_i32 v54, v54, 0, 1
	v_lshrrev_b32_e32 v55, 18, v36
	v_cndmask_b32_e64 v37, 0, -1, s[16:17]
	v_bfe_i32 v55, v55, 0, 1
	v_lshlrev_b16_e32 v37, 8, v37
	v_lshlrev_b16_e32 v54, 8, v54
	v_or_b32_sdwa v57, v55, v37 dst_sel:WORD_1 dst_unused:UNUSED_PAD src0_sel:BYTE_0 src1_sel:DWORD
	v_or_b32_sdwa v58, v56, v54 dst_sel:DWORD dst_unused:UNUSED_PAD src0_sel:BYTE_0 src1_sel:DWORD
	v_or_b32_sdwa v57, v58, v57 dst_sel:DWORD dst_unused:UNUSED_PAD src0_sel:WORD_0 src1_sel:DWORD
	v_xor_b32_e32 v34, v34, v57
	v_and_b32_e32 v57, 0xffffff00, v34
	v_sub_i16 v54, v57, v54 clamp
	v_lshlrev_b16_e32 v57, 8, v34
	v_lshlrev_b16_e32 v56, 8, v56
	v_and_b32_e32 v54, 0xffffff00, v54
	v_sub_i16 v56, v57, v56 clamp
	v_or_b32_sdwa v54, v56, v54 dst_sel:DWORD dst_unused:UNUSED_PAD src0_sel:BYTE_1 src1_sel:DWORD
	v_and_b32_sdwa v56, v34, s21 dst_sel:DWORD dst_unused:UNUSED_PAD src0_sel:WORD_1 src1_sel:DWORD
	v_sub_i16 v37, v56, v37 clamp
	v_lshlrev_b16_sdwa v34, v43, v34 dst_sel:DWORD dst_unused:UNUSED_PAD src0_sel:DWORD src1_sel:WORD_1
	v_lshlrev_b16_e32 v55, 8, v55
	v_and_b32_e32 v37, 0xffffff00, v37
	v_sub_i16 v34, v34, v55 clamp
	v_or_b32_sdwa v34, v34, v37 dst_sel:WORD_1 dst_unused:UNUSED_PAD src0_sel:BYTE_1 src1_sel:DWORD
	v_and_b32_e32 v37, 0x80000000, v36
	v_lshrrev_b16_e32 v53, 5, v53
	v_cmp_ne_u16_sdwa s[16:17], v37, v15 src0_sel:BYTE_3 src1_sel:DWORD
	v_bfe_i32 v53, v53, 0, 1
	v_lshrrev_b32_e32 v36, 22, v36
	v_cndmask_b32_e64 v37, 0, -1, s[16:17]
	v_or_b32_sdwa v34, v54, v34 dst_sel:DWORD dst_unused:UNUSED_PAD src0_sel:WORD_0 src1_sel:DWORD
	v_bfe_i32 v54, v23, 18, 1
	v_bfe_i32 v36, v36, 0, 1
	v_lshlrev_b16_e32 v37, 8, v37
	v_lshlrev_b16_e32 v53, 8, v53
	v_or_b32_sdwa v55, v36, v37 dst_sel:WORD_1 dst_unused:UNUSED_PAD src0_sel:BYTE_0 src1_sel:DWORD
	v_or_b32_sdwa v56, v54, v53 dst_sel:DWORD dst_unused:UNUSED_PAD src0_sel:BYTE_0 src1_sel:DWORD
	v_or_b32_sdwa v55, v56, v55 dst_sel:DWORD dst_unused:UNUSED_PAD src0_sel:WORD_0 src1_sel:DWORD
	v_xor_b32_e32 v35, v35, v55
	v_and_b32_e32 v55, 0xffffff00, v35
	v_sub_i16 v53, v55, v53 clamp
	v_lshlrev_b16_e32 v55, 8, v35
	v_lshlrev_b16_e32 v54, 8, v54
	v_and_b32_e32 v53, 0xffffff00, v53
	v_sub_i16 v54, v55, v54 clamp
	v_or_b32_sdwa v53, v54, v53 dst_sel:DWORD dst_unused:UNUSED_PAD src0_sel:BYTE_1 src1_sel:DWORD
	v_and_b32_sdwa v54, v35, s21 dst_sel:DWORD dst_unused:UNUSED_PAD src0_sel:WORD_1 src1_sel:DWORD
	v_sub_i16 v37, v54, v37 clamp
	v_lshlrev_b16_sdwa v35, v43, v35 dst_sel:DWORD dst_unused:UNUSED_PAD src0_sel:DWORD src1_sel:WORD_1
	v_lshlrev_b16_e32 v36, 8, v36
	v_and_b32_e32 v37, 0xffffff00, v37
	v_sub_i16 v35, v35, v36 clamp
	v_bfe_u32 v36, v23, 21, 8
	v_or_b32_sdwa v35, v35, v37 dst_sel:WORD_1 dst_unused:UNUSED_PAD src0_sel:BYTE_1 src1_sel:DWORD
	v_bcnt_u32_b32 v37, v36, 0
	v_and_b32_e32 v37, 1, v37
	v_lshlrev_b32_e32 v37, 7, v37
	v_xor_b32_e32 v36, v37, v36
	v_mul_lo_u32 v36, v36, s20
	v_and_b32_e32 v37, 0x8000000, v36
	v_lshrrev_b32_e32 v54, 8, v36
	v_lshrrev_b16_e32 v55, 1, v54
	v_cmp_ne_u16_sdwa s[16:17], v37, v15 src0_sel:BYTE_3 src1_sel:DWORD
	v_bfe_i32 v55, v55, 0, 1
	v_lshrrev_b32_e32 v56, 18, v36
	v_cndmask_b32_e64 v37, 0, -1, s[16:17]
	v_or_b32_sdwa v35, v53, v35 dst_sel:DWORD dst_unused:UNUSED_PAD src0_sel:WORD_0 src1_sel:DWORD
	v_bfe_i32 v53, v23, 21, 1
	v_bfe_i32 v56, v56, 0, 1
	v_lshlrev_b16_e32 v37, 8, v37
	v_lshlrev_b16_e32 v55, 8, v55
	v_or_b32_sdwa v57, v56, v37 dst_sel:WORD_1 dst_unused:UNUSED_PAD src0_sel:BYTE_0 src1_sel:DWORD
	v_or_b32_sdwa v58, v53, v55 dst_sel:DWORD dst_unused:UNUSED_PAD src0_sel:BYTE_0 src1_sel:DWORD
	v_or_b32_sdwa v57, v58, v57 dst_sel:DWORD dst_unused:UNUSED_PAD src0_sel:WORD_0 src1_sel:DWORD
	v_xor_b32_e32 v32, v32, v57
	v_and_b32_e32 v57, 0xffffff00, v32
	v_sub_i16 v55, v57, v55 clamp
	v_lshlrev_b16_e32 v57, 8, v32
	v_lshlrev_b16_e32 v53, 8, v53
	v_and_b32_e32 v55, 0xffffff00, v55
	v_sub_i16 v53, v57, v53 clamp
	v_or_b32_sdwa v53, v53, v55 dst_sel:DWORD dst_unused:UNUSED_PAD src0_sel:BYTE_1 src1_sel:DWORD
	v_and_b32_sdwa v55, v32, s21 dst_sel:DWORD dst_unused:UNUSED_PAD src0_sel:WORD_1 src1_sel:DWORD
	v_sub_i16 v37, v55, v37 clamp
	v_lshlrev_b16_sdwa v32, v43, v32 dst_sel:DWORD dst_unused:UNUSED_PAD src0_sel:DWORD src1_sel:WORD_1
	v_lshlrev_b16_e32 v55, 8, v56
	v_and_b32_e32 v37, 0xffffff00, v37
	v_sub_i16 v32, v32, v55 clamp
	v_or_b32_sdwa v32, v32, v37 dst_sel:WORD_1 dst_unused:UNUSED_PAD src0_sel:BYTE_1 src1_sel:DWORD
	v_and_b32_e32 v37, 0x80000000, v36
	v_lshrrev_b16_e32 v54, 5, v54
	v_cmp_ne_u16_sdwa s[16:17], v37, v15 src0_sel:BYTE_3 src1_sel:DWORD
	v_bfe_i32 v54, v54, 0, 1
	v_lshrrev_b32_e32 v36, 22, v36
	v_cndmask_b32_e64 v37, 0, -1, s[16:17]
	v_or_b32_sdwa v32, v53, v32 dst_sel:DWORD dst_unused:UNUSED_PAD src0_sel:WORD_0 src1_sel:DWORD
	v_bfe_i32 v53, v23, 25, 1
	v_bfe_i32 v36, v36, 0, 1
	v_lshlrev_b16_e32 v37, 8, v37
	v_lshlrev_b16_e32 v54, 8, v54
	v_or_b32_sdwa v55, v36, v37 dst_sel:WORD_1 dst_unused:UNUSED_PAD src0_sel:BYTE_0 src1_sel:DWORD
	v_or_b32_sdwa v56, v53, v54 dst_sel:DWORD dst_unused:UNUSED_PAD src0_sel:BYTE_0 src1_sel:DWORD
	v_or_b32_sdwa v55, v56, v55 dst_sel:DWORD dst_unused:UNUSED_PAD src0_sel:WORD_0 src1_sel:DWORD
	v_xor_b32_e32 v33, v33, v55
	v_and_b32_e32 v55, 0xffffff00, v33
	v_sub_i16 v54, v55, v54 clamp
	v_lshlrev_b16_e32 v55, 8, v33
	v_lshlrev_b16_e32 v53, 8, v53
	v_and_b32_e32 v54, 0xffffff00, v54
	v_sub_i16 v53, v55, v53 clamp
	v_or_b32_sdwa v53, v53, v54 dst_sel:DWORD dst_unused:UNUSED_PAD src0_sel:BYTE_1 src1_sel:DWORD
	v_and_b32_sdwa v54, v33, s21 dst_sel:DWORD dst_unused:UNUSED_PAD src0_sel:WORD_1 src1_sel:DWORD
	v_sub_i16 v37, v54, v37 clamp
	v_lshlrev_b16_sdwa v33, v43, v33 dst_sel:DWORD dst_unused:UNUSED_PAD src0_sel:DWORD src1_sel:WORD_1
	v_lshlrev_b16_e32 v36, 8, v36
	v_and_b32_e32 v37, 0xffffff00, v37
	v_sub_i16 v33, v33, v36 clamp
	v_bfe_u32 v36, v25, 7, 8
	v_or_b32_sdwa v33, v33, v37 dst_sel:WORD_1 dst_unused:UNUSED_PAD src0_sel:BYTE_1 src1_sel:DWORD
	v_bcnt_u32_b32 v37, v36, 0
	v_and_b32_e32 v37, 1, v37
	v_lshlrev_b32_e32 v37, 7, v37
	v_xor_b32_e32 v36, v37, v36
	v_mul_lo_u32 v36, v36, s20
	v_or_b32_sdwa v33, v53, v33 dst_sel:DWORD dst_unused:UNUSED_PAD src0_sel:WORD_0 src1_sel:DWORD
	v_and_b32_e32 v37, 0x8000000, v36
	v_lshrrev_b32_e32 v53, 8, v36
	v_lshrrev_b16_e32 v54, 1, v53
	v_cmp_ne_u16_sdwa s[16:17], v37, v15 src0_sel:BYTE_3 src1_sel:DWORD
	v_bfe_i32 v54, v54, 0, 1
	v_lshrrev_b32_e32 v55, 18, v36
	v_cndmask_b32_e64 v37, 0, -1, s[16:17]
	v_bfe_i32 v55, v55, 0, 1
	v_lshlrev_b16_e32 v37, 8, v37
	v_lshlrev_b16_e32 v54, 8, v54
	v_or_b32_sdwa v56, v55, v37 dst_sel:WORD_1 dst_unused:UNUSED_PAD src0_sel:BYTE_0 src1_sel:DWORD
	v_or_b32_sdwa v57, v52, v54 dst_sel:DWORD dst_unused:UNUSED_PAD src0_sel:BYTE_0 src1_sel:DWORD
	v_or_b32_sdwa v56, v57, v56 dst_sel:DWORD dst_unused:UNUSED_PAD src0_sel:WORD_0 src1_sel:DWORD
	s_waitcnt vmcnt(3)
	v_xor_b32_e32 v30, v30, v56
	v_and_b32_e32 v56, 0xffffff00, v30
	v_sub_i16 v54, v56, v54 clamp
	v_lshlrev_b16_e32 v56, 8, v30
	v_lshlrev_b16_e32 v52, 8, v52
	v_and_b32_e32 v54, 0xffffff00, v54
	v_sub_i16 v52, v56, v52 clamp
	v_or_b32_sdwa v52, v52, v54 dst_sel:DWORD dst_unused:UNUSED_PAD src0_sel:BYTE_1 src1_sel:DWORD
	v_and_b32_sdwa v54, v30, s21 dst_sel:DWORD dst_unused:UNUSED_PAD src0_sel:WORD_1 src1_sel:DWORD
	v_sub_i16 v37, v54, v37 clamp
	v_lshlrev_b16_sdwa v30, v43, v30 dst_sel:DWORD dst_unused:UNUSED_PAD src0_sel:DWORD src1_sel:WORD_1
	v_lshlrev_b16_e32 v54, 8, v55
	v_and_b32_e32 v37, 0xffffff00, v37
	v_sub_i16 v30, v30, v54 clamp
	v_or_b32_sdwa v30, v30, v37 dst_sel:WORD_1 dst_unused:UNUSED_PAD src0_sel:BYTE_1 src1_sel:DWORD
	v_dot4c_i32_i8_e32 v47, v10, v11
	v_or_b32_sdwa v30, v52, v30 dst_sel:DWORD dst_unused:UNUSED_PAD src0_sel:WORD_0 src1_sel:DWORD
	v_dot4c_i32_i8_e32 v49, v30, v11
	v_and_b32_e32 v11, 0x80000000, v36
	v_lshrrev_b16_e32 v52, 5, v53
	v_cmp_ne_u16_sdwa s[16:17], v11, v15 src0_sel:BYTE_3 src1_sel:DWORD
	v_bfe_i32 v52, v52, 0, 1
	v_lshrrev_b32_e32 v36, 22, v36
	v_cndmask_b32_e64 v11, 0, -1, s[16:17]
	v_bfe_i32 v37, v25, 11, 1
	v_bfe_i32 v36, v36, 0, 1
	v_lshlrev_b16_e32 v11, 8, v11
	v_lshlrev_b16_e32 v52, 8, v52
	v_or_b32_sdwa v53, v36, v11 dst_sel:WORD_1 dst_unused:UNUSED_PAD src0_sel:BYTE_0 src1_sel:DWORD
	v_or_b32_sdwa v54, v37, v52 dst_sel:DWORD dst_unused:UNUSED_PAD src0_sel:BYTE_0 src1_sel:DWORD
	v_or_b32_sdwa v53, v54, v53 dst_sel:DWORD dst_unused:UNUSED_PAD src0_sel:WORD_0 src1_sel:DWORD
	v_xor_b32_e32 v31, v31, v53
	v_and_b32_e32 v53, 0xffffff00, v31
	v_sub_i16 v52, v53, v52 clamp
	v_lshlrev_b16_e32 v53, 8, v31
	v_lshlrev_b16_e32 v37, 8, v37
	v_and_b32_e32 v52, 0xffffff00, v52
	v_sub_i16 v37, v53, v37 clamp
	v_or_b32_sdwa v37, v37, v52 dst_sel:DWORD dst_unused:UNUSED_PAD src0_sel:BYTE_1 src1_sel:DWORD
	v_and_b32_sdwa v52, v31, s21 dst_sel:DWORD dst_unused:UNUSED_PAD src0_sel:WORD_1 src1_sel:DWORD
	v_sub_i16 v11, v52, v11 clamp
	v_lshlrev_b16_sdwa v31, v43, v31 dst_sel:DWORD dst_unused:UNUSED_PAD src0_sel:DWORD src1_sel:WORD_1
	v_lshlrev_b16_e32 v36, 8, v36
	v_and_b32_e32 v11, 0xffffff00, v11
	v_sub_i16 v31, v31, v36 clamp
	v_or_b32_sdwa v11, v31, v11 dst_sel:WORD_1 dst_unused:UNUSED_PAD src0_sel:BYTE_1 src1_sel:DWORD
	v_dot4c_i32_i8_e32 v47, v24, v4
	v_or_b32_sdwa v11, v37, v11 dst_sel:DWORD dst_unused:UNUSED_PAD src0_sel:WORD_0 src1_sel:DWORD
	v_dot4c_i32_i8_e32 v49, v11, v4
	v_bfe_u32 v4, v25, 14, 8
	v_bcnt_u32_b32 v31, v4, 0
	v_and_b32_e32 v31, 1, v31
	v_lshlrev_b32_e32 v31, 7, v31
	v_xor_b32_e32 v4, v31, v4
	v_mul_lo_u32 v4, v4, s20
	v_and_b32_e32 v31, 0x8000000, v4
	v_lshrrev_b32_e32 v36, 8, v4
	v_lshrrev_b16_e32 v37, 1, v36
	v_cmp_ne_u16_sdwa s[16:17], v31, v15 src0_sel:BYTE_3 src1_sel:DWORD
	v_bfe_i32 v37, v37, 0, 1
	v_lshrrev_b32_e32 v52, 18, v4
	v_cndmask_b32_e64 v31, 0, -1, s[16:17]
	v_bfe_i32 v52, v52, 0, 1
	v_lshlrev_b16_e32 v31, 8, v31
	v_lshlrev_b16_e32 v37, 8, v37
	v_or_b32_sdwa v53, v52, v31 dst_sel:WORD_1 dst_unused:UNUSED_PAD src0_sel:BYTE_0 src1_sel:DWORD
	v_or_b32_sdwa v54, v51, v37 dst_sel:DWORD dst_unused:UNUSED_PAD src0_sel:BYTE_0 src1_sel:DWORD
	v_or_b32_sdwa v53, v54, v53 dst_sel:DWORD dst_unused:UNUSED_PAD src0_sel:WORD_0 src1_sel:DWORD
	s_waitcnt vmcnt(2)
	v_xor_b32_e32 v28, v28, v53
	v_and_b32_e32 v53, 0xffffff00, v28
	v_sub_i16 v37, v53, v37 clamp
	v_lshlrev_b16_e32 v53, 8, v28
	v_lshlrev_b16_e32 v51, 8, v51
	v_and_b32_e32 v37, 0xffffff00, v37
	v_sub_i16 v51, v53, v51 clamp
	v_or_b32_sdwa v37, v51, v37 dst_sel:DWORD dst_unused:UNUSED_PAD src0_sel:BYTE_1 src1_sel:DWORD
	v_and_b32_sdwa v51, v28, s21 dst_sel:DWORD dst_unused:UNUSED_PAD src0_sel:WORD_1 src1_sel:DWORD
	v_sub_i16 v31, v51, v31 clamp
	v_lshlrev_b16_sdwa v28, v43, v28 dst_sel:DWORD dst_unused:UNUSED_PAD src0_sel:DWORD src1_sel:WORD_1
	v_lshlrev_b16_e32 v51, 8, v52
	v_and_b32_e32 v31, 0xffffff00, v31
	v_sub_i16 v28, v28, v51 clamp
	v_or_b32_sdwa v28, v28, v31 dst_sel:WORD_1 dst_unused:UNUSED_PAD src0_sel:BYTE_1 src1_sel:DWORD
	v_dot4c_i32_i8_e32 v47, v34, v5
	v_or_b32_sdwa v31, v37, v28 dst_sel:DWORD dst_unused:UNUSED_PAD src0_sel:WORD_0 src1_sel:DWORD
	v_dot4c_i32_i8_e32 v49, v31, v5
	v_and_b32_e32 v5, 0x80000000, v4
	v_lshrrev_b16_e32 v36, 5, v36
	v_cmp_ne_u16_sdwa s[16:17], v5, v15 src0_sel:BYTE_3 src1_sel:DWORD
	v_bfe_i32 v36, v36, 0, 1
	v_lshrrev_b32_e32 v4, 22, v4
	v_cndmask_b32_e64 v5, 0, -1, s[16:17]
	v_bfe_i32 v28, v25, 18, 1
	v_bfe_i32 v4, v4, 0, 1
	v_lshlrev_b16_e32 v5, 8, v5
	v_lshlrev_b16_e32 v36, 8, v36
	v_or_b32_sdwa v37, v4, v5 dst_sel:WORD_1 dst_unused:UNUSED_PAD src0_sel:BYTE_0 src1_sel:DWORD
	v_or_b32_sdwa v51, v28, v36 dst_sel:DWORD dst_unused:UNUSED_PAD src0_sel:BYTE_0 src1_sel:DWORD
	v_or_b32_sdwa v37, v51, v37 dst_sel:DWORD dst_unused:UNUSED_PAD src0_sel:WORD_0 src1_sel:DWORD
	v_xor_b32_e32 v29, v29, v37
	v_and_b32_e32 v37, 0xffffff00, v29
	v_sub_i16 v36, v37, v36 clamp
	v_lshlrev_b16_e32 v37, 8, v29
	v_lshlrev_b16_e32 v28, 8, v28
	v_and_b32_e32 v36, 0xffffff00, v36
	v_sub_i16 v28, v37, v28 clamp
	v_or_b32_sdwa v28, v28, v36 dst_sel:DWORD dst_unused:UNUSED_PAD src0_sel:BYTE_1 src1_sel:DWORD
	v_and_b32_sdwa v36, v29, s21 dst_sel:DWORD dst_unused:UNUSED_PAD src0_sel:WORD_1 src1_sel:DWORD
	v_sub_i16 v5, v36, v5 clamp
	v_lshlrev_b16_sdwa v29, v43, v29 dst_sel:DWORD dst_unused:UNUSED_PAD src0_sel:DWORD src1_sel:WORD_1
	v_lshlrev_b16_e32 v4, 8, v4
	v_and_b32_e32 v5, 0xffffff00, v5
	v_sub_i16 v4, v29, v4 clamp
	v_or_b32_sdwa v4, v4, v5 dst_sel:WORD_1 dst_unused:UNUSED_PAD src0_sel:BYTE_1 src1_sel:DWORD
	v_dot4c_i32_i8_e32 v47, v35, v6
	v_or_b32_sdwa v36, v28, v4 dst_sel:DWORD dst_unused:UNUSED_PAD src0_sel:WORD_0 src1_sel:DWORD
	v_bfe_u32 v4, v25, 21, 8
	v_bcnt_u32_b32 v5, v4, 0
	v_and_b32_e32 v5, 1, v5
	v_lshlrev_b32_e32 v5, 7, v5
	v_xor_b32_e32 v4, v5, v4
	v_mul_lo_u32 v4, v4, s20
	v_and_b32_e32 v5, 0x8000000, v4
	v_lshrrev_b32_e32 v28, 8, v4
	v_lshrrev_b16_e32 v29, 1, v28
	v_cmp_ne_u16_sdwa s[16:17], v5, v15 src0_sel:BYTE_3 src1_sel:DWORD
	v_bfe_i32 v29, v29, 0, 1
	v_lshrrev_b32_e32 v37, 18, v4
	v_cndmask_b32_e64 v5, 0, -1, s[16:17]
	v_dot4c_i32_i8_e32 v49, v36, v6
	v_bfe_i32 v6, v25, 21, 1
	v_bfe_i32 v37, v37, 0, 1
	v_lshlrev_b16_e32 v5, 8, v5
	v_lshlrev_b16_e32 v29, 8, v29
	v_or_b32_sdwa v51, v37, v5 dst_sel:WORD_1 dst_unused:UNUSED_PAD src0_sel:BYTE_0 src1_sel:DWORD
	v_or_b32_sdwa v52, v6, v29 dst_sel:DWORD dst_unused:UNUSED_PAD src0_sel:BYTE_0 src1_sel:DWORD
	v_or_b32_sdwa v51, v52, v51 dst_sel:DWORD dst_unused:UNUSED_PAD src0_sel:WORD_0 src1_sel:DWORD
	s_waitcnt vmcnt(1)
	v_xor_b32_e32 v26, v26, v51
	v_and_b32_e32 v51, 0xffffff00, v26
	v_sub_i16 v29, v51, v29 clamp
	v_lshlrev_b16_e32 v51, 8, v26
	v_lshlrev_b16_e32 v6, 8, v6
	v_and_b32_e32 v29, 0xffffff00, v29
	v_sub_i16 v6, v51, v6 clamp
	v_or_b32_sdwa v6, v6, v29 dst_sel:DWORD dst_unused:UNUSED_PAD src0_sel:BYTE_1 src1_sel:DWORD
	v_and_b32_sdwa v29, v26, s21 dst_sel:DWORD dst_unused:UNUSED_PAD src0_sel:WORD_1 src1_sel:DWORD
	v_sub_i16 v5, v29, v5 clamp
	v_lshlrev_b16_sdwa v26, v43, v26 dst_sel:DWORD dst_unused:UNUSED_PAD src0_sel:DWORD src1_sel:WORD_1
	v_lshlrev_b16_e32 v29, 8, v37
	v_and_b32_e32 v5, 0xffffff00, v5
	v_sub_i16 v26, v26, v29 clamp
	v_or_b32_sdwa v5, v26, v5 dst_sel:WORD_1 dst_unused:UNUSED_PAD src0_sel:BYTE_1 src1_sel:DWORD
	v_dot4c_i32_i8_e32 v47, v32, v7
	v_or_b32_sdwa v37, v6, v5 dst_sel:DWORD dst_unused:UNUSED_PAD src0_sel:WORD_0 src1_sel:DWORD
	v_and_b32_e32 v5, 0x80000000, v4
	v_dot4c_i32_i8_e32 v49, v37, v7
	v_lshrrev_b16_e32 v7, 5, v28
	v_cmp_ne_u16_sdwa s[16:17], v5, v15 src0_sel:BYTE_3 src1_sel:DWORD
	v_bfe_i32 v7, v7, 0, 1
	v_lshrrev_b32_e32 v4, 22, v4
	v_cndmask_b32_e64 v5, 0, -1, s[16:17]
	v_bfe_i32 v6, v25, 25, 1
	v_bfe_i32 v4, v4, 0, 1
	v_lshlrev_b16_e32 v5, 8, v5
	v_lshlrev_b16_e32 v7, 8, v7
	v_or_b32_sdwa v26, v4, v5 dst_sel:WORD_1 dst_unused:UNUSED_PAD src0_sel:BYTE_0 src1_sel:DWORD
	v_or_b32_sdwa v28, v6, v7 dst_sel:DWORD dst_unused:UNUSED_PAD src0_sel:BYTE_0 src1_sel:DWORD
	v_or_b32_sdwa v26, v28, v26 dst_sel:DWORD dst_unused:UNUSED_PAD src0_sel:WORD_0 src1_sel:DWORD
	v_xor_b32_e32 v26, v27, v26
	v_and_b32_e32 v27, 0xffffff00, v26
	v_sub_i16 v7, v27, v7 clamp
	v_lshlrev_b16_e32 v27, 8, v26
	v_lshlrev_b16_e32 v6, 8, v6
	v_and_b32_e32 v7, 0xffffff00, v7
	v_sub_i16 v6, v27, v6 clamp
	v_or_b32_sdwa v6, v6, v7 dst_sel:DWORD dst_unused:UNUSED_PAD src0_sel:BYTE_1 src1_sel:DWORD
	v_and_b32_sdwa v7, v26, s21 dst_sel:DWORD dst_unused:UNUSED_PAD src0_sel:WORD_1 src1_sel:DWORD
	v_sub_i16 v5, v7, v5 clamp
	v_lshlrev_b16_sdwa v7, v43, v26 dst_sel:DWORD dst_unused:UNUSED_PAD src0_sel:DWORD src1_sel:WORD_1
	v_lshlrev_b16_e32 v4, 8, v4
	v_and_b32_e32 v5, 0xffffff00, v5
	v_sub_i16 v4, v7, v4 clamp
	v_or_b32_sdwa v4, v4, v5 dst_sel:WORD_1 dst_unused:UNUSED_PAD src0_sel:BYTE_1 src1_sel:DWORD
	v_lshrrev_b32_e32 v5, 27, v23
	v_dot4c_i32_i8_e32 v47, v33, v46
	v_or_b32_e32 v23, 1, v5
	v_or_b32_sdwa v51, v6, v4 dst_sel:DWORD dst_unused:UNUSED_PAD src0_sel:WORD_0 src1_sel:DWORD
	v_lshrrev_b32_e32 v4, 27, v25
	v_mul_lo_u32 v5, v47, v23
	v_ashrrev_i32_e32 v6, 31, v5
	v_dot4c_i32_i8_e32 v49, v51, v46
	v_or_b32_e32 v25, 1, v4
	v_lshrrev_b32_e32 v6, 29, v6
	v_add_u32_e32 v5, v5, v6
	v_mul_lo_u32 v4, v49, v25
	v_ashrrev_i32_e32 v26, 3, v5
	v_ashrrev_i32_e32 v5, 31, v4
	v_lshrrev_b32_e32 v5, 29, v5
	v_add_u32_e32 v4, v4, v5
	v_ashrrev_i32_e32 v27, 3, v4
	s_waitcnt vmcnt(0)
	v_cvt_f32_f16_e32 v5, v50
	v_cvt_f32_f16_e32 v4, v48
	v_cvt_f32_i32_e32 v27, v27
	v_cvt_f32_i32_e32 v26, v26
	v_pk_mul_f32 v[6:7], v[8:9], v[4:5] op_sel_hi:[0,1]
	v_pk_fma_f32 v[0:1], v[6:7], v[26:27], v[0:1]
	v_mad_u64_u32 v[6:7], s[16:17], v40, 36, s[24:25]
	v_mad_u64_u32 v[6:7], s[16:17], v16, 36, v[6:7]
	global_load_dword v8, v[6:7], off offset:32
	global_load_dwordx4 v[26:29], v[6:7], off offset:16
	global_load_dwordx4 v[46:49], v[6:7], off
	v_mov_b32_e32 v7, 0
	v_add_u32_e32 v40, 0x80, v40
	s_waitcnt vmcnt(0)
	v_dot4c_i32_i8_e32 v7, v44, v47
	v_dot4c_i32_i8_e32 v7, v45, v48
	v_cvt_f32_f16_e32 v6, v46
	v_mov_b32_e32 v46, 0
	v_dot4c_i32_i8_e32 v7, v10, v49
	v_dot4c_i32_i8_e32 v46, v22, v47
	;; [unrolled: 1-line block ×13, first 2 shown]
	v_mul_lo_u32 v7, v7, v23
	v_ashrrev_i32_e32 v26, 31, v7
	v_dot4c_i32_i8_e32 v46, v51, v8
	v_lshrrev_b32_e32 v26, 29, v26
	v_add_u32_e32 v7, v7, v26
	v_ashrrev_i32_e32 v26, 3, v7
	v_mul_lo_u32 v8, v46, v25
	v_ashrrev_i32_e32 v7, 31, v8
	v_lshrrev_b32_e32 v7, 29, v7
	v_add_u32_e32 v7, v8, v7
	v_ashrrev_i32_e32 v8, 3, v7
	v_cvt_f32_i32_e32 v27, v8
	v_cvt_f32_i32_e32 v26, v26
	v_pk_mul_f32 v[6:7], v[6:7], v[4:5] op_sel_hi:[0,1]
	v_pk_fma_f32 v[2:3], v[6:7], v[26:27], v[2:3]
	v_mad_u64_u32 v[6:7], s[16:17], v41, 36, s[24:25]
	v_mad_u64_u32 v[6:7], s[16:17], v16, 36, v[6:7]
	global_load_dword v8, v[6:7], off offset:32
	global_load_dwordx4 v[26:29], v[6:7], off offset:16
	global_load_dwordx4 v[46:49], v[6:7], off
	v_mov_b32_e32 v7, 0
	v_add_u32_e32 v41, 0x80, v41
	s_waitcnt vmcnt(0)
	v_dot4c_i32_i8_e32 v7, v44, v47
	v_dot4c_i32_i8_e32 v7, v45, v48
	v_mov_b32_e32 v44, 0
	v_dot4c_i32_i8_e32 v7, v10, v49
	v_dot4c_i32_i8_e32 v44, v22, v47
	;; [unrolled: 1-line block ×13, first 2 shown]
	v_mul_lo_u32 v7, v7, v23
	v_ashrrev_i32_e32 v9, 31, v7
	v_dot4c_i32_i8_e32 v44, v51, v8
	v_lshrrev_b32_e32 v9, 29, v9
	v_add_u32_e32 v7, v7, v9
	v_cvt_f32_f16_e32 v6, v46
	v_mul_lo_u32 v8, v44, v25
	v_ashrrev_i32_e32 v9, 3, v7
	v_ashrrev_i32_e32 v7, 31, v8
	v_lshrrev_b32_e32 v7, 29, v7
	v_add_u32_e32 v7, v8, v7
	v_ashrrev_i32_e32 v7, 3, v7
	v_pk_mul_f32 v[4:5], v[6:7], v[4:5] op_sel_hi:[0,1]
	v_cvt_f32_i32_e32 v7, v7
	v_cvt_f32_i32_e32 v6, v9
	v_pk_fma_f32 v[12:13], v[4:5], v[6:7], v[12:13]
	s_andn2_b64 exec, exec, s[8:9]
	s_cbranch_execnz .LBB162_2
; %bb.3:
	s_or_b64 exec, exec, s[8:9]
	scratch_store_dwordx4 off, v[0:3], off
	scratch_store_dwordx2 off, v[12:13], off offset:16
.LBB162_4:
	s_or_b64 exec, exec, s[6:7]
	v_cmp_eq_u32_e32 vcc, 0, v38
	v_cmp_ne_u32_e64 s[6:7], 0, v38
	v_lshlrev_b32_e32 v4, 2, v17
	s_and_saveexec_b64 s[8:9], s[6:7]
	s_cbranch_execz .LBB162_6
; %bb.5:
	v_mul_u32_u24_e32 v5, 0x600, v38
	s_movk_i32 s2, 0xfa00
	v_add3_u32 v5, v5, v4, s2
	ds_write2st64_b32 v5, v0, v1 offset1:1
	ds_write2st64_b32 v5, v2, v3 offset0:2 offset1:3
	ds_write2st64_b32 v5, v12, v13 offset0:4 offset1:5
.LBB162_6:
	s_or_b64 exec, exec, s[8:9]
	s_waitcnt lgkmcnt(0)
	s_barrier
	s_and_saveexec_b64 s[6:7], vcc
	s_cbranch_execz .LBB162_13
; %bb.7:
	scratch_load_dwordx2 v[2:3], off, off
	v_mbcnt_lo_u32_b32 v0, -1, 0
	ds_read2st64_b32 v[6:7], v4 offset1:1
	v_mbcnt_hi_u32_b32 v12, -1, v0
	v_and_b32_e32 v0, 64, v12
	v_xor_b32_e32 v1, 32, v12
	v_add_u32_e32 v13, 64, v0
	v_cmp_lt_i32_e32 vcc, v1, v13
	v_xor_b32_e32 v5, 16, v12
	v_xor_b32_e32 v10, 8, v12
	v_cndmask_b32_e32 v0, v12, v1, vcc
	v_lshlrev_b32_e32 v0, 2, v0
	v_cmp_lt_i32_e32 vcc, v5, v13
	v_xor_b32_e32 v11, 4, v12
	v_xor_b32_e32 v14, 1, v12
	v_cndmask_b32_e32 v1, v12, v5, vcc
	v_lshlrev_b32_e32 v1, 2, v1
	v_cmp_lt_i32_e32 vcc, v10, v13
	v_xor_b32_e32 v5, 2, v12
	s_load_dwordx2 s[0:1], s[0:1], 0x38
	s_mul_i32 s2, s3, s14
	s_mul_i32 s4, s4, s18
	s_add_i32 s2, s2, s5
	s_mov_b32 s3, 0
	s_add_i32 s2, s2, s4
	s_lshl_b64 s[2:3], s[2:3], 2
	s_waitcnt lgkmcnt(0)
	s_add_u32 s2, s0, s2
	s_addc_u32 s3, s1, s3
	s_waitcnt vmcnt(0)
	v_pk_add_f32 v[2:3], v[6:7], v[2:3]
	ds_bpermute_b32 v6, v0, v2
	ds_bpermute_b32 v7, v0, v3
	s_waitcnt lgkmcnt(0)
	v_pk_add_f32 v[6:7], v[2:3], v[6:7]
	ds_bpermute_b32 v8, v1, v6
	ds_bpermute_b32 v9, v1, v7
	v_cndmask_b32_e32 v2, v12, v10, vcc
	v_lshlrev_b32_e32 v2, 2, v2
	v_cmp_lt_i32_e32 vcc, v11, v13
	s_waitcnt lgkmcnt(0)
	v_pk_add_f32 v[6:7], v[6:7], v[8:9]
	ds_bpermute_b32 v8, v2, v6
	ds_bpermute_b32 v9, v2, v7
	v_cndmask_b32_e32 v3, v12, v11, vcc
	v_lshlrev_b32_e32 v3, 2, v3
	v_cmp_lt_i32_e32 vcc, v5, v13
	s_waitcnt lgkmcnt(0)
	v_pk_add_f32 v[6:7], v[6:7], v[8:9]
	ds_bpermute_b32 v8, v3, v6
	ds_bpermute_b32 v9, v3, v7
	v_cndmask_b32_e32 v5, v12, v5, vcc
	v_lshlrev_b32_e32 v5, 2, v5
	v_cmp_lt_i32_e32 vcc, v14, v13
	s_waitcnt lgkmcnt(0)
	v_pk_add_f32 v[8:9], v[6:7], v[8:9]
	ds_bpermute_b32 v10, v5, v8
	ds_bpermute_b32 v11, v5, v9
	v_cndmask_b32_e32 v6, v12, v14, vcc
	v_lshlrev_b32_e32 v6, 2, v6
	v_or_b32_e32 v7, s5, v17
	v_cmp_gt_u32_e32 vcc, 2, v17
	s_waitcnt lgkmcnt(0)
	v_pk_add_f32 v[8:9], v[8:9], v[10:11]
	ds_bpermute_b32 v10, v6, v8
	ds_bpermute_b32 v11, v6, v9
	v_cmp_gt_u32_e64 s[0:1], s10, v7
	s_and_b64 s[0:1], vcc, s[0:1]
	s_waitcnt lgkmcnt(0)
	v_pk_add_f32 v[8:9], v[8:9], v[10:11]
	scratch_store_dwordx2 off, v[8:9], off
	s_and_saveexec_b64 s[4:5], s[0:1]
	s_cbranch_execz .LBB162_9
; %bb.8:
	scratch_load_dword v7, v4, off
	s_waitcnt vmcnt(0)
	global_store_dword v4, v7, s[2:3]
.LBB162_9:
	s_or_b64 exec, exec, s[4:5]
	scratch_load_dwordx2 v[8:9], off, off offset:8
	ds_read2st64_b32 v[10:11], v4 offset0:2 offset1:3
	s_waitcnt vmcnt(0) lgkmcnt(0)
	v_pk_add_f32 v[8:9], v[10:11], v[8:9]
	ds_bpermute_b32 v10, v0, v8
	ds_bpermute_b32 v11, v0, v9
	s_waitcnt lgkmcnt(0)
	v_pk_add_f32 v[8:9], v[8:9], v[10:11]
	ds_bpermute_b32 v10, v1, v8
	ds_bpermute_b32 v11, v1, v9
	s_waitcnt lgkmcnt(0)
	;; [unrolled: 4-line block ×6, first 2 shown]
	v_pk_add_f32 v[8:9], v[8:9], v[10:11]
	scratch_store_dwordx2 off, v[8:9], off offset:8
	s_and_saveexec_b64 s[4:5], s[0:1]
	s_cbranch_execz .LBB162_11
; %bb.10:
	scratch_load_dword v7, v4, off offset:8
	v_add_u32_e32 v8, s10, v17
	v_mov_b32_e32 v9, 0
	v_lshl_add_u64 v[8:9], v[8:9], 2, s[2:3]
	s_waitcnt vmcnt(0)
	global_store_dword v[8:9], v7, off
.LBB162_11:
	s_or_b64 exec, exec, s[4:5]
	scratch_load_dwordx2 v[8:9], off, off offset:16
	ds_read2st64_b32 v[10:11], v4 offset0:4 offset1:5
	s_waitcnt vmcnt(0) lgkmcnt(0)
	v_pk_add_f32 v[8:9], v[10:11], v[8:9]
	ds_bpermute_b32 v10, v0, v8
	ds_bpermute_b32 v11, v0, v9
	s_waitcnt lgkmcnt(0)
	v_pk_add_f32 v[8:9], v[8:9], v[10:11]
	ds_bpermute_b32 v0, v1, v8
	ds_bpermute_b32 v1, v1, v9
	s_waitcnt lgkmcnt(0)
	;; [unrolled: 4-line block ×6, first 2 shown]
	v_pk_add_f32 v[0:1], v[0:1], v[2:3]
	scratch_store_dwordx2 off, v[0:1], off offset:16
	s_and_b64 exec, exec, s[0:1]
	s_cbranch_execz .LBB162_13
; %bb.12:
	scratch_load_dword v2, v4, off offset:16
	v_lshl_or_b32 v0, s10, 1, v17
	v_mov_b32_e32 v1, 0
	v_lshl_add_u64 v[0:1], v[0:1], 2, s[2:3]
	s_waitcnt vmcnt(0)
	global_store_dword v[0:1], v2, off
.LBB162_13:
	s_endpgm
	.section	.rodata,"a",@progbits
	.p2align	6, 0x0
	.amdhsa_kernel _ZL13mul_mat_vec_qIL9ggml_type16ELi3ELb0ELb0EEvPKvS2_PKi31ggml_cuda_mm_fusion_args_devicePfj15HIP_vector_typeIjLj3EEjjjS8_jjjS8_jjjj
		.amdhsa_group_segment_fixed_size 1536
		.amdhsa_private_segment_fixed_size 32
		.amdhsa_kernarg_size 144
		.amdhsa_user_sgpr_count 2
		.amdhsa_user_sgpr_dispatch_ptr 0
		.amdhsa_user_sgpr_queue_ptr 0
		.amdhsa_user_sgpr_kernarg_segment_ptr 1
		.amdhsa_user_sgpr_dispatch_id 0
		.amdhsa_user_sgpr_kernarg_preload_length 0
		.amdhsa_user_sgpr_kernarg_preload_offset 0
		.amdhsa_user_sgpr_private_segment_size 0
		.amdhsa_uses_dynamic_stack 0
		.amdhsa_enable_private_segment 1
		.amdhsa_system_sgpr_workgroup_id_x 1
		.amdhsa_system_sgpr_workgroup_id_y 1
		.amdhsa_system_sgpr_workgroup_id_z 1
		.amdhsa_system_sgpr_workgroup_info 0
		.amdhsa_system_vgpr_workitem_id 1
		.amdhsa_next_free_vgpr 60
		.amdhsa_next_free_sgpr 30
		.amdhsa_accum_offset 60
		.amdhsa_reserve_vcc 1
		.amdhsa_float_round_mode_32 0
		.amdhsa_float_round_mode_16_64 0
		.amdhsa_float_denorm_mode_32 3
		.amdhsa_float_denorm_mode_16_64 3
		.amdhsa_dx10_clamp 1
		.amdhsa_ieee_mode 1
		.amdhsa_fp16_overflow 0
		.amdhsa_tg_split 0
		.amdhsa_exception_fp_ieee_invalid_op 0
		.amdhsa_exception_fp_denorm_src 0
		.amdhsa_exception_fp_ieee_div_zero 0
		.amdhsa_exception_fp_ieee_overflow 0
		.amdhsa_exception_fp_ieee_underflow 0
		.amdhsa_exception_fp_ieee_inexact 0
		.amdhsa_exception_int_div_zero 0
	.end_amdhsa_kernel
	.section	.text._ZL13mul_mat_vec_qIL9ggml_type16ELi3ELb0ELb0EEvPKvS2_PKi31ggml_cuda_mm_fusion_args_devicePfj15HIP_vector_typeIjLj3EEjjjS8_jjjS8_jjjj,"axG",@progbits,_ZL13mul_mat_vec_qIL9ggml_type16ELi3ELb0ELb0EEvPKvS2_PKi31ggml_cuda_mm_fusion_args_devicePfj15HIP_vector_typeIjLj3EEjjjS8_jjjS8_jjjj,comdat
.Lfunc_end162:
	.size	_ZL13mul_mat_vec_qIL9ggml_type16ELi3ELb0ELb0EEvPKvS2_PKi31ggml_cuda_mm_fusion_args_devicePfj15HIP_vector_typeIjLj3EEjjjS8_jjjS8_jjjj, .Lfunc_end162-_ZL13mul_mat_vec_qIL9ggml_type16ELi3ELb0ELb0EEvPKvS2_PKi31ggml_cuda_mm_fusion_args_devicePfj15HIP_vector_typeIjLj3EEjjjS8_jjjS8_jjjj
                                        ; -- End function
	.section	.AMDGPU.csdata,"",@progbits
; Kernel info:
; codeLenInByte = 5844
; NumSgprs: 36
; NumVgprs: 60
; NumAgprs: 0
; TotalNumVgprs: 60
; ScratchSize: 32
; MemoryBound: 0
; FloatMode: 240
; IeeeMode: 1
; LDSByteSize: 1536 bytes/workgroup (compile time only)
; SGPRBlocks: 4
; VGPRBlocks: 7
; NumSGPRsForWavesPerEU: 36
; NumVGPRsForWavesPerEU: 60
; AccumOffset: 60
; Occupancy: 8
; WaveLimiterHint : 0
; COMPUTE_PGM_RSRC2:SCRATCH_EN: 1
; COMPUTE_PGM_RSRC2:USER_SGPR: 2
; COMPUTE_PGM_RSRC2:TRAP_HANDLER: 0
; COMPUTE_PGM_RSRC2:TGID_X_EN: 1
; COMPUTE_PGM_RSRC2:TGID_Y_EN: 1
; COMPUTE_PGM_RSRC2:TGID_Z_EN: 1
; COMPUTE_PGM_RSRC2:TIDIG_COMP_CNT: 1
; COMPUTE_PGM_RSRC3_GFX90A:ACCUM_OFFSET: 14
; COMPUTE_PGM_RSRC3_GFX90A:TG_SPLIT: 0
	.section	.text._ZL13mul_mat_vec_qIL9ggml_type16ELi4ELb0ELb0EEvPKvS2_PKi31ggml_cuda_mm_fusion_args_devicePfj15HIP_vector_typeIjLj3EEjjjS8_jjjS8_jjjj,"axG",@progbits,_ZL13mul_mat_vec_qIL9ggml_type16ELi4ELb0ELb0EEvPKvS2_PKi31ggml_cuda_mm_fusion_args_devicePfj15HIP_vector_typeIjLj3EEjjjS8_jjjS8_jjjj,comdat
	.globl	_ZL13mul_mat_vec_qIL9ggml_type16ELi4ELb0ELb0EEvPKvS2_PKi31ggml_cuda_mm_fusion_args_devicePfj15HIP_vector_typeIjLj3EEjjjS8_jjjS8_jjjj ; -- Begin function _ZL13mul_mat_vec_qIL9ggml_type16ELi4ELb0ELb0EEvPKvS2_PKi31ggml_cuda_mm_fusion_args_devicePfj15HIP_vector_typeIjLj3EEjjjS8_jjjS8_jjjj
	.p2align	8
	.type	_ZL13mul_mat_vec_qIL9ggml_type16ELi4ELb0ELb0EEvPKvS2_PKi31ggml_cuda_mm_fusion_args_devicePfj15HIP_vector_typeIjLj3EEjjjS8_jjjS8_jjjj,@function
_ZL13mul_mat_vec_qIL9ggml_type16ELi4ELb0ELb0EEvPKvS2_PKi31ggml_cuda_mm_fusion_args_devicePfj15HIP_vector_typeIjLj3EEjjjS8_jjjS8_jjjj: ; @_ZL13mul_mat_vec_qIL9ggml_type16ELi4ELb0ELb0EEvPKvS2_PKi31ggml_cuda_mm_fusion_args_devicePfj15HIP_vector_typeIjLj3EEjjjS8_jjjS8_jjjj
; %bb.0:
	s_mov_b32 s20, 0
	v_bfe_u32 v17, v0, 10, 10
	v_and_b32_e32 v16, 0x3ff, v0
	s_mov_b32 s21, s20
	v_lshl_add_u32 v4, v17, 6, v16
	s_mov_b32 s22, s20
	s_mov_b32 s23, s20
	v_mov_b64_e32 v[0:1], s[20:21]
	s_load_dword s6, s[0:1], 0x40
	s_load_dwordx4 s[8:11], s[0:1], 0x50
	s_load_dword s27, s[0:1], 0x60
	s_load_dwordx4 s[12:15], s[0:1], 0x68
	s_load_dword s26, s[0:1], 0x78
	s_load_dwordx4 s[16:19], s[0:1], 0x80
	s_lshl_b32 s5, s2, 1
	s_waitcnt lgkmcnt(0)
	s_lshr_b32 s2, s6, 8
	v_mov_b64_e32 v[2:3], s[22:23]
	v_lshrrev_b32_e32 v21, 3, v4
	scratch_store_dwordx4 off, v[0:3], off offset:16
	scratch_store_dwordx4 off, v[0:3], off
	v_cmp_gt_u32_e32 vcc, s2, v21
	v_mov_b32_e32 v7, 0
	v_mov_b32_e32 v0, 0
	;; [unrolled: 1-line block ×8, first 2 shown]
	s_and_saveexec_b64 s[6:7], vcc
	s_cbranch_execz .LBB163_4
; %bb.1:
	s_load_dwordx4 s[20:23], s[0:1], 0x0
	s_mul_i32 s17, s4, s17
	s_mul_i32 s24, s17, 36
	;; [unrolled: 1-line block ×3, first 2 shown]
	s_mul_hi_u32 s19, s17, 36
	s_waitcnt lgkmcnt(0)
	s_add_u32 s24, s22, s24
	s_addc_u32 s19, s23, s19
	s_mul_i32 s28, s13, 36
	s_mul_hi_u32 s29, s13, 36
	s_add_u32 s24, s24, s28
	s_mul_hi_u32 s11, s11, s3
	s_addc_u32 s25, s19, s29
	s_add_i32 s11, s3, s11
	s_lshr_b32 s11, s11, s27
	s_mul_i32 s11, s11, s12
	s_mul_hi_u32 s12, s15, s4
	s_add_i32 s12, s4, s12
	s_lshr_b32 s12, s12, s26
	s_mul_i32 s12, s12, s16
	s_mul_i32 s13, s5, s8
	s_add_i32 s15, s12, s11
	s_add_i32 s12, s5, 1
	v_lshlrev_b32_e32 v2, 3, v21
	s_add_i32 s11, s15, s13
	s_mul_i32 s8, s8, s12
	v_mad_u64_u32 v[22:23], s[12:13], s9, 3, v[2:3]
	s_add_i32 s15, s15, s8
	v_add_u32_e32 v44, s9, v2
	v_lshl_add_u32 v23, s9, 1, v2
	s_movk_i32 s8, 0x120
	v_mov_b64_e32 v[2:3], s[28:29]
	v_mad_u64_u32 v[2:3], s[8:9], v21, s8, v[2:3]
	v_lshlrev_b32_e32 v0, 1, v16
	v_and_b32_e32 v20, 7, v16
	v_mad_u64_u32 v[2:3], s[8:9], s17, 36, v[2:3]
	v_and_b32_e32 v0, 14, v0
	v_mad_u64_u32 v[2:3], s[8:9], v20, 36, v[2:3]
	v_lshlrev_b32_e32 v0, 1, v0
	v_mov_b32_e32 v19, 0
	v_lshl_add_u64 v[2:3], v[2:3], 0, s[22:23]
	v_lshl_add_u64 v[24:25], v[2:3], 0, 32
	s_mov_b64 s[8:9], 0
	s_movk_i32 s19, 0x42
	v_mov_b64_e32 v[26:27], s[20:21]
	v_lshlrev_b32_e32 v18, 1, v0
	s_mov_b32 s20, 0x1010101
	s_movk_i32 s21, 0xff00
	s_mov_b64 s[12:13], 0x1200
	v_mov_b32_e32 v45, 3
	v_mov_b32_e32 v46, 8
	;; [unrolled: 1-line block ×10, first 2 shown]
.LBB163_2:                              ; =>This Inner Loop Header: Depth=1
	v_add_u32_e32 v28, s11, v21
	v_mad_i64_i32 v[30:31], s[16:17], v28, s19, v[26:27]
	v_lshl_add_u64 v[28:29], v[30:31], 0, v[18:19]
	global_load_dword v49, v[24:25], off
	global_load_dwordx4 v[8:11], v[24:25], off offset:-16
	global_load_dwordx4 v[12:15], v[24:25], off offset:-32
	s_getpc_b64 s[16:17]
	s_add_u32 s16, s16, _ZL11iq2xxs_grid@rel32@lo+4
	s_addc_u32 s17, s17, _ZL11iq2xxs_grid@rel32@hi+12
	global_load_dwordx2 v[28:29], v[28:29], off offset:2
	v_mov_b32_e32 v50, 0
	v_lshl_add_u64 v[24:25], v[24:25], 0, s[12:13]
	s_waitcnt vmcnt(1)
	v_cvt_f32_f16_e32 v12, v12
	s_waitcnt vmcnt(0)
	v_lshlrev_b32_sdwa v32, v45, v28 dst_sel:DWORD dst_unused:UNUSED_PAD src0_sel:DWORD src1_sel:BYTE_0
	global_load_dwordx2 v[32:33], v32, s[16:17]
	v_and_b32_e32 v34, 0xff, v29
	v_bcnt_u32_b32 v35, v34, 0
	v_and_b32_e32 v35, 1, v35
	v_lshlrev_b32_e32 v35, 7, v35
	v_xor_b32_e32 v34, v35, v34
	v_mul_lo_u32 v34, v34, s20
	v_and_b32_e32 v35, 0x8000000, v34
	v_lshrrev_b32_e32 v37, 8, v34
	v_lshrrev_b16_e32 v38, 1, v37
	v_cmp_ne_u16_sdwa s[22:23], v35, v19 src0_sel:BYTE_3 src1_sel:DWORD
	v_and_b32_e32 v36, 1, v29
	v_bfe_i32 v38, v38, 0, 1
	v_lshrrev_b32_e32 v39, 18, v34
	v_cndmask_b32_e64 v35, 0, -1, s[22:23]
	v_sub_u16_e32 v36, 0, v36
	v_bfe_i32 v39, v39, 0, 1
	v_lshlrev_b16_e32 v35, 8, v35
	v_lshlrev_b16_e32 v38, 8, v38
	v_or_b32_sdwa v40, v39, v35 dst_sel:WORD_1 dst_unused:UNUSED_PAD src0_sel:BYTE_0 src1_sel:DWORD
	v_or_b32_sdwa v41, v36, v38 dst_sel:DWORD dst_unused:UNUSED_PAD src0_sel:BYTE_0 src1_sel:DWORD
	v_or_b32_sdwa v40, v41, v40 dst_sel:DWORD dst_unused:UNUSED_PAD src0_sel:WORD_0 src1_sel:DWORD
	v_lshlrev_b16_e32 v36, 8, v36
	v_bfe_i32 v58, v29, 7, 1
	v_bfe_i32 v59, v29, 14, 1
	s_waitcnt vmcnt(0)
	v_xor_b32_e32 v32, v32, v40
	v_and_b32_e32 v40, 0xffffff00, v32
	v_sub_i16 v38, v40, v38 clamp
	v_lshlrev_b16_e32 v40, 8, v32
	v_and_b32_e32 v38, 0xffffff00, v38
	v_sub_i16 v36, v40, v36 clamp
	v_or_b32_sdwa v36, v36, v38 dst_sel:DWORD dst_unused:UNUSED_PAD src0_sel:BYTE_1 src1_sel:DWORD
	v_and_b32_sdwa v38, v32, s21 dst_sel:DWORD dst_unused:UNUSED_PAD src0_sel:WORD_1 src1_sel:DWORD
	v_sub_i16 v35, v38, v35 clamp
	v_lshlrev_b16_sdwa v32, v46, v32 dst_sel:DWORD dst_unused:UNUSED_PAD src0_sel:DWORD src1_sel:WORD_1
	v_lshlrev_b16_e32 v38, 8, v39
	v_and_b32_e32 v35, 0xffffff00, v35
	v_sub_i16 v32, v32, v38 clamp
	v_or_b32_sdwa v32, v32, v35 dst_sel:WORD_1 dst_unused:UNUSED_PAD src0_sel:BYTE_1 src1_sel:DWORD
	v_bfe_i32 v35, v29, 4, 1
	v_or_b32_sdwa v47, v36, v32 dst_sel:DWORD dst_unused:UNUSED_PAD src0_sel:WORD_0 src1_sel:DWORD
	v_and_b32_e32 v32, 0x80000000, v34
	v_lshrrev_b16_e32 v36, 5, v37
	v_cmp_ne_u16_sdwa s[22:23], v32, v19 src0_sel:BYTE_3 src1_sel:DWORD
	v_bfe_i32 v36, v36, 0, 1
	v_lshrrev_b32_e32 v34, 22, v34
	v_cndmask_b32_e64 v32, 0, -1, s[22:23]
	v_bfe_i32 v34, v34, 0, 1
	v_lshlrev_b16_e32 v32, 8, v32
	v_lshlrev_b16_e32 v36, 8, v36
	v_or_b32_sdwa v37, v34, v32 dst_sel:WORD_1 dst_unused:UNUSED_PAD src0_sel:BYTE_0 src1_sel:DWORD
	v_or_b32_sdwa v38, v35, v36 dst_sel:DWORD dst_unused:UNUSED_PAD src0_sel:BYTE_0 src1_sel:DWORD
	v_or_b32_sdwa v37, v38, v37 dst_sel:DWORD dst_unused:UNUSED_PAD src0_sel:WORD_0 src1_sel:DWORD
	v_xor_b32_e32 v33, v33, v37
	v_and_b32_e32 v37, 0xffffff00, v33
	v_sub_i16 v36, v37, v36 clamp
	v_lshlrev_b16_e32 v37, 8, v33
	v_lshlrev_b16_e32 v35, 8, v35
	v_and_b32_e32 v36, 0xffffff00, v36
	v_sub_i16 v35, v37, v35 clamp
	v_or_b32_sdwa v35, v35, v36 dst_sel:DWORD dst_unused:UNUSED_PAD src0_sel:BYTE_1 src1_sel:DWORD
	v_and_b32_sdwa v36, v33, s21 dst_sel:DWORD dst_unused:UNUSED_PAD src0_sel:WORD_1 src1_sel:DWORD
	v_sub_i16 v32, v36, v32 clamp
	v_lshlrev_b16_sdwa v33, v46, v33 dst_sel:DWORD dst_unused:UNUSED_PAD src0_sel:DWORD src1_sel:WORD_1
	v_lshlrev_b16_e32 v34, 8, v34
	v_and_b32_e32 v32, 0xffffff00, v32
	v_sub_i16 v33, v33, v34 clamp
	v_or_b32_sdwa v32, v33, v32 dst_sel:WORD_1 dst_unused:UNUSED_PAD src0_sel:BYTE_1 src1_sel:DWORD
	v_dot4c_i32_i8_e32 v50, v47, v13
	v_or_b32_sdwa v48, v35, v32 dst_sel:DWORD dst_unused:UNUSED_PAD src0_sel:WORD_0 src1_sel:DWORD
	v_lshlrev_b32_sdwa v32, v45, v28 dst_sel:DWORD dst_unused:UNUSED_PAD src0_sel:DWORD src1_sel:BYTE_1
	global_load_dwordx2 v[42:43], v32, s[16:17]
	v_lshlrev_b32_sdwa v32, v45, v28 dst_sel:DWORD dst_unused:UNUSED_PAD src0_sel:DWORD src1_sel:BYTE_2
	v_lshlrev_b32_sdwa v28, v45, v28 dst_sel:DWORD dst_unused:UNUSED_PAD src0_sel:DWORD src1_sel:BYTE_3
	global_load_dwordx2 v[40:41], v32, s[16:17]
	global_load_dwordx2 v[38:39], v28, s[16:17]
	global_load_ushort v51, v[30:31], off
	v_add_u32_e32 v28, s15, v21
	v_mad_i64_i32 v[56:57], s[22:23], v28, s19, v[26:27]
	v_lshl_add_u64 v[30:31], v[56:57], 0, v[18:19]
	global_load_dwordx2 v[30:31], v[30:31], off offset:2
	v_dot4c_i32_i8_e32 v50, v48, v14
	v_add_u32_e32 v21, 16, v21
	v_cmp_le_u32_e32 vcc, s2, v21
	s_or_b64 s[8:9], vcc, s[8:9]
	s_waitcnt vmcnt(0)
	v_lshlrev_b32_sdwa v28, v45, v30 dst_sel:DWORD dst_unused:UNUSED_PAD src0_sel:DWORD src1_sel:BYTE_0
	global_load_dwordx2 v[32:33], v28, s[16:17]
	v_and_b32_e32 v28, 0xff, v31
	v_bcnt_u32_b32 v34, v28, 0
	v_and_b32_e32 v34, 1, v34
	v_lshlrev_b32_e32 v34, 7, v34
	v_xor_b32_e32 v28, v34, v28
	v_mul_lo_u32 v34, v28, s20
	v_and_b32_e32 v28, 0x8000000, v34
	v_lshrrev_b32_e32 v36, 8, v34
	v_lshrrev_b16_e32 v37, 1, v36
	v_cmp_ne_u16_sdwa s[22:23], v28, v19 src0_sel:BYTE_3 src1_sel:DWORD
	v_and_b32_e32 v35, 1, v31
	v_bfe_i32 v37, v37, 0, 1
	v_lshrrev_b32_e32 v52, 18, v34
	v_cndmask_b32_e64 v28, 0, -1, s[22:23]
	v_sub_u16_e32 v35, 0, v35
	v_bfe_i32 v52, v52, 0, 1
	v_lshlrev_b16_e32 v28, 8, v28
	v_lshlrev_b16_e32 v37, 8, v37
	v_or_b32_sdwa v53, v52, v28 dst_sel:WORD_1 dst_unused:UNUSED_PAD src0_sel:BYTE_0 src1_sel:DWORD
	v_or_b32_sdwa v54, v35, v37 dst_sel:DWORD dst_unused:UNUSED_PAD src0_sel:BYTE_0 src1_sel:DWORD
	v_or_b32_sdwa v53, v54, v53 dst_sel:DWORD dst_unused:UNUSED_PAD src0_sel:WORD_0 src1_sel:DWORD
	v_lshlrev_b16_e32 v35, 8, v35
	v_bfe_i32 v55, v31, 7, 1
	v_bfe_i32 v54, v31, 14, 1
	s_waitcnt vmcnt(0)
	v_xor_b32_e32 v32, v32, v53
	v_and_b32_e32 v53, 0xffffff00, v32
	v_sub_i16 v37, v53, v37 clamp
	v_lshlrev_b16_e32 v53, 8, v32
	v_and_b32_e32 v37, 0xffffff00, v37
	v_sub_i16 v35, v53, v35 clamp
	v_or_b32_sdwa v35, v35, v37 dst_sel:DWORD dst_unused:UNUSED_PAD src0_sel:BYTE_1 src1_sel:DWORD
	v_and_b32_sdwa v37, v32, s21 dst_sel:DWORD dst_unused:UNUSED_PAD src0_sel:WORD_1 src1_sel:DWORD
	v_sub_i16 v28, v37, v28 clamp
	v_lshlrev_b16_sdwa v32, v46, v32 dst_sel:DWORD dst_unused:UNUSED_PAD src0_sel:DWORD src1_sel:WORD_1
	v_lshlrev_b16_e32 v37, 8, v52
	v_and_b32_e32 v28, 0xffffff00, v28
	v_sub_i16 v32, v32, v37 clamp
	v_or_b32_sdwa v28, v32, v28 dst_sel:WORD_1 dst_unused:UNUSED_PAD src0_sel:BYTE_1 src1_sel:DWORD
	v_mov_b32_e32 v52, 0
	v_or_b32_sdwa v28, v35, v28 dst_sel:DWORD dst_unused:UNUSED_PAD src0_sel:WORD_0 src1_sel:DWORD
	v_dot4c_i32_i8_e32 v52, v28, v13
	v_and_b32_e32 v13, 0x80000000, v34
	v_lshrrev_b16_e32 v35, 5, v36
	v_cmp_ne_u16_sdwa s[22:23], v13, v19 src0_sel:BYTE_3 src1_sel:DWORD
	v_bfe_i32 v35, v35, 0, 1
	v_lshrrev_b32_e32 v34, 22, v34
	v_cndmask_b32_e64 v13, 0, -1, s[22:23]
	v_bfe_i32 v32, v31, 4, 1
	v_bfe_i32 v34, v34, 0, 1
	v_lshlrev_b16_e32 v13, 8, v13
	v_lshlrev_b16_e32 v35, 8, v35
	v_or_b32_sdwa v36, v34, v13 dst_sel:WORD_1 dst_unused:UNUSED_PAD src0_sel:BYTE_0 src1_sel:DWORD
	v_or_b32_sdwa v37, v32, v35 dst_sel:DWORD dst_unused:UNUSED_PAD src0_sel:BYTE_0 src1_sel:DWORD
	v_or_b32_sdwa v36, v37, v36 dst_sel:DWORD dst_unused:UNUSED_PAD src0_sel:WORD_0 src1_sel:DWORD
	v_xor_b32_e32 v33, v33, v36
	v_and_b32_e32 v36, 0xffffff00, v33
	v_sub_i16 v35, v36, v35 clamp
	v_lshlrev_b16_e32 v36, 8, v33
	v_lshlrev_b16_e32 v32, 8, v32
	v_and_b32_e32 v35, 0xffffff00, v35
	v_sub_i16 v32, v36, v32 clamp
	v_or_b32_sdwa v32, v32, v35 dst_sel:DWORD dst_unused:UNUSED_PAD src0_sel:BYTE_1 src1_sel:DWORD
	v_and_b32_sdwa v35, v33, s21 dst_sel:DWORD dst_unused:UNUSED_PAD src0_sel:WORD_1 src1_sel:DWORD
	v_sub_i16 v13, v35, v13 clamp
	v_lshlrev_b16_sdwa v33, v46, v33 dst_sel:DWORD dst_unused:UNUSED_PAD src0_sel:DWORD src1_sel:WORD_1
	v_lshlrev_b16_e32 v34, 8, v34
	v_and_b32_e32 v13, 0xffffff00, v13
	v_sub_i16 v33, v33, v34 clamp
	v_or_b32_sdwa v13, v33, v13 dst_sel:WORD_1 dst_unused:UNUSED_PAD src0_sel:BYTE_1 src1_sel:DWORD
	s_nop 0
	v_or_b32_sdwa v13, v32, v13 dst_sel:DWORD dst_unused:UNUSED_PAD src0_sel:WORD_0 src1_sel:DWORD
	v_dot4c_i32_i8_e32 v52, v13, v14
	v_lshlrev_b32_sdwa v14, v45, v30 dst_sel:DWORD dst_unused:UNUSED_PAD src0_sel:DWORD src1_sel:BYTE_1
	global_load_dwordx2 v[36:37], v14, s[16:17]
	v_lshlrev_b32_sdwa v14, v45, v30 dst_sel:DWORD dst_unused:UNUSED_PAD src0_sel:DWORD src1_sel:BYTE_2
	global_load_dwordx2 v[34:35], v14, s[16:17]
	v_lshlrev_b32_sdwa v14, v45, v30 dst_sel:DWORD dst_unused:UNUSED_PAD src0_sel:DWORD src1_sel:BYTE_3
	global_load_dwordx2 v[32:33], v14, s[16:17]
	global_load_ushort v53, v[56:57], off
	v_bfe_u32 v14, v29, 7, 8
	v_bcnt_u32_b32 v30, v14, 0
	v_and_b32_e32 v30, 1, v30
	v_lshlrev_b32_e32 v30, 7, v30
	v_xor_b32_e32 v14, v30, v14
	v_mul_lo_u32 v30, v14, s20
	v_and_b32_e32 v14, 0x8000000, v30
	v_lshrrev_b32_e32 v56, 8, v30
	v_lshrrev_b16_e32 v57, 1, v56
	v_cmp_ne_u16_sdwa s[16:17], v14, v19 src0_sel:BYTE_3 src1_sel:DWORD
	v_bfe_i32 v57, v57, 0, 1
	v_lshrrev_b32_e32 v60, 18, v30
	v_cndmask_b32_e64 v14, 0, -1, s[16:17]
	v_bfe_i32 v60, v60, 0, 1
	v_lshlrev_b16_e32 v14, 8, v14
	v_lshlrev_b16_e32 v57, 8, v57
	v_or_b32_sdwa v61, v60, v14 dst_sel:WORD_1 dst_unused:UNUSED_PAD src0_sel:BYTE_0 src1_sel:DWORD
	v_or_b32_sdwa v62, v58, v57 dst_sel:DWORD dst_unused:UNUSED_PAD src0_sel:BYTE_0 src1_sel:DWORD
	v_or_b32_sdwa v61, v62, v61 dst_sel:DWORD dst_unused:UNUSED_PAD src0_sel:WORD_0 src1_sel:DWORD
	v_xor_b32_e32 v42, v42, v61
	v_and_b32_e32 v61, 0xffffff00, v42
	v_sub_i16 v57, v61, v57 clamp
	v_lshlrev_b16_e32 v61, 8, v42
	v_lshlrev_b16_e32 v58, 8, v58
	v_and_b32_e32 v57, 0xffffff00, v57
	v_sub_i16 v58, v61, v58 clamp
	v_or_b32_sdwa v57, v58, v57 dst_sel:DWORD dst_unused:UNUSED_PAD src0_sel:BYTE_1 src1_sel:DWORD
	v_and_b32_sdwa v58, v42, s21 dst_sel:DWORD dst_unused:UNUSED_PAD src0_sel:WORD_1 src1_sel:DWORD
	v_sub_i16 v14, v58, v14 clamp
	v_lshlrev_b16_sdwa v42, v46, v42 dst_sel:DWORD dst_unused:UNUSED_PAD src0_sel:DWORD src1_sel:WORD_1
	v_lshlrev_b16_e32 v58, 8, v60
	v_and_b32_e32 v14, 0xffffff00, v14
	v_sub_i16 v42, v42, v58 clamp
	v_or_b32_sdwa v14, v42, v14 dst_sel:WORD_1 dst_unused:UNUSED_PAD src0_sel:BYTE_1 src1_sel:DWORD
	v_and_b32_e32 v42, 0x80000000, v30
	v_lshrrev_b16_e32 v56, 5, v56
	v_cmp_ne_u16_sdwa s[16:17], v42, v19 src0_sel:BYTE_3 src1_sel:DWORD
	v_bfe_i32 v56, v56, 0, 1
	v_lshrrev_b32_e32 v30, 22, v30
	v_cndmask_b32_e64 v42, 0, -1, s[16:17]
	v_or_b32_sdwa v14, v57, v14 dst_sel:DWORD dst_unused:UNUSED_PAD src0_sel:WORD_0 src1_sel:DWORD
	v_bfe_i32 v57, v29, 11, 1
	v_bfe_i32 v30, v30, 0, 1
	v_lshlrev_b16_e32 v42, 8, v42
	v_lshlrev_b16_e32 v56, 8, v56
	v_or_b32_sdwa v58, v30, v42 dst_sel:WORD_1 dst_unused:UNUSED_PAD src0_sel:BYTE_0 src1_sel:DWORD
	v_or_b32_sdwa v60, v57, v56 dst_sel:DWORD dst_unused:UNUSED_PAD src0_sel:BYTE_0 src1_sel:DWORD
	v_or_b32_sdwa v58, v60, v58 dst_sel:DWORD dst_unused:UNUSED_PAD src0_sel:WORD_0 src1_sel:DWORD
	v_xor_b32_e32 v43, v43, v58
	v_and_b32_e32 v58, 0xffffff00, v43
	v_sub_i16 v56, v58, v56 clamp
	v_lshlrev_b16_e32 v58, 8, v43
	v_lshlrev_b16_e32 v57, 8, v57
	v_and_b32_e32 v56, 0xffffff00, v56
	v_sub_i16 v57, v58, v57 clamp
	v_or_b32_sdwa v56, v57, v56 dst_sel:DWORD dst_unused:UNUSED_PAD src0_sel:BYTE_1 src1_sel:DWORD
	v_and_b32_sdwa v57, v43, s21 dst_sel:DWORD dst_unused:UNUSED_PAD src0_sel:WORD_1 src1_sel:DWORD
	v_sub_i16 v42, v57, v42 clamp
	v_lshlrev_b16_sdwa v43, v46, v43 dst_sel:DWORD dst_unused:UNUSED_PAD src0_sel:DWORD src1_sel:WORD_1
	v_lshlrev_b16_e32 v30, 8, v30
	v_and_b32_e32 v42, 0xffffff00, v42
	v_sub_i16 v30, v43, v30 clamp
	v_or_b32_sdwa v30, v30, v42 dst_sel:WORD_1 dst_unused:UNUSED_PAD src0_sel:BYTE_1 src1_sel:DWORD
	v_bfe_u32 v42, v29, 14, 8
	v_bcnt_u32_b32 v43, v42, 0
	v_and_b32_e32 v43, 1, v43
	v_lshlrev_b32_e32 v43, 7, v43
	v_xor_b32_e32 v42, v43, v42
	v_mul_lo_u32 v42, v42, s20
	v_or_b32_sdwa v30, v56, v30 dst_sel:DWORD dst_unused:UNUSED_PAD src0_sel:WORD_0 src1_sel:DWORD
	v_and_b32_e32 v43, 0x8000000, v42
	v_lshrrev_b32_e32 v56, 8, v42
	v_lshrrev_b16_e32 v57, 1, v56
	v_cmp_ne_u16_sdwa s[16:17], v43, v19 src0_sel:BYTE_3 src1_sel:DWORD
	v_bfe_i32 v57, v57, 0, 1
	v_lshrrev_b32_e32 v58, 18, v42
	v_cndmask_b32_e64 v43, 0, -1, s[16:17]
	v_bfe_i32 v58, v58, 0, 1
	v_lshlrev_b16_e32 v43, 8, v43
	v_lshlrev_b16_e32 v57, 8, v57
	v_or_b32_sdwa v60, v58, v43 dst_sel:WORD_1 dst_unused:UNUSED_PAD src0_sel:BYTE_0 src1_sel:DWORD
	v_or_b32_sdwa v61, v59, v57 dst_sel:DWORD dst_unused:UNUSED_PAD src0_sel:BYTE_0 src1_sel:DWORD
	v_or_b32_sdwa v60, v61, v60 dst_sel:DWORD dst_unused:UNUSED_PAD src0_sel:WORD_0 src1_sel:DWORD
	v_xor_b32_e32 v40, v40, v60
	v_and_b32_e32 v60, 0xffffff00, v40
	v_sub_i16 v57, v60, v57 clamp
	v_lshlrev_b16_e32 v60, 8, v40
	v_lshlrev_b16_e32 v59, 8, v59
	v_and_b32_e32 v57, 0xffffff00, v57
	v_sub_i16 v59, v60, v59 clamp
	v_or_b32_sdwa v57, v59, v57 dst_sel:DWORD dst_unused:UNUSED_PAD src0_sel:BYTE_1 src1_sel:DWORD
	v_and_b32_sdwa v59, v40, s21 dst_sel:DWORD dst_unused:UNUSED_PAD src0_sel:WORD_1 src1_sel:DWORD
	v_sub_i16 v43, v59, v43 clamp
	v_lshlrev_b16_sdwa v40, v46, v40 dst_sel:DWORD dst_unused:UNUSED_PAD src0_sel:DWORD src1_sel:WORD_1
	v_lshlrev_b16_e32 v58, 8, v58
	v_and_b32_e32 v43, 0xffffff00, v43
	v_sub_i16 v40, v40, v58 clamp
	v_or_b32_sdwa v40, v40, v43 dst_sel:WORD_1 dst_unused:UNUSED_PAD src0_sel:BYTE_1 src1_sel:DWORD
	v_and_b32_e32 v43, 0x80000000, v42
	v_lshrrev_b16_e32 v56, 5, v56
	v_cmp_ne_u16_sdwa s[16:17], v43, v19 src0_sel:BYTE_3 src1_sel:DWORD
	v_bfe_i32 v56, v56, 0, 1
	v_lshrrev_b32_e32 v42, 22, v42
	v_cndmask_b32_e64 v43, 0, -1, s[16:17]
	v_or_b32_sdwa v40, v57, v40 dst_sel:DWORD dst_unused:UNUSED_PAD src0_sel:WORD_0 src1_sel:DWORD
	v_bfe_i32 v57, v29, 18, 1
	v_bfe_i32 v42, v42, 0, 1
	v_lshlrev_b16_e32 v43, 8, v43
	v_lshlrev_b16_e32 v56, 8, v56
	v_or_b32_sdwa v58, v42, v43 dst_sel:WORD_1 dst_unused:UNUSED_PAD src0_sel:BYTE_0 src1_sel:DWORD
	v_or_b32_sdwa v59, v57, v56 dst_sel:DWORD dst_unused:UNUSED_PAD src0_sel:BYTE_0 src1_sel:DWORD
	v_or_b32_sdwa v58, v59, v58 dst_sel:DWORD dst_unused:UNUSED_PAD src0_sel:WORD_0 src1_sel:DWORD
	v_xor_b32_e32 v41, v41, v58
	v_and_b32_e32 v58, 0xffffff00, v41
	v_sub_i16 v56, v58, v56 clamp
	v_lshlrev_b16_e32 v58, 8, v41
	v_lshlrev_b16_e32 v57, 8, v57
	v_and_b32_e32 v56, 0xffffff00, v56
	v_sub_i16 v57, v58, v57 clamp
	v_or_b32_sdwa v56, v57, v56 dst_sel:DWORD dst_unused:UNUSED_PAD src0_sel:BYTE_1 src1_sel:DWORD
	v_and_b32_sdwa v57, v41, s21 dst_sel:DWORD dst_unused:UNUSED_PAD src0_sel:WORD_1 src1_sel:DWORD
	v_sub_i16 v43, v57, v43 clamp
	v_lshlrev_b16_sdwa v41, v46, v41 dst_sel:DWORD dst_unused:UNUSED_PAD src0_sel:DWORD src1_sel:WORD_1
	v_lshlrev_b16_e32 v42, 8, v42
	v_and_b32_e32 v43, 0xffffff00, v43
	v_sub_i16 v41, v41, v42 clamp
	v_bfe_u32 v42, v29, 21, 8
	v_or_b32_sdwa v41, v41, v43 dst_sel:WORD_1 dst_unused:UNUSED_PAD src0_sel:BYTE_1 src1_sel:DWORD
	v_bcnt_u32_b32 v43, v42, 0
	v_and_b32_e32 v43, 1, v43
	v_lshlrev_b32_e32 v43, 7, v43
	v_xor_b32_e32 v42, v43, v42
	v_mul_lo_u32 v42, v42, s20
	v_and_b32_e32 v43, 0x8000000, v42
	v_lshrrev_b32_e32 v57, 8, v42
	v_lshrrev_b16_e32 v58, 1, v57
	v_cmp_ne_u16_sdwa s[16:17], v43, v19 src0_sel:BYTE_3 src1_sel:DWORD
	v_bfe_i32 v58, v58, 0, 1
	v_lshrrev_b32_e32 v59, 18, v42
	v_cndmask_b32_e64 v43, 0, -1, s[16:17]
	v_or_b32_sdwa v41, v56, v41 dst_sel:DWORD dst_unused:UNUSED_PAD src0_sel:WORD_0 src1_sel:DWORD
	v_bfe_i32 v56, v29, 21, 1
	v_bfe_i32 v59, v59, 0, 1
	v_lshlrev_b16_e32 v43, 8, v43
	v_lshlrev_b16_e32 v58, 8, v58
	v_or_b32_sdwa v60, v59, v43 dst_sel:WORD_1 dst_unused:UNUSED_PAD src0_sel:BYTE_0 src1_sel:DWORD
	v_or_b32_sdwa v61, v56, v58 dst_sel:DWORD dst_unused:UNUSED_PAD src0_sel:BYTE_0 src1_sel:DWORD
	v_or_b32_sdwa v60, v61, v60 dst_sel:DWORD dst_unused:UNUSED_PAD src0_sel:WORD_0 src1_sel:DWORD
	v_xor_b32_e32 v38, v38, v60
	v_and_b32_e32 v60, 0xffffff00, v38
	v_sub_i16 v58, v60, v58 clamp
	v_lshlrev_b16_e32 v60, 8, v38
	v_lshlrev_b16_e32 v56, 8, v56
	v_and_b32_e32 v58, 0xffffff00, v58
	v_sub_i16 v56, v60, v56 clamp
	v_or_b32_sdwa v56, v56, v58 dst_sel:DWORD dst_unused:UNUSED_PAD src0_sel:BYTE_1 src1_sel:DWORD
	v_and_b32_sdwa v58, v38, s21 dst_sel:DWORD dst_unused:UNUSED_PAD src0_sel:WORD_1 src1_sel:DWORD
	v_sub_i16 v43, v58, v43 clamp
	v_lshlrev_b16_sdwa v38, v46, v38 dst_sel:DWORD dst_unused:UNUSED_PAD src0_sel:DWORD src1_sel:WORD_1
	v_lshlrev_b16_e32 v58, 8, v59
	v_and_b32_e32 v43, 0xffffff00, v43
	v_sub_i16 v38, v38, v58 clamp
	v_or_b32_sdwa v38, v38, v43 dst_sel:WORD_1 dst_unused:UNUSED_PAD src0_sel:BYTE_1 src1_sel:DWORD
	v_and_b32_e32 v43, 0x80000000, v42
	v_lshrrev_b16_e32 v57, 5, v57
	v_cmp_ne_u16_sdwa s[16:17], v43, v19 src0_sel:BYTE_3 src1_sel:DWORD
	v_bfe_i32 v57, v57, 0, 1
	v_lshrrev_b32_e32 v42, 22, v42
	v_cndmask_b32_e64 v43, 0, -1, s[16:17]
	v_or_b32_sdwa v38, v56, v38 dst_sel:DWORD dst_unused:UNUSED_PAD src0_sel:WORD_0 src1_sel:DWORD
	v_bfe_i32 v56, v29, 25, 1
	v_bfe_i32 v42, v42, 0, 1
	v_lshlrev_b16_e32 v43, 8, v43
	v_lshlrev_b16_e32 v57, 8, v57
	v_or_b32_sdwa v58, v42, v43 dst_sel:WORD_1 dst_unused:UNUSED_PAD src0_sel:BYTE_0 src1_sel:DWORD
	v_or_b32_sdwa v59, v56, v57 dst_sel:DWORD dst_unused:UNUSED_PAD src0_sel:BYTE_0 src1_sel:DWORD
	v_or_b32_sdwa v58, v59, v58 dst_sel:DWORD dst_unused:UNUSED_PAD src0_sel:WORD_0 src1_sel:DWORD
	v_xor_b32_e32 v39, v39, v58
	v_and_b32_e32 v58, 0xffffff00, v39
	v_sub_i16 v57, v58, v57 clamp
	v_lshlrev_b16_e32 v58, 8, v39
	v_lshlrev_b16_e32 v56, 8, v56
	v_and_b32_e32 v57, 0xffffff00, v57
	v_sub_i16 v56, v58, v56 clamp
	v_or_b32_sdwa v56, v56, v57 dst_sel:DWORD dst_unused:UNUSED_PAD src0_sel:BYTE_1 src1_sel:DWORD
	v_and_b32_sdwa v57, v39, s21 dst_sel:DWORD dst_unused:UNUSED_PAD src0_sel:WORD_1 src1_sel:DWORD
	v_sub_i16 v43, v57, v43 clamp
	v_lshlrev_b16_sdwa v39, v46, v39 dst_sel:DWORD dst_unused:UNUSED_PAD src0_sel:DWORD src1_sel:WORD_1
	v_lshlrev_b16_e32 v42, 8, v42
	v_and_b32_e32 v43, 0xffffff00, v43
	v_sub_i16 v39, v39, v42 clamp
	v_bfe_u32 v42, v31, 7, 8
	v_or_b32_sdwa v39, v39, v43 dst_sel:WORD_1 dst_unused:UNUSED_PAD src0_sel:BYTE_1 src1_sel:DWORD
	v_bcnt_u32_b32 v43, v42, 0
	v_and_b32_e32 v43, 1, v43
	v_lshlrev_b32_e32 v43, 7, v43
	v_xor_b32_e32 v42, v43, v42
	v_mul_lo_u32 v42, v42, s20
	v_or_b32_sdwa v39, v56, v39 dst_sel:DWORD dst_unused:UNUSED_PAD src0_sel:WORD_0 src1_sel:DWORD
	v_and_b32_e32 v43, 0x8000000, v42
	v_lshrrev_b32_e32 v56, 8, v42
	v_lshrrev_b16_e32 v57, 1, v56
	v_cmp_ne_u16_sdwa s[16:17], v43, v19 src0_sel:BYTE_3 src1_sel:DWORD
	v_bfe_i32 v57, v57, 0, 1
	v_lshrrev_b32_e32 v58, 18, v42
	v_cndmask_b32_e64 v43, 0, -1, s[16:17]
	v_bfe_i32 v58, v58, 0, 1
	v_lshlrev_b16_e32 v43, 8, v43
	v_lshlrev_b16_e32 v57, 8, v57
	v_or_b32_sdwa v59, v58, v43 dst_sel:WORD_1 dst_unused:UNUSED_PAD src0_sel:BYTE_0 src1_sel:DWORD
	v_or_b32_sdwa v60, v55, v57 dst_sel:DWORD dst_unused:UNUSED_PAD src0_sel:BYTE_0 src1_sel:DWORD
	v_or_b32_sdwa v59, v60, v59 dst_sel:DWORD dst_unused:UNUSED_PAD src0_sel:WORD_0 src1_sel:DWORD
	s_waitcnt vmcnt(3)
	v_xor_b32_e32 v36, v36, v59
	v_and_b32_e32 v59, 0xffffff00, v36
	v_sub_i16 v57, v59, v57 clamp
	v_lshlrev_b16_e32 v59, 8, v36
	v_lshlrev_b16_e32 v55, 8, v55
	v_and_b32_e32 v57, 0xffffff00, v57
	v_sub_i16 v55, v59, v55 clamp
	v_or_b32_sdwa v55, v55, v57 dst_sel:DWORD dst_unused:UNUSED_PAD src0_sel:BYTE_1 src1_sel:DWORD
	v_and_b32_sdwa v57, v36, s21 dst_sel:DWORD dst_unused:UNUSED_PAD src0_sel:WORD_1 src1_sel:DWORD
	v_sub_i16 v43, v57, v43 clamp
	v_lshlrev_b16_sdwa v36, v46, v36 dst_sel:DWORD dst_unused:UNUSED_PAD src0_sel:DWORD src1_sel:WORD_1
	v_lshlrev_b16_e32 v57, 8, v58
	v_and_b32_e32 v43, 0xffffff00, v43
	v_sub_i16 v36, v36, v57 clamp
	v_or_b32_sdwa v36, v36, v43 dst_sel:WORD_1 dst_unused:UNUSED_PAD src0_sel:BYTE_1 src1_sel:DWORD
	v_dot4c_i32_i8_e32 v50, v14, v15
	v_or_b32_sdwa v36, v55, v36 dst_sel:DWORD dst_unused:UNUSED_PAD src0_sel:WORD_0 src1_sel:DWORD
	v_dot4c_i32_i8_e32 v52, v36, v15
	v_and_b32_e32 v15, 0x80000000, v42
	v_lshrrev_b16_e32 v55, 5, v56
	v_cmp_ne_u16_sdwa s[16:17], v15, v19 src0_sel:BYTE_3 src1_sel:DWORD
	v_bfe_i32 v55, v55, 0, 1
	v_lshrrev_b32_e32 v42, 22, v42
	v_cndmask_b32_e64 v15, 0, -1, s[16:17]
	v_bfe_i32 v43, v31, 11, 1
	v_bfe_i32 v42, v42, 0, 1
	v_lshlrev_b16_e32 v15, 8, v15
	v_lshlrev_b16_e32 v55, 8, v55
	v_or_b32_sdwa v56, v42, v15 dst_sel:WORD_1 dst_unused:UNUSED_PAD src0_sel:BYTE_0 src1_sel:DWORD
	v_or_b32_sdwa v57, v43, v55 dst_sel:DWORD dst_unused:UNUSED_PAD src0_sel:BYTE_0 src1_sel:DWORD
	v_or_b32_sdwa v56, v57, v56 dst_sel:DWORD dst_unused:UNUSED_PAD src0_sel:WORD_0 src1_sel:DWORD
	v_xor_b32_e32 v37, v37, v56
	v_and_b32_e32 v56, 0xffffff00, v37
	v_sub_i16 v55, v56, v55 clamp
	v_lshlrev_b16_e32 v56, 8, v37
	v_lshlrev_b16_e32 v43, 8, v43
	v_and_b32_e32 v55, 0xffffff00, v55
	v_sub_i16 v43, v56, v43 clamp
	v_or_b32_sdwa v43, v43, v55 dst_sel:DWORD dst_unused:UNUSED_PAD src0_sel:BYTE_1 src1_sel:DWORD
	v_and_b32_sdwa v55, v37, s21 dst_sel:DWORD dst_unused:UNUSED_PAD src0_sel:WORD_1 src1_sel:DWORD
	v_sub_i16 v15, v55, v15 clamp
	v_lshlrev_b16_sdwa v37, v46, v37 dst_sel:DWORD dst_unused:UNUSED_PAD src0_sel:DWORD src1_sel:WORD_1
	v_lshlrev_b16_e32 v42, 8, v42
	v_and_b32_e32 v15, 0xffffff00, v15
	v_sub_i16 v37, v37, v42 clamp
	v_or_b32_sdwa v15, v37, v15 dst_sel:WORD_1 dst_unused:UNUSED_PAD src0_sel:BYTE_1 src1_sel:DWORD
	v_dot4c_i32_i8_e32 v50, v30, v8
	v_or_b32_sdwa v15, v43, v15 dst_sel:DWORD dst_unused:UNUSED_PAD src0_sel:WORD_0 src1_sel:DWORD
	v_dot4c_i32_i8_e32 v52, v15, v8
	v_bfe_u32 v8, v31, 14, 8
	v_bcnt_u32_b32 v37, v8, 0
	v_and_b32_e32 v37, 1, v37
	v_lshlrev_b32_e32 v37, 7, v37
	v_xor_b32_e32 v8, v37, v8
	v_mul_lo_u32 v8, v8, s20
	v_and_b32_e32 v37, 0x8000000, v8
	v_lshrrev_b32_e32 v42, 8, v8
	v_lshrrev_b16_e32 v43, 1, v42
	v_cmp_ne_u16_sdwa s[16:17], v37, v19 src0_sel:BYTE_3 src1_sel:DWORD
	v_bfe_i32 v43, v43, 0, 1
	v_lshrrev_b32_e32 v55, 18, v8
	v_cndmask_b32_e64 v37, 0, -1, s[16:17]
	v_bfe_i32 v55, v55, 0, 1
	v_lshlrev_b16_e32 v37, 8, v37
	v_lshlrev_b16_e32 v43, 8, v43
	v_or_b32_sdwa v56, v55, v37 dst_sel:WORD_1 dst_unused:UNUSED_PAD src0_sel:BYTE_0 src1_sel:DWORD
	v_or_b32_sdwa v57, v54, v43 dst_sel:DWORD dst_unused:UNUSED_PAD src0_sel:BYTE_0 src1_sel:DWORD
	v_or_b32_sdwa v56, v57, v56 dst_sel:DWORD dst_unused:UNUSED_PAD src0_sel:WORD_0 src1_sel:DWORD
	s_waitcnt vmcnt(2)
	v_xor_b32_e32 v34, v34, v56
	v_and_b32_e32 v56, 0xffffff00, v34
	v_sub_i16 v43, v56, v43 clamp
	v_lshlrev_b16_e32 v56, 8, v34
	v_lshlrev_b16_e32 v54, 8, v54
	v_and_b32_e32 v43, 0xffffff00, v43
	v_sub_i16 v54, v56, v54 clamp
	v_or_b32_sdwa v43, v54, v43 dst_sel:DWORD dst_unused:UNUSED_PAD src0_sel:BYTE_1 src1_sel:DWORD
	v_and_b32_sdwa v54, v34, s21 dst_sel:DWORD dst_unused:UNUSED_PAD src0_sel:WORD_1 src1_sel:DWORD
	v_sub_i16 v37, v54, v37 clamp
	v_lshlrev_b16_sdwa v34, v46, v34 dst_sel:DWORD dst_unused:UNUSED_PAD src0_sel:DWORD src1_sel:WORD_1
	v_lshlrev_b16_e32 v54, 8, v55
	v_and_b32_e32 v37, 0xffffff00, v37
	v_sub_i16 v34, v34, v54 clamp
	v_or_b32_sdwa v34, v34, v37 dst_sel:WORD_1 dst_unused:UNUSED_PAD src0_sel:BYTE_1 src1_sel:DWORD
	v_dot4c_i32_i8_e32 v50, v40, v9
	v_or_b32_sdwa v34, v43, v34 dst_sel:DWORD dst_unused:UNUSED_PAD src0_sel:WORD_0 src1_sel:DWORD
	v_dot4c_i32_i8_e32 v52, v34, v9
	v_and_b32_e32 v9, 0x80000000, v8
	v_lshrrev_b16_e32 v42, 5, v42
	v_cmp_ne_u16_sdwa s[16:17], v9, v19 src0_sel:BYTE_3 src1_sel:DWORD
	v_bfe_i32 v42, v42, 0, 1
	v_lshrrev_b32_e32 v8, 22, v8
	v_cndmask_b32_e64 v9, 0, -1, s[16:17]
	v_bfe_i32 v37, v31, 18, 1
	v_bfe_i32 v8, v8, 0, 1
	v_lshlrev_b16_e32 v9, 8, v9
	v_lshlrev_b16_e32 v42, 8, v42
	v_or_b32_sdwa v43, v8, v9 dst_sel:WORD_1 dst_unused:UNUSED_PAD src0_sel:BYTE_0 src1_sel:DWORD
	v_or_b32_sdwa v54, v37, v42 dst_sel:DWORD dst_unused:UNUSED_PAD src0_sel:BYTE_0 src1_sel:DWORD
	v_or_b32_sdwa v43, v54, v43 dst_sel:DWORD dst_unused:UNUSED_PAD src0_sel:WORD_0 src1_sel:DWORD
	v_xor_b32_e32 v35, v35, v43
	v_and_b32_e32 v43, 0xffffff00, v35
	v_sub_i16 v42, v43, v42 clamp
	v_lshlrev_b16_e32 v43, 8, v35
	v_lshlrev_b16_e32 v37, 8, v37
	v_and_b32_e32 v42, 0xffffff00, v42
	v_sub_i16 v37, v43, v37 clamp
	v_or_b32_sdwa v37, v37, v42 dst_sel:DWORD dst_unused:UNUSED_PAD src0_sel:BYTE_1 src1_sel:DWORD
	v_and_b32_sdwa v42, v35, s21 dst_sel:DWORD dst_unused:UNUSED_PAD src0_sel:WORD_1 src1_sel:DWORD
	v_sub_i16 v9, v42, v9 clamp
	v_lshlrev_b16_sdwa v35, v46, v35 dst_sel:DWORD dst_unused:UNUSED_PAD src0_sel:DWORD src1_sel:WORD_1
	v_lshlrev_b16_e32 v8, 8, v8
	v_and_b32_e32 v9, 0xffffff00, v9
	v_sub_i16 v8, v35, v8 clamp
	v_or_b32_sdwa v8, v8, v9 dst_sel:WORD_1 dst_unused:UNUSED_PAD src0_sel:BYTE_1 src1_sel:DWORD
	v_dot4c_i32_i8_e32 v50, v41, v10
	v_or_b32_sdwa v35, v37, v8 dst_sel:DWORD dst_unused:UNUSED_PAD src0_sel:WORD_0 src1_sel:DWORD
	v_bfe_u32 v8, v31, 21, 8
	v_bcnt_u32_b32 v9, v8, 0
	v_and_b32_e32 v9, 1, v9
	v_lshlrev_b32_e32 v9, 7, v9
	v_xor_b32_e32 v8, v9, v8
	v_mul_lo_u32 v8, v8, s20
	v_and_b32_e32 v9, 0x8000000, v8
	v_lshrrev_b32_e32 v37, 8, v8
	v_lshrrev_b16_e32 v42, 1, v37
	v_cmp_ne_u16_sdwa s[16:17], v9, v19 src0_sel:BYTE_3 src1_sel:DWORD
	v_bfe_i32 v42, v42, 0, 1
	v_lshrrev_b32_e32 v43, 18, v8
	v_cndmask_b32_e64 v9, 0, -1, s[16:17]
	v_dot4c_i32_i8_e32 v52, v35, v10
	v_bfe_i32 v10, v31, 21, 1
	v_bfe_i32 v43, v43, 0, 1
	v_lshlrev_b16_e32 v9, 8, v9
	v_lshlrev_b16_e32 v42, 8, v42
	v_or_b32_sdwa v54, v43, v9 dst_sel:WORD_1 dst_unused:UNUSED_PAD src0_sel:BYTE_0 src1_sel:DWORD
	v_or_b32_sdwa v55, v10, v42 dst_sel:DWORD dst_unused:UNUSED_PAD src0_sel:BYTE_0 src1_sel:DWORD
	v_or_b32_sdwa v54, v55, v54 dst_sel:DWORD dst_unused:UNUSED_PAD src0_sel:WORD_0 src1_sel:DWORD
	s_waitcnt vmcnt(1)
	v_xor_b32_e32 v32, v32, v54
	v_and_b32_e32 v54, 0xffffff00, v32
	v_sub_i16 v42, v54, v42 clamp
	v_lshlrev_b16_e32 v54, 8, v32
	v_lshlrev_b16_e32 v10, 8, v10
	v_and_b32_e32 v42, 0xffffff00, v42
	v_sub_i16 v10, v54, v10 clamp
	v_or_b32_sdwa v10, v10, v42 dst_sel:DWORD dst_unused:UNUSED_PAD src0_sel:BYTE_1 src1_sel:DWORD
	v_and_b32_sdwa v42, v32, s21 dst_sel:DWORD dst_unused:UNUSED_PAD src0_sel:WORD_1 src1_sel:DWORD
	v_sub_i16 v9, v42, v9 clamp
	v_lshlrev_b16_sdwa v32, v46, v32 dst_sel:DWORD dst_unused:UNUSED_PAD src0_sel:DWORD src1_sel:WORD_1
	v_lshlrev_b16_e32 v42, 8, v43
	v_and_b32_e32 v9, 0xffffff00, v9
	v_sub_i16 v32, v32, v42 clamp
	v_or_b32_sdwa v9, v32, v9 dst_sel:WORD_1 dst_unused:UNUSED_PAD src0_sel:BYTE_1 src1_sel:DWORD
	v_dot4c_i32_i8_e32 v50, v38, v11
	v_or_b32_sdwa v42, v10, v9 dst_sel:DWORD dst_unused:UNUSED_PAD src0_sel:WORD_0 src1_sel:DWORD
	v_and_b32_e32 v9, 0x80000000, v8
	v_dot4c_i32_i8_e32 v52, v42, v11
	v_lshrrev_b16_e32 v11, 5, v37
	v_cmp_ne_u16_sdwa s[16:17], v9, v19 src0_sel:BYTE_3 src1_sel:DWORD
	v_bfe_i32 v11, v11, 0, 1
	v_lshrrev_b32_e32 v8, 22, v8
	v_cndmask_b32_e64 v9, 0, -1, s[16:17]
	v_bfe_i32 v10, v31, 25, 1
	v_bfe_i32 v8, v8, 0, 1
	v_lshlrev_b16_e32 v9, 8, v9
	v_lshlrev_b16_e32 v11, 8, v11
	v_or_b32_sdwa v32, v8, v9 dst_sel:WORD_1 dst_unused:UNUSED_PAD src0_sel:BYTE_0 src1_sel:DWORD
	v_or_b32_sdwa v37, v10, v11 dst_sel:DWORD dst_unused:UNUSED_PAD src0_sel:BYTE_0 src1_sel:DWORD
	v_or_b32_sdwa v32, v37, v32 dst_sel:DWORD dst_unused:UNUSED_PAD src0_sel:WORD_0 src1_sel:DWORD
	v_xor_b32_e32 v32, v33, v32
	v_and_b32_e32 v33, 0xffffff00, v32
	v_sub_i16 v11, v33, v11 clamp
	v_lshlrev_b16_e32 v33, 8, v32
	v_lshlrev_b16_e32 v10, 8, v10
	v_and_b32_e32 v11, 0xffffff00, v11
	v_sub_i16 v10, v33, v10 clamp
	v_or_b32_sdwa v10, v10, v11 dst_sel:DWORD dst_unused:UNUSED_PAD src0_sel:BYTE_1 src1_sel:DWORD
	v_and_b32_sdwa v11, v32, s21 dst_sel:DWORD dst_unused:UNUSED_PAD src0_sel:WORD_1 src1_sel:DWORD
	v_sub_i16 v9, v11, v9 clamp
	v_lshlrev_b16_sdwa v11, v46, v32 dst_sel:DWORD dst_unused:UNUSED_PAD src0_sel:DWORD src1_sel:WORD_1
	v_lshlrev_b16_e32 v8, 8, v8
	v_and_b32_e32 v9, 0xffffff00, v9
	v_sub_i16 v8, v11, v8 clamp
	v_or_b32_sdwa v8, v8, v9 dst_sel:WORD_1 dst_unused:UNUSED_PAD src0_sel:BYTE_1 src1_sel:DWORD
	v_lshrrev_b32_e32 v9, 27, v29
	v_dot4c_i32_i8_e32 v50, v39, v49
	v_or_b32_e32 v29, 1, v9
	v_or_b32_sdwa v37, v10, v8 dst_sel:DWORD dst_unused:UNUSED_PAD src0_sel:WORD_0 src1_sel:DWORD
	v_lshrrev_b32_e32 v8, 27, v31
	v_mul_lo_u32 v9, v50, v29
	v_ashrrev_i32_e32 v10, 31, v9
	v_dot4c_i32_i8_e32 v52, v37, v49
	v_or_b32_e32 v31, 1, v8
	v_lshrrev_b32_e32 v10, 29, v10
	v_add_u32_e32 v9, v9, v10
	v_mul_lo_u32 v8, v52, v31
	v_ashrrev_i32_e32 v32, 3, v9
	v_ashrrev_i32_e32 v9, 31, v8
	v_lshrrev_b32_e32 v9, 29, v9
	v_add_u32_e32 v8, v8, v9
	v_ashrrev_i32_e32 v33, 3, v8
	s_waitcnt vmcnt(0)
	v_cvt_f32_f16_e32 v9, v53
	v_cvt_f32_f16_e32 v8, v51
	v_cvt_f32_i32_e32 v33, v33
	v_cvt_f32_i32_e32 v32, v32
	v_pk_mul_f32 v[10:11], v[12:13], v[8:9] op_sel_hi:[0,1]
	v_pk_fma_f32 v[0:1], v[10:11], v[32:33], v[0:1]
	v_mad_u64_u32 v[10:11], s[16:17], v44, 36, s[24:25]
	v_mad_u64_u32 v[10:11], s[16:17], v20, 36, v[10:11]
	global_load_dword v12, v[10:11], off offset:32
	global_load_dwordx4 v[50:53], v[10:11], off offset:16
	global_load_dwordx4 v[54:57], v[10:11], off
	v_mov_b32_e32 v11, 0
	v_mov_b32_e32 v32, 0
	v_add_u32_e32 v44, 0x80, v44
	s_waitcnt vmcnt(0)
	v_dot4c_i32_i8_e32 v11, v47, v55
	v_dot4c_i32_i8_e32 v11, v48, v56
	;; [unrolled: 1-line block ×16, first 2 shown]
	v_cvt_f32_f16_e32 v10, v54
	v_mul_lo_u32 v11, v11, v29
	s_nop 0
	v_mul_lo_u32 v12, v32, v31
	v_ashrrev_i32_e32 v32, 31, v11
	v_lshrrev_b32_e32 v32, 29, v32
	v_add_u32_e32 v11, v11, v32
	v_ashrrev_i32_e32 v32, 3, v11
	v_ashrrev_i32_e32 v11, 31, v12
	v_lshrrev_b32_e32 v11, 29, v11
	v_add_u32_e32 v11, v12, v11
	v_ashrrev_i32_e32 v12, 3, v11
	v_cvt_f32_i32_e32 v33, v12
	v_cvt_f32_i32_e32 v32, v32
	v_pk_mul_f32 v[10:11], v[10:11], v[8:9] op_sel_hi:[0,1]
	v_pk_fma_f32 v[2:3], v[10:11], v[32:33], v[2:3]
	v_mad_u64_u32 v[10:11], s[16:17], v23, 36, s[24:25]
	v_mad_u64_u32 v[10:11], s[16:17], v20, 36, v[10:11]
	global_load_dword v12, v[10:11], off offset:32
	global_load_dwordx4 v[50:53], v[10:11], off offset:16
	global_load_dwordx4 v[54:57], v[10:11], off
	v_mov_b32_e32 v11, 0
	v_mov_b32_e32 v32, 0
	v_add_u32_e32 v23, 0x80, v23
	s_waitcnt vmcnt(0)
	v_dot4c_i32_i8_e32 v11, v47, v55
	v_dot4c_i32_i8_e32 v11, v48, v56
	v_dot4c_i32_i8_e32 v32, v28, v55
	v_dot4c_i32_i8_e32 v32, v13, v56
	v_dot4c_i32_i8_e32 v11, v14, v57
	v_dot4c_i32_i8_e32 v11, v30, v50
	v_dot4c_i32_i8_e32 v32, v36, v57
	v_dot4c_i32_i8_e32 v11, v40, v51
	v_dot4c_i32_i8_e32 v32, v15, v50
	v_dot4c_i32_i8_e32 v11, v41, v52
	v_dot4c_i32_i8_e32 v32, v34, v51
	v_dot4c_i32_i8_e32 v11, v38, v53
	v_dot4c_i32_i8_e32 v32, v35, v52
	v_dot4c_i32_i8_e32 v11, v39, v12
	v_dot4c_i32_i8_e32 v32, v42, v53
	v_dot4c_i32_i8_e32 v32, v37, v12
	v_cvt_f32_f16_e32 v10, v54
	v_mul_lo_u32 v11, v11, v29
	s_nop 0
	v_mul_lo_u32 v12, v32, v31
	v_ashrrev_i32_e32 v32, 31, v11
	v_lshrrev_b32_e32 v32, 29, v32
	v_add_u32_e32 v11, v11, v32
	v_ashrrev_i32_e32 v32, 3, v11
	v_ashrrev_i32_e32 v11, 31, v12
	v_lshrrev_b32_e32 v11, 29, v11
	v_add_u32_e32 v11, v12, v11
	v_ashrrev_i32_e32 v12, 3, v11
	v_cvt_f32_i32_e32 v33, v12
	v_cvt_f32_i32_e32 v32, v32
	v_pk_mul_f32 v[10:11], v[10:11], v[8:9] op_sel_hi:[0,1]
	v_pk_fma_f32 v[4:5], v[10:11], v[32:33], v[4:5]
	v_mad_u64_u32 v[10:11], s[16:17], v22, 36, s[24:25]
	v_mad_u64_u32 v[10:11], s[16:17], v20, 36, v[10:11]
	global_load_dword v12, v[10:11], off offset:32
	global_load_dwordx4 v[50:53], v[10:11], off offset:16
	global_load_dwordx4 v[54:57], v[10:11], off
	v_mov_b32_e32 v11, 0
	v_mov_b32_e32 v32, 0
	v_add_u32_e32 v22, 0x80, v22
	s_waitcnt vmcnt(0)
	v_dot4c_i32_i8_e32 v11, v47, v55
	v_dot4c_i32_i8_e32 v11, v48, v56
	;; [unrolled: 1-line block ×15, first 2 shown]
	v_mul_lo_u32 v11, v11, v29
	v_ashrrev_i32_e32 v13, 31, v11
	v_dot4c_i32_i8_e32 v32, v37, v12
	v_lshrrev_b32_e32 v13, 29, v13
	v_add_u32_e32 v11, v11, v13
	v_cvt_f32_f16_e32 v10, v54
	v_mul_lo_u32 v12, v32, v31
	v_ashrrev_i32_e32 v13, 3, v11
	v_ashrrev_i32_e32 v11, 31, v12
	v_lshrrev_b32_e32 v11, 29, v11
	v_add_u32_e32 v11, v12, v11
	v_ashrrev_i32_e32 v11, 3, v11
	v_pk_mul_f32 v[8:9], v[10:11], v[8:9] op_sel_hi:[0,1]
	v_cvt_f32_i32_e32 v11, v11
	v_cvt_f32_i32_e32 v10, v13
	v_pk_fma_f32 v[6:7], v[8:9], v[10:11], v[6:7]
	s_andn2_b64 exec, exec, s[8:9]
	s_cbranch_execnz .LBB163_2
; %bb.3:
	s_or_b64 exec, exec, s[8:9]
	scratch_store_dwordx4 off, v[0:3], off
	scratch_store_dwordx4 off, v[4:7], off offset:16
.LBB163_4:
	s_or_b64 exec, exec, s[6:7]
	v_cmp_eq_u32_e32 vcc, 0, v17
	v_cmp_ne_u32_e64 s[6:7], 0, v17
	v_lshlrev_b32_e32 v8, 2, v16
	s_and_saveexec_b64 s[8:9], s[6:7]
	s_cbranch_execz .LBB163_6
; %bb.5:
	v_lshlrev_b32_e32 v9, 11, v17
	s_movk_i32 s2, 0xf800
	v_add3_u32 v9, v9, v8, s2
	ds_write2st64_b32 v9, v0, v1 offset1:1
	ds_write2st64_b32 v9, v2, v3 offset0:2 offset1:3
	ds_write2st64_b32 v9, v4, v5 offset0:4 offset1:5
	;; [unrolled: 1-line block ×3, first 2 shown]
.LBB163_6:
	s_or_b64 exec, exec, s[8:9]
	s_waitcnt lgkmcnt(0)
	s_barrier
	s_and_saveexec_b64 s[6:7], vcc
	s_cbranch_execz .LBB163_15
; %bb.7:
	scratch_load_dwordx2 v[2:3], off, off
	v_mbcnt_lo_u32_b32 v0, -1, 0
	ds_read2st64_b32 v[4:5], v8 offset1:1
	v_mbcnt_hi_u32_b32 v9, -1, v0
	v_and_b32_e32 v0, 64, v9
	v_xor_b32_e32 v1, 32, v9
	v_add_u32_e32 v12, 64, v0
	v_cmp_lt_i32_e32 vcc, v1, v12
	v_xor_b32_e32 v6, 16, v9
	v_xor_b32_e32 v10, 8, v9
	v_cndmask_b32_e32 v0, v9, v1, vcc
	v_lshlrev_b32_e32 v0, 2, v0
	v_cmp_lt_i32_e32 vcc, v6, v12
	v_xor_b32_e32 v11, 4, v9
	v_xor_b32_e32 v13, 2, v9
	v_cndmask_b32_e32 v1, v9, v6, vcc
	v_lshlrev_b32_e32 v1, 2, v1
	v_cmp_lt_i32_e32 vcc, v10, v12
	v_xor_b32_e32 v14, 1, v9
	s_load_dwordx2 s[0:1], s[0:1], 0x38
	s_mul_i32 s2, s3, s14
	s_mul_i32 s4, s4, s18
	s_add_i32 s2, s2, s5
	s_mov_b32 s3, 0
	s_add_i32 s2, s2, s4
	s_lshl_b64 s[2:3], s[2:3], 2
	s_waitcnt lgkmcnt(0)
	s_add_u32 s2, s0, s2
	s_addc_u32 s3, s1, s3
	s_waitcnt vmcnt(0)
	v_pk_add_f32 v[2:3], v[4:5], v[2:3]
	ds_bpermute_b32 v4, v0, v2
	ds_bpermute_b32 v5, v0, v3
	s_waitcnt lgkmcnt(0)
	v_pk_add_f32 v[4:5], v[2:3], v[4:5]
	ds_bpermute_b32 v6, v1, v4
	ds_bpermute_b32 v7, v1, v5
	v_cndmask_b32_e32 v2, v9, v10, vcc
	v_lshlrev_b32_e32 v2, 2, v2
	v_cmp_lt_i32_e32 vcc, v11, v12
	s_waitcnt lgkmcnt(0)
	v_pk_add_f32 v[4:5], v[4:5], v[6:7]
	ds_bpermute_b32 v6, v2, v4
	ds_bpermute_b32 v7, v2, v5
	v_cndmask_b32_e32 v3, v9, v11, vcc
	v_lshlrev_b32_e32 v3, 2, v3
	v_cmp_lt_i32_e32 vcc, v13, v12
	;; [unrolled: 7-line block ×3, first 2 shown]
	s_waitcnt lgkmcnt(0)
	v_pk_add_f32 v[6:7], v[6:7], v[10:11]
	ds_bpermute_b32 v10, v4, v6
	ds_bpermute_b32 v11, v4, v7
	v_cndmask_b32_e32 v5, v9, v14, vcc
	v_lshlrev_b32_e32 v5, 2, v5
	v_or_b32_e32 v9, s5, v16
	v_cmp_gt_u32_e32 vcc, 2, v16
	s_waitcnt lgkmcnt(0)
	v_pk_add_f32 v[6:7], v[6:7], v[10:11]
	ds_bpermute_b32 v10, v5, v6
	ds_bpermute_b32 v11, v5, v7
	v_cmp_gt_u32_e64 s[0:1], s10, v9
	s_and_b64 s[0:1], vcc, s[0:1]
	s_waitcnt lgkmcnt(0)
	v_pk_add_f32 v[6:7], v[6:7], v[10:11]
	scratch_store_dwordx2 off, v[6:7], off
	s_and_saveexec_b64 s[4:5], s[0:1]
	s_cbranch_execz .LBB163_9
; %bb.8:
	scratch_load_dword v6, v8, off
	s_waitcnt vmcnt(0)
	global_store_dword v8, v6, s[2:3]
.LBB163_9:
	s_or_b64 exec, exec, s[4:5]
	scratch_load_dwordx2 v[6:7], off, off offset:8
	ds_read2st64_b32 v[10:11], v8 offset0:2 offset1:3
	s_waitcnt vmcnt(0) lgkmcnt(0)
	v_pk_add_f32 v[6:7], v[10:11], v[6:7]
	ds_bpermute_b32 v10, v0, v6
	ds_bpermute_b32 v11, v0, v7
	s_waitcnt lgkmcnt(0)
	v_pk_add_f32 v[6:7], v[6:7], v[10:11]
	ds_bpermute_b32 v10, v1, v6
	ds_bpermute_b32 v11, v1, v7
	s_waitcnt lgkmcnt(0)
	;; [unrolled: 4-line block ×6, first 2 shown]
	v_pk_add_f32 v[6:7], v[6:7], v[10:11]
	scratch_store_dwordx2 off, v[6:7], off offset:8
	s_and_saveexec_b64 s[4:5], s[0:1]
	s_cbranch_execz .LBB163_11
; %bb.10:
	scratch_load_dword v9, v8, off offset:8
	v_add_u32_e32 v6, s10, v16
	v_mov_b32_e32 v7, 0
	v_lshl_add_u64 v[6:7], v[6:7], 2, s[2:3]
	s_waitcnt vmcnt(0)
	global_store_dword v[6:7], v9, off
.LBB163_11:
	s_or_b64 exec, exec, s[4:5]
	scratch_load_dwordx2 v[6:7], off, off offset:16
	ds_read2st64_b32 v[10:11], v8 offset0:4 offset1:5
	s_waitcnt vmcnt(0) lgkmcnt(0)
	v_pk_add_f32 v[6:7], v[10:11], v[6:7]
	ds_bpermute_b32 v10, v0, v6
	ds_bpermute_b32 v11, v0, v7
	s_waitcnt lgkmcnt(0)
	v_pk_add_f32 v[6:7], v[6:7], v[10:11]
	ds_bpermute_b32 v10, v1, v6
	ds_bpermute_b32 v11, v1, v7
	s_waitcnt lgkmcnt(0)
	;; [unrolled: 4-line block ×6, first 2 shown]
	v_pk_add_f32 v[6:7], v[6:7], v[10:11]
	scratch_store_dwordx2 off, v[6:7], off offset:16
	s_and_saveexec_b64 s[4:5], s[0:1]
	s_cbranch_execz .LBB163_13
; %bb.12:
	scratch_load_dword v9, v8, off offset:16
	v_lshl_or_b32 v6, s10, 1, v16
	v_mov_b32_e32 v7, 0
	v_lshl_add_u64 v[6:7], v[6:7], 2, s[2:3]
	s_waitcnt vmcnt(0)
	global_store_dword v[6:7], v9, off
.LBB163_13:
	s_or_b64 exec, exec, s[4:5]
	scratch_load_dwordx2 v[6:7], off, off offset:24
	ds_read2st64_b32 v[10:11], v8 offset0:6 offset1:7
	s_waitcnt vmcnt(0) lgkmcnt(0)
	v_pk_add_f32 v[6:7], v[10:11], v[6:7]
	ds_bpermute_b32 v10, v0, v6
	ds_bpermute_b32 v11, v0, v7
	s_waitcnt lgkmcnt(0)
	v_pk_add_f32 v[6:7], v[6:7], v[10:11]
	ds_bpermute_b32 v0, v1, v6
	ds_bpermute_b32 v1, v1, v7
	s_waitcnt lgkmcnt(0)
	;; [unrolled: 4-line block ×6, first 2 shown]
	v_pk_add_f32 v[0:1], v[0:1], v[2:3]
	scratch_store_dwordx2 off, v[0:1], off offset:24
	s_and_b64 exec, exec, s[0:1]
	s_cbranch_execz .LBB163_15
; %bb.14:
	scratch_load_dword v2, v8, off offset:24
	v_mad_u64_u32 v[0:1], s[0:1], s10, 3, v[16:17]
	v_mov_b32_e32 v1, 0
	v_lshl_add_u64 v[0:1], v[0:1], 2, s[2:3]
	s_waitcnt vmcnt(0)
	global_store_dword v[0:1], v2, off
.LBB163_15:
	s_endpgm
	.section	.rodata,"a",@progbits
	.p2align	6, 0x0
	.amdhsa_kernel _ZL13mul_mat_vec_qIL9ggml_type16ELi4ELb0ELb0EEvPKvS2_PKi31ggml_cuda_mm_fusion_args_devicePfj15HIP_vector_typeIjLj3EEjjjS8_jjjS8_jjjj
		.amdhsa_group_segment_fixed_size 2048
		.amdhsa_private_segment_fixed_size 48
		.amdhsa_kernarg_size 144
		.amdhsa_user_sgpr_count 2
		.amdhsa_user_sgpr_dispatch_ptr 0
		.amdhsa_user_sgpr_queue_ptr 0
		.amdhsa_user_sgpr_kernarg_segment_ptr 1
		.amdhsa_user_sgpr_dispatch_id 0
		.amdhsa_user_sgpr_kernarg_preload_length 0
		.amdhsa_user_sgpr_kernarg_preload_offset 0
		.amdhsa_user_sgpr_private_segment_size 0
		.amdhsa_uses_dynamic_stack 0
		.amdhsa_enable_private_segment 1
		.amdhsa_system_sgpr_workgroup_id_x 1
		.amdhsa_system_sgpr_workgroup_id_y 1
		.amdhsa_system_sgpr_workgroup_id_z 1
		.amdhsa_system_sgpr_workgroup_info 0
		.amdhsa_system_vgpr_workitem_id 1
		.amdhsa_next_free_vgpr 63
		.amdhsa_next_free_sgpr 30
		.amdhsa_accum_offset 64
		.amdhsa_reserve_vcc 1
		.amdhsa_float_round_mode_32 0
		.amdhsa_float_round_mode_16_64 0
		.amdhsa_float_denorm_mode_32 3
		.amdhsa_float_denorm_mode_16_64 3
		.amdhsa_dx10_clamp 1
		.amdhsa_ieee_mode 1
		.amdhsa_fp16_overflow 0
		.amdhsa_tg_split 0
		.amdhsa_exception_fp_ieee_invalid_op 0
		.amdhsa_exception_fp_denorm_src 0
		.amdhsa_exception_fp_ieee_div_zero 0
		.amdhsa_exception_fp_ieee_overflow 0
		.amdhsa_exception_fp_ieee_underflow 0
		.amdhsa_exception_fp_ieee_inexact 0
		.amdhsa_exception_int_div_zero 0
	.end_amdhsa_kernel
	.section	.text._ZL13mul_mat_vec_qIL9ggml_type16ELi4ELb0ELb0EEvPKvS2_PKi31ggml_cuda_mm_fusion_args_devicePfj15HIP_vector_typeIjLj3EEjjjS8_jjjS8_jjjj,"axG",@progbits,_ZL13mul_mat_vec_qIL9ggml_type16ELi4ELb0ELb0EEvPKvS2_PKi31ggml_cuda_mm_fusion_args_devicePfj15HIP_vector_typeIjLj3EEjjjS8_jjjS8_jjjj,comdat
.Lfunc_end163:
	.size	_ZL13mul_mat_vec_qIL9ggml_type16ELi4ELb0ELb0EEvPKvS2_PKi31ggml_cuda_mm_fusion_args_devicePfj15HIP_vector_typeIjLj3EEjjjS8_jjjS8_jjjj, .Lfunc_end163-_ZL13mul_mat_vec_qIL9ggml_type16ELi4ELb0ELb0EEvPKvS2_PKi31ggml_cuda_mm_fusion_args_devicePfj15HIP_vector_typeIjLj3EEjjjS8_jjjS8_jjjj
                                        ; -- End function
	.section	.AMDGPU.csdata,"",@progbits
; Kernel info:
; codeLenInByte = 6360
; NumSgprs: 36
; NumVgprs: 63
; NumAgprs: 0
; TotalNumVgprs: 63
; ScratchSize: 48
; MemoryBound: 0
; FloatMode: 240
; IeeeMode: 1
; LDSByteSize: 2048 bytes/workgroup (compile time only)
; SGPRBlocks: 4
; VGPRBlocks: 7
; NumSGPRsForWavesPerEU: 36
; NumVGPRsForWavesPerEU: 63
; AccumOffset: 64
; Occupancy: 8
; WaveLimiterHint : 0
; COMPUTE_PGM_RSRC2:SCRATCH_EN: 1
; COMPUTE_PGM_RSRC2:USER_SGPR: 2
; COMPUTE_PGM_RSRC2:TRAP_HANDLER: 0
; COMPUTE_PGM_RSRC2:TGID_X_EN: 1
; COMPUTE_PGM_RSRC2:TGID_Y_EN: 1
; COMPUTE_PGM_RSRC2:TGID_Z_EN: 1
; COMPUTE_PGM_RSRC2:TIDIG_COMP_CNT: 1
; COMPUTE_PGM_RSRC3_GFX90A:ACCUM_OFFSET: 15
; COMPUTE_PGM_RSRC3_GFX90A:TG_SPLIT: 0
	.section	.text._ZL13mul_mat_vec_qIL9ggml_type16ELi5ELb0ELb0EEvPKvS2_PKi31ggml_cuda_mm_fusion_args_devicePfj15HIP_vector_typeIjLj3EEjjjS8_jjjS8_jjjj,"axG",@progbits,_ZL13mul_mat_vec_qIL9ggml_type16ELi5ELb0ELb0EEvPKvS2_PKi31ggml_cuda_mm_fusion_args_devicePfj15HIP_vector_typeIjLj3EEjjjS8_jjjS8_jjjj,comdat
	.globl	_ZL13mul_mat_vec_qIL9ggml_type16ELi5ELb0ELb0EEvPKvS2_PKi31ggml_cuda_mm_fusion_args_devicePfj15HIP_vector_typeIjLj3EEjjjS8_jjjS8_jjjj ; -- Begin function _ZL13mul_mat_vec_qIL9ggml_type16ELi5ELb0ELb0EEvPKvS2_PKi31ggml_cuda_mm_fusion_args_devicePfj15HIP_vector_typeIjLj3EEjjjS8_jjjS8_jjjj
	.p2align	8
	.type	_ZL13mul_mat_vec_qIL9ggml_type16ELi5ELb0ELb0EEvPKvS2_PKi31ggml_cuda_mm_fusion_args_devicePfj15HIP_vector_typeIjLj3EEjjjS8_jjjS8_jjjj,@function
_ZL13mul_mat_vec_qIL9ggml_type16ELi5ELb0ELb0EEvPKvS2_PKi31ggml_cuda_mm_fusion_args_devicePfj15HIP_vector_typeIjLj3EEjjjS8_jjjS8_jjjj: ; @_ZL13mul_mat_vec_qIL9ggml_type16ELi5ELb0ELb0EEvPKvS2_PKi31ggml_cuda_mm_fusion_args_devicePfj15HIP_vector_typeIjLj3EEjjjS8_jjjS8_jjjj
; %bb.0:
	v_bfe_u32 v17, v0, 10, 10
	v_and_b32_e32 v16, 0x3ff, v0
	s_mov_b32 s20, 0
	s_load_dword s5, s[0:1], 0x40
	s_load_dwordx4 s[8:11], s[0:1], 0x50
	s_load_dword s27, s[0:1], 0x60
	s_load_dwordx4 s[12:15], s[0:1], 0x68
	s_load_dword s26, s[0:1], 0x78
	s_load_dwordx4 s[16:19], s[0:1], 0x80
	v_lshl_or_b32 v4, v17, 6, v16
	s_mov_b32 s21, s20
	s_waitcnt lgkmcnt(0)
	s_lshr_b32 s5, s5, 8
	v_mov_b32_e32 v19, 0
	s_mov_b32 s22, s20
	s_mov_b32 s23, s20
	v_mov_b64_e32 v[0:1], s[20:21]
	v_lshrrev_b32_e32 v21, 3, v4
	s_lshl_b32 s2, s2, 1
	v_mov_b32_e32 v18, v19
	v_mov_b64_e32 v[2:3], s[22:23]
	v_cmp_gt_u32_e32 vcc, s5, v21
	scratch_store_dwordx2 off, v[18:19], off offset:32
	scratch_store_dwordx4 off, v[0:3], off offset:16
	scratch_store_dwordx4 off, v[0:3], off
	s_and_saveexec_b64 s[6:7], vcc
	s_cbranch_execz .LBB164_4
; %bb.1:
	s_load_dwordx4 s[20:23], s[0:1], 0x0
	s_mul_i32 s17, s4, s17
	s_mul_i32 s24, s17, 36
	;; [unrolled: 1-line block ×3, first 2 shown]
	s_mul_hi_u32 s19, s17, 36
	s_waitcnt lgkmcnt(0)
	s_add_u32 s24, s22, s24
	s_addc_u32 s19, s23, s19
	s_mul_i32 s28, s13, 36
	s_mul_hi_u32 s29, s13, 36
	s_add_u32 s24, s24, s28
	s_mul_hi_u32 s11, s11, s3
	s_addc_u32 s25, s19, s29
	s_add_i32 s11, s3, s11
	s_lshr_b32 s11, s11, s27
	s_mul_i32 s11, s11, s12
	s_mul_hi_u32 s12, s15, s4
	s_add_i32 s12, s4, s12
	s_lshr_b32 s12, s12, s26
	s_mul_i32 s12, s12, s16
	s_mul_i32 s13, s2, s8
	s_add_i32 s12, s12, s11
	s_add_i32 s11, s12, s13
	;; [unrolled: 1-line block ×3, first 2 shown]
	s_mul_i32 s8, s8, s13
	v_lshl_add_u32 v1, v17, 6, v16
	s_add_i32 s8, s12, s8
	v_lshrrev_b32_e32 v1, 3, v1
	s_movk_i32 s12, 0x120
	v_mov_b64_e32 v[2:3], s[28:29]
	v_mad_u64_u32 v[2:3], s[12:13], v1, s12, v[2:3]
	v_lshlrev_b32_e32 v0, 1, v16
	v_and_b32_e32 v20, 7, v16
	v_mad_u64_u32 v[2:3], s[12:13], s17, 36, v[2:3]
	v_and_b32_e32 v0, 14, v0
	v_mad_u64_u32 v[2:3], s[12:13], v20, 36, v[2:3]
	v_lshlrev_b32_e32 v0, 1, v0
	v_lshl_add_u64 v[2:3], v[2:3], 0, s[22:23]
	v_lshlrev_b32_e32 v44, 3, v21
	s_lshl_b32 s15, s9, 2
	s_mul_i32 s19, s9, 3
	s_lshl_b32 s26, s9, 1
	v_lshl_add_u64 v[22:23], v[2:3], 0, 16
	s_mov_b64 s[12:13], 0
	s_movk_i32 s22, 0x42
	v_mov_b64_e32 v[24:25], s[20:21]
	v_lshlrev_b32_e32 v18, 1, v0
	s_mov_b32 s23, 0x1010101
	s_movk_i32 s27, 0xff00
	s_mov_b64 s[16:17], 0x900
	v_mov_b32_e32 v45, 3
	v_mov_b32_e32 v46, 8
	;; [unrolled: 1-line block ×12, first 2 shown]
.LBB164_2:                              ; =>This Inner Loop Header: Depth=1
	v_add_u32_e32 v28, s11, v21
	v_mad_i64_i32 v[30:31], s[20:21], v28, s22, v[24:25]
	v_lshl_add_u64 v[28:29], v[30:31], 0, v[18:19]
	global_load_dword v49, v[22:23], off offset:16
	global_load_dwordx4 v[8:11], v[22:23], off
	global_load_dwordx4 v[12:15], v[22:23], off offset:-16
	s_getpc_b64 s[20:21]
	s_add_u32 s20, s20, _ZL11iq2xxs_grid@rel32@lo+4
	s_addc_u32 s21, s21, _ZL11iq2xxs_grid@rel32@hi+12
	global_load_dwordx2 v[28:29], v[28:29], off offset:2
	v_mov_b32_e32 v50, 0
	v_lshl_add_u64 v[22:23], v[22:23], 0, s[16:17]
	s_waitcnt vmcnt(1)
	v_cvt_f32_f16_e32 v12, v12
	s_waitcnt vmcnt(0)
	v_lshlrev_b32_sdwa v32, v45, v28 dst_sel:DWORD dst_unused:UNUSED_PAD src0_sel:DWORD src1_sel:BYTE_0
	global_load_dwordx2 v[32:33], v32, s[20:21]
	v_and_b32_e32 v34, 0xff, v29
	v_bcnt_u32_b32 v35, v34, 0
	v_and_b32_e32 v35, 1, v35
	v_lshlrev_b32_e32 v35, 7, v35
	v_xor_b32_e32 v34, v35, v34
	v_mul_lo_u32 v34, v34, s23
	v_and_b32_e32 v35, 0x8000000, v34
	v_lshrrev_b32_e32 v37, 8, v34
	v_lshrrev_b16_e32 v38, 1, v37
	v_cmp_ne_u16_sdwa s[28:29], v35, v19 src0_sel:BYTE_3 src1_sel:DWORD
	v_and_b32_e32 v36, 1, v29
	v_bfe_i32 v38, v38, 0, 1
	v_lshrrev_b32_e32 v39, 18, v34
	v_cndmask_b32_e64 v35, 0, -1, s[28:29]
	v_sub_u16_e32 v36, 0, v36
	v_bfe_i32 v39, v39, 0, 1
	v_lshlrev_b16_e32 v35, 8, v35
	v_lshlrev_b16_e32 v38, 8, v38
	v_or_b32_sdwa v40, v39, v35 dst_sel:WORD_1 dst_unused:UNUSED_PAD src0_sel:BYTE_0 src1_sel:DWORD
	v_or_b32_sdwa v41, v36, v38 dst_sel:DWORD dst_unused:UNUSED_PAD src0_sel:BYTE_0 src1_sel:DWORD
	v_or_b32_sdwa v40, v41, v40 dst_sel:DWORD dst_unused:UNUSED_PAD src0_sel:WORD_0 src1_sel:DWORD
	v_lshlrev_b16_e32 v36, 8, v36
	v_bfe_i32 v58, v29, 7, 1
	v_bfe_i32 v59, v29, 14, 1
	s_waitcnt vmcnt(0)
	v_xor_b32_e32 v32, v32, v40
	v_and_b32_e32 v40, 0xffffff00, v32
	v_sub_i16 v38, v40, v38 clamp
	v_lshlrev_b16_e32 v40, 8, v32
	v_and_b32_e32 v38, 0xffffff00, v38
	v_sub_i16 v36, v40, v36 clamp
	v_or_b32_sdwa v36, v36, v38 dst_sel:DWORD dst_unused:UNUSED_PAD src0_sel:BYTE_1 src1_sel:DWORD
	v_and_b32_sdwa v38, v32, s27 dst_sel:DWORD dst_unused:UNUSED_PAD src0_sel:WORD_1 src1_sel:DWORD
	v_sub_i16 v35, v38, v35 clamp
	v_lshlrev_b16_sdwa v32, v46, v32 dst_sel:DWORD dst_unused:UNUSED_PAD src0_sel:DWORD src1_sel:WORD_1
	v_lshlrev_b16_e32 v38, 8, v39
	v_and_b32_e32 v35, 0xffffff00, v35
	v_sub_i16 v32, v32, v38 clamp
	v_or_b32_sdwa v32, v32, v35 dst_sel:WORD_1 dst_unused:UNUSED_PAD src0_sel:BYTE_1 src1_sel:DWORD
	v_bfe_i32 v35, v29, 4, 1
	v_or_b32_sdwa v47, v36, v32 dst_sel:DWORD dst_unused:UNUSED_PAD src0_sel:WORD_0 src1_sel:DWORD
	v_and_b32_e32 v32, 0x80000000, v34
	v_lshrrev_b16_e32 v36, 5, v37
	v_cmp_ne_u16_sdwa s[28:29], v32, v19 src0_sel:BYTE_3 src1_sel:DWORD
	v_bfe_i32 v36, v36, 0, 1
	v_lshrrev_b32_e32 v34, 22, v34
	v_cndmask_b32_e64 v32, 0, -1, s[28:29]
	v_bfe_i32 v34, v34, 0, 1
	v_lshlrev_b16_e32 v32, 8, v32
	v_lshlrev_b16_e32 v36, 8, v36
	v_or_b32_sdwa v37, v34, v32 dst_sel:WORD_1 dst_unused:UNUSED_PAD src0_sel:BYTE_0 src1_sel:DWORD
	v_or_b32_sdwa v38, v35, v36 dst_sel:DWORD dst_unused:UNUSED_PAD src0_sel:BYTE_0 src1_sel:DWORD
	v_or_b32_sdwa v37, v38, v37 dst_sel:DWORD dst_unused:UNUSED_PAD src0_sel:WORD_0 src1_sel:DWORD
	v_xor_b32_e32 v33, v33, v37
	v_and_b32_e32 v37, 0xffffff00, v33
	v_sub_i16 v36, v37, v36 clamp
	v_lshlrev_b16_e32 v37, 8, v33
	v_lshlrev_b16_e32 v35, 8, v35
	v_and_b32_e32 v36, 0xffffff00, v36
	v_sub_i16 v35, v37, v35 clamp
	v_or_b32_sdwa v35, v35, v36 dst_sel:DWORD dst_unused:UNUSED_PAD src0_sel:BYTE_1 src1_sel:DWORD
	v_and_b32_sdwa v36, v33, s27 dst_sel:DWORD dst_unused:UNUSED_PAD src0_sel:WORD_1 src1_sel:DWORD
	v_sub_i16 v32, v36, v32 clamp
	v_lshlrev_b16_sdwa v33, v46, v33 dst_sel:DWORD dst_unused:UNUSED_PAD src0_sel:DWORD src1_sel:WORD_1
	v_lshlrev_b16_e32 v34, 8, v34
	v_and_b32_e32 v32, 0xffffff00, v32
	v_sub_i16 v33, v33, v34 clamp
	v_or_b32_sdwa v32, v33, v32 dst_sel:WORD_1 dst_unused:UNUSED_PAD src0_sel:BYTE_1 src1_sel:DWORD
	v_dot4c_i32_i8_e32 v50, v47, v13
	v_or_b32_sdwa v48, v35, v32 dst_sel:DWORD dst_unused:UNUSED_PAD src0_sel:WORD_0 src1_sel:DWORD
	v_lshlrev_b32_sdwa v32, v45, v28 dst_sel:DWORD dst_unused:UNUSED_PAD src0_sel:DWORD src1_sel:BYTE_1
	global_load_dwordx2 v[42:43], v32, s[20:21]
	v_lshlrev_b32_sdwa v32, v45, v28 dst_sel:DWORD dst_unused:UNUSED_PAD src0_sel:DWORD src1_sel:BYTE_2
	v_lshlrev_b32_sdwa v28, v45, v28 dst_sel:DWORD dst_unused:UNUSED_PAD src0_sel:DWORD src1_sel:BYTE_3
	global_load_dwordx2 v[40:41], v32, s[20:21]
	global_load_dwordx2 v[38:39], v28, s[20:21]
	global_load_ushort v51, v[30:31], off
	v_add_u32_e32 v28, s8, v21
	v_mad_i64_i32 v[56:57], s[28:29], v28, s22, v[24:25]
	v_lshl_add_u64 v[30:31], v[56:57], 0, v[18:19]
	global_load_dwordx2 v[30:31], v[30:31], off offset:2
	v_dot4c_i32_i8_e32 v50, v48, v14
	v_add_u32_e32 v21, 8, v21
	v_cmp_le_u32_e32 vcc, s5, v21
	s_or_b64 s[12:13], vcc, s[12:13]
	s_waitcnt vmcnt(0)
	v_lshlrev_b32_sdwa v28, v45, v30 dst_sel:DWORD dst_unused:UNUSED_PAD src0_sel:DWORD src1_sel:BYTE_0
	global_load_dwordx2 v[32:33], v28, s[20:21]
	v_and_b32_e32 v28, 0xff, v31
	v_bcnt_u32_b32 v34, v28, 0
	v_and_b32_e32 v34, 1, v34
	v_lshlrev_b32_e32 v34, 7, v34
	v_xor_b32_e32 v28, v34, v28
	v_mul_lo_u32 v34, v28, s23
	v_and_b32_e32 v28, 0x8000000, v34
	v_lshrrev_b32_e32 v36, 8, v34
	v_lshrrev_b16_e32 v37, 1, v36
	v_cmp_ne_u16_sdwa s[28:29], v28, v19 src0_sel:BYTE_3 src1_sel:DWORD
	v_and_b32_e32 v35, 1, v31
	v_bfe_i32 v37, v37, 0, 1
	v_lshrrev_b32_e32 v52, 18, v34
	v_cndmask_b32_e64 v28, 0, -1, s[28:29]
	v_sub_u16_e32 v35, 0, v35
	v_bfe_i32 v52, v52, 0, 1
	v_lshlrev_b16_e32 v28, 8, v28
	v_lshlrev_b16_e32 v37, 8, v37
	v_or_b32_sdwa v53, v52, v28 dst_sel:WORD_1 dst_unused:UNUSED_PAD src0_sel:BYTE_0 src1_sel:DWORD
	v_or_b32_sdwa v54, v35, v37 dst_sel:DWORD dst_unused:UNUSED_PAD src0_sel:BYTE_0 src1_sel:DWORD
	v_or_b32_sdwa v53, v54, v53 dst_sel:DWORD dst_unused:UNUSED_PAD src0_sel:WORD_0 src1_sel:DWORD
	v_lshlrev_b16_e32 v35, 8, v35
	v_bfe_i32 v55, v31, 7, 1
	v_bfe_i32 v54, v31, 14, 1
	s_waitcnt vmcnt(0)
	v_xor_b32_e32 v32, v32, v53
	v_and_b32_e32 v53, 0xffffff00, v32
	v_sub_i16 v37, v53, v37 clamp
	v_lshlrev_b16_e32 v53, 8, v32
	v_and_b32_e32 v37, 0xffffff00, v37
	v_sub_i16 v35, v53, v35 clamp
	v_or_b32_sdwa v35, v35, v37 dst_sel:DWORD dst_unused:UNUSED_PAD src0_sel:BYTE_1 src1_sel:DWORD
	v_and_b32_sdwa v37, v32, s27 dst_sel:DWORD dst_unused:UNUSED_PAD src0_sel:WORD_1 src1_sel:DWORD
	v_sub_i16 v28, v37, v28 clamp
	v_lshlrev_b16_sdwa v32, v46, v32 dst_sel:DWORD dst_unused:UNUSED_PAD src0_sel:DWORD src1_sel:WORD_1
	v_lshlrev_b16_e32 v37, 8, v52
	v_and_b32_e32 v28, 0xffffff00, v28
	v_sub_i16 v32, v32, v37 clamp
	v_or_b32_sdwa v28, v32, v28 dst_sel:WORD_1 dst_unused:UNUSED_PAD src0_sel:BYTE_1 src1_sel:DWORD
	v_mov_b32_e32 v52, 0
	v_or_b32_sdwa v28, v35, v28 dst_sel:DWORD dst_unused:UNUSED_PAD src0_sel:WORD_0 src1_sel:DWORD
	v_dot4c_i32_i8_e32 v52, v28, v13
	v_and_b32_e32 v13, 0x80000000, v34
	v_lshrrev_b16_e32 v35, 5, v36
	v_cmp_ne_u16_sdwa s[28:29], v13, v19 src0_sel:BYTE_3 src1_sel:DWORD
	v_bfe_i32 v35, v35, 0, 1
	v_lshrrev_b32_e32 v34, 22, v34
	v_cndmask_b32_e64 v13, 0, -1, s[28:29]
	v_bfe_i32 v32, v31, 4, 1
	v_bfe_i32 v34, v34, 0, 1
	v_lshlrev_b16_e32 v13, 8, v13
	v_lshlrev_b16_e32 v35, 8, v35
	v_or_b32_sdwa v36, v34, v13 dst_sel:WORD_1 dst_unused:UNUSED_PAD src0_sel:BYTE_0 src1_sel:DWORD
	v_or_b32_sdwa v37, v32, v35 dst_sel:DWORD dst_unused:UNUSED_PAD src0_sel:BYTE_0 src1_sel:DWORD
	v_or_b32_sdwa v36, v37, v36 dst_sel:DWORD dst_unused:UNUSED_PAD src0_sel:WORD_0 src1_sel:DWORD
	v_xor_b32_e32 v33, v33, v36
	v_and_b32_e32 v36, 0xffffff00, v33
	v_sub_i16 v35, v36, v35 clamp
	v_lshlrev_b16_e32 v36, 8, v33
	v_lshlrev_b16_e32 v32, 8, v32
	v_and_b32_e32 v35, 0xffffff00, v35
	v_sub_i16 v32, v36, v32 clamp
	v_or_b32_sdwa v32, v32, v35 dst_sel:DWORD dst_unused:UNUSED_PAD src0_sel:BYTE_1 src1_sel:DWORD
	v_and_b32_sdwa v35, v33, s27 dst_sel:DWORD dst_unused:UNUSED_PAD src0_sel:WORD_1 src1_sel:DWORD
	v_sub_i16 v13, v35, v13 clamp
	v_lshlrev_b16_sdwa v33, v46, v33 dst_sel:DWORD dst_unused:UNUSED_PAD src0_sel:DWORD src1_sel:WORD_1
	v_lshlrev_b16_e32 v34, 8, v34
	v_and_b32_e32 v13, 0xffffff00, v13
	v_sub_i16 v33, v33, v34 clamp
	v_or_b32_sdwa v13, v33, v13 dst_sel:WORD_1 dst_unused:UNUSED_PAD src0_sel:BYTE_1 src1_sel:DWORD
	s_nop 0
	v_or_b32_sdwa v13, v32, v13 dst_sel:DWORD dst_unused:UNUSED_PAD src0_sel:WORD_0 src1_sel:DWORD
	v_dot4c_i32_i8_e32 v52, v13, v14
	v_lshlrev_b32_sdwa v14, v45, v30 dst_sel:DWORD dst_unused:UNUSED_PAD src0_sel:DWORD src1_sel:BYTE_1
	global_load_dwordx2 v[36:37], v14, s[20:21]
	v_lshlrev_b32_sdwa v14, v45, v30 dst_sel:DWORD dst_unused:UNUSED_PAD src0_sel:DWORD src1_sel:BYTE_2
	global_load_dwordx2 v[34:35], v14, s[20:21]
	v_lshlrev_b32_sdwa v14, v45, v30 dst_sel:DWORD dst_unused:UNUSED_PAD src0_sel:DWORD src1_sel:BYTE_3
	global_load_dwordx2 v[32:33], v14, s[20:21]
	global_load_ushort v53, v[56:57], off
	v_bfe_u32 v14, v29, 7, 8
	v_bcnt_u32_b32 v30, v14, 0
	v_and_b32_e32 v30, 1, v30
	v_lshlrev_b32_e32 v30, 7, v30
	v_xor_b32_e32 v14, v30, v14
	v_mul_lo_u32 v30, v14, s23
	v_and_b32_e32 v14, 0x8000000, v30
	v_lshrrev_b32_e32 v56, 8, v30
	v_lshrrev_b16_e32 v57, 1, v56
	v_cmp_ne_u16_sdwa s[20:21], v14, v19 src0_sel:BYTE_3 src1_sel:DWORD
	v_bfe_i32 v57, v57, 0, 1
	v_lshrrev_b32_e32 v60, 18, v30
	v_cndmask_b32_e64 v14, 0, -1, s[20:21]
	v_bfe_i32 v60, v60, 0, 1
	v_lshlrev_b16_e32 v14, 8, v14
	v_lshlrev_b16_e32 v57, 8, v57
	v_or_b32_sdwa v61, v60, v14 dst_sel:WORD_1 dst_unused:UNUSED_PAD src0_sel:BYTE_0 src1_sel:DWORD
	v_or_b32_sdwa v62, v58, v57 dst_sel:DWORD dst_unused:UNUSED_PAD src0_sel:BYTE_0 src1_sel:DWORD
	v_or_b32_sdwa v61, v62, v61 dst_sel:DWORD dst_unused:UNUSED_PAD src0_sel:WORD_0 src1_sel:DWORD
	v_xor_b32_e32 v42, v42, v61
	v_and_b32_e32 v61, 0xffffff00, v42
	v_sub_i16 v57, v61, v57 clamp
	v_lshlrev_b16_e32 v61, 8, v42
	v_lshlrev_b16_e32 v58, 8, v58
	v_and_b32_e32 v57, 0xffffff00, v57
	v_sub_i16 v58, v61, v58 clamp
	v_or_b32_sdwa v57, v58, v57 dst_sel:DWORD dst_unused:UNUSED_PAD src0_sel:BYTE_1 src1_sel:DWORD
	v_and_b32_sdwa v58, v42, s27 dst_sel:DWORD dst_unused:UNUSED_PAD src0_sel:WORD_1 src1_sel:DWORD
	v_sub_i16 v14, v58, v14 clamp
	v_lshlrev_b16_sdwa v42, v46, v42 dst_sel:DWORD dst_unused:UNUSED_PAD src0_sel:DWORD src1_sel:WORD_1
	v_lshlrev_b16_e32 v58, 8, v60
	v_and_b32_e32 v14, 0xffffff00, v14
	v_sub_i16 v42, v42, v58 clamp
	v_or_b32_sdwa v14, v42, v14 dst_sel:WORD_1 dst_unused:UNUSED_PAD src0_sel:BYTE_1 src1_sel:DWORD
	v_and_b32_e32 v42, 0x80000000, v30
	v_lshrrev_b16_e32 v56, 5, v56
	v_cmp_ne_u16_sdwa s[20:21], v42, v19 src0_sel:BYTE_3 src1_sel:DWORD
	v_bfe_i32 v56, v56, 0, 1
	v_lshrrev_b32_e32 v30, 22, v30
	v_cndmask_b32_e64 v42, 0, -1, s[20:21]
	v_or_b32_sdwa v14, v57, v14 dst_sel:DWORD dst_unused:UNUSED_PAD src0_sel:WORD_0 src1_sel:DWORD
	v_bfe_i32 v57, v29, 11, 1
	v_bfe_i32 v30, v30, 0, 1
	v_lshlrev_b16_e32 v42, 8, v42
	v_lshlrev_b16_e32 v56, 8, v56
	v_or_b32_sdwa v58, v30, v42 dst_sel:WORD_1 dst_unused:UNUSED_PAD src0_sel:BYTE_0 src1_sel:DWORD
	v_or_b32_sdwa v60, v57, v56 dst_sel:DWORD dst_unused:UNUSED_PAD src0_sel:BYTE_0 src1_sel:DWORD
	v_or_b32_sdwa v58, v60, v58 dst_sel:DWORD dst_unused:UNUSED_PAD src0_sel:WORD_0 src1_sel:DWORD
	v_xor_b32_e32 v43, v43, v58
	v_and_b32_e32 v58, 0xffffff00, v43
	v_sub_i16 v56, v58, v56 clamp
	v_lshlrev_b16_e32 v58, 8, v43
	v_lshlrev_b16_e32 v57, 8, v57
	v_and_b32_e32 v56, 0xffffff00, v56
	v_sub_i16 v57, v58, v57 clamp
	v_or_b32_sdwa v56, v57, v56 dst_sel:DWORD dst_unused:UNUSED_PAD src0_sel:BYTE_1 src1_sel:DWORD
	v_and_b32_sdwa v57, v43, s27 dst_sel:DWORD dst_unused:UNUSED_PAD src0_sel:WORD_1 src1_sel:DWORD
	v_sub_i16 v42, v57, v42 clamp
	v_lshlrev_b16_sdwa v43, v46, v43 dst_sel:DWORD dst_unused:UNUSED_PAD src0_sel:DWORD src1_sel:WORD_1
	v_lshlrev_b16_e32 v30, 8, v30
	v_and_b32_e32 v42, 0xffffff00, v42
	v_sub_i16 v30, v43, v30 clamp
	v_or_b32_sdwa v30, v30, v42 dst_sel:WORD_1 dst_unused:UNUSED_PAD src0_sel:BYTE_1 src1_sel:DWORD
	v_bfe_u32 v42, v29, 14, 8
	v_bcnt_u32_b32 v43, v42, 0
	v_and_b32_e32 v43, 1, v43
	v_lshlrev_b32_e32 v43, 7, v43
	v_xor_b32_e32 v42, v43, v42
	v_mul_lo_u32 v42, v42, s23
	v_or_b32_sdwa v30, v56, v30 dst_sel:DWORD dst_unused:UNUSED_PAD src0_sel:WORD_0 src1_sel:DWORD
	v_and_b32_e32 v43, 0x8000000, v42
	v_lshrrev_b32_e32 v56, 8, v42
	v_lshrrev_b16_e32 v57, 1, v56
	v_cmp_ne_u16_sdwa s[20:21], v43, v19 src0_sel:BYTE_3 src1_sel:DWORD
	v_bfe_i32 v57, v57, 0, 1
	v_lshrrev_b32_e32 v58, 18, v42
	v_cndmask_b32_e64 v43, 0, -1, s[20:21]
	v_bfe_i32 v58, v58, 0, 1
	v_lshlrev_b16_e32 v43, 8, v43
	v_lshlrev_b16_e32 v57, 8, v57
	v_or_b32_sdwa v60, v58, v43 dst_sel:WORD_1 dst_unused:UNUSED_PAD src0_sel:BYTE_0 src1_sel:DWORD
	v_or_b32_sdwa v61, v59, v57 dst_sel:DWORD dst_unused:UNUSED_PAD src0_sel:BYTE_0 src1_sel:DWORD
	v_or_b32_sdwa v60, v61, v60 dst_sel:DWORD dst_unused:UNUSED_PAD src0_sel:WORD_0 src1_sel:DWORD
	v_xor_b32_e32 v40, v40, v60
	v_and_b32_e32 v60, 0xffffff00, v40
	v_sub_i16 v57, v60, v57 clamp
	v_lshlrev_b16_e32 v60, 8, v40
	v_lshlrev_b16_e32 v59, 8, v59
	v_and_b32_e32 v57, 0xffffff00, v57
	v_sub_i16 v59, v60, v59 clamp
	v_or_b32_sdwa v57, v59, v57 dst_sel:DWORD dst_unused:UNUSED_PAD src0_sel:BYTE_1 src1_sel:DWORD
	v_and_b32_sdwa v59, v40, s27 dst_sel:DWORD dst_unused:UNUSED_PAD src0_sel:WORD_1 src1_sel:DWORD
	v_sub_i16 v43, v59, v43 clamp
	v_lshlrev_b16_sdwa v40, v46, v40 dst_sel:DWORD dst_unused:UNUSED_PAD src0_sel:DWORD src1_sel:WORD_1
	v_lshlrev_b16_e32 v58, 8, v58
	v_and_b32_e32 v43, 0xffffff00, v43
	v_sub_i16 v40, v40, v58 clamp
	v_or_b32_sdwa v40, v40, v43 dst_sel:WORD_1 dst_unused:UNUSED_PAD src0_sel:BYTE_1 src1_sel:DWORD
	v_and_b32_e32 v43, 0x80000000, v42
	v_lshrrev_b16_e32 v56, 5, v56
	v_cmp_ne_u16_sdwa s[20:21], v43, v19 src0_sel:BYTE_3 src1_sel:DWORD
	v_bfe_i32 v56, v56, 0, 1
	v_lshrrev_b32_e32 v42, 22, v42
	v_cndmask_b32_e64 v43, 0, -1, s[20:21]
	v_or_b32_sdwa v40, v57, v40 dst_sel:DWORD dst_unused:UNUSED_PAD src0_sel:WORD_0 src1_sel:DWORD
	v_bfe_i32 v57, v29, 18, 1
	v_bfe_i32 v42, v42, 0, 1
	v_lshlrev_b16_e32 v43, 8, v43
	v_lshlrev_b16_e32 v56, 8, v56
	v_or_b32_sdwa v58, v42, v43 dst_sel:WORD_1 dst_unused:UNUSED_PAD src0_sel:BYTE_0 src1_sel:DWORD
	v_or_b32_sdwa v59, v57, v56 dst_sel:DWORD dst_unused:UNUSED_PAD src0_sel:BYTE_0 src1_sel:DWORD
	v_or_b32_sdwa v58, v59, v58 dst_sel:DWORD dst_unused:UNUSED_PAD src0_sel:WORD_0 src1_sel:DWORD
	v_xor_b32_e32 v41, v41, v58
	v_and_b32_e32 v58, 0xffffff00, v41
	v_sub_i16 v56, v58, v56 clamp
	v_lshlrev_b16_e32 v58, 8, v41
	v_lshlrev_b16_e32 v57, 8, v57
	v_and_b32_e32 v56, 0xffffff00, v56
	v_sub_i16 v57, v58, v57 clamp
	v_or_b32_sdwa v56, v57, v56 dst_sel:DWORD dst_unused:UNUSED_PAD src0_sel:BYTE_1 src1_sel:DWORD
	v_and_b32_sdwa v57, v41, s27 dst_sel:DWORD dst_unused:UNUSED_PAD src0_sel:WORD_1 src1_sel:DWORD
	v_sub_i16 v43, v57, v43 clamp
	v_lshlrev_b16_sdwa v41, v46, v41 dst_sel:DWORD dst_unused:UNUSED_PAD src0_sel:DWORD src1_sel:WORD_1
	v_lshlrev_b16_e32 v42, 8, v42
	v_and_b32_e32 v43, 0xffffff00, v43
	v_sub_i16 v41, v41, v42 clamp
	v_bfe_u32 v42, v29, 21, 8
	v_or_b32_sdwa v41, v41, v43 dst_sel:WORD_1 dst_unused:UNUSED_PAD src0_sel:BYTE_1 src1_sel:DWORD
	v_bcnt_u32_b32 v43, v42, 0
	v_and_b32_e32 v43, 1, v43
	v_lshlrev_b32_e32 v43, 7, v43
	v_xor_b32_e32 v42, v43, v42
	v_mul_lo_u32 v42, v42, s23
	v_and_b32_e32 v43, 0x8000000, v42
	v_lshrrev_b32_e32 v57, 8, v42
	v_lshrrev_b16_e32 v58, 1, v57
	v_cmp_ne_u16_sdwa s[20:21], v43, v19 src0_sel:BYTE_3 src1_sel:DWORD
	v_bfe_i32 v58, v58, 0, 1
	v_lshrrev_b32_e32 v59, 18, v42
	v_cndmask_b32_e64 v43, 0, -1, s[20:21]
	v_or_b32_sdwa v41, v56, v41 dst_sel:DWORD dst_unused:UNUSED_PAD src0_sel:WORD_0 src1_sel:DWORD
	v_bfe_i32 v56, v29, 21, 1
	v_bfe_i32 v59, v59, 0, 1
	v_lshlrev_b16_e32 v43, 8, v43
	v_lshlrev_b16_e32 v58, 8, v58
	v_or_b32_sdwa v60, v59, v43 dst_sel:WORD_1 dst_unused:UNUSED_PAD src0_sel:BYTE_0 src1_sel:DWORD
	v_or_b32_sdwa v61, v56, v58 dst_sel:DWORD dst_unused:UNUSED_PAD src0_sel:BYTE_0 src1_sel:DWORD
	v_or_b32_sdwa v60, v61, v60 dst_sel:DWORD dst_unused:UNUSED_PAD src0_sel:WORD_0 src1_sel:DWORD
	v_xor_b32_e32 v38, v38, v60
	v_and_b32_e32 v60, 0xffffff00, v38
	v_sub_i16 v58, v60, v58 clamp
	v_lshlrev_b16_e32 v60, 8, v38
	v_lshlrev_b16_e32 v56, 8, v56
	v_and_b32_e32 v58, 0xffffff00, v58
	v_sub_i16 v56, v60, v56 clamp
	v_or_b32_sdwa v56, v56, v58 dst_sel:DWORD dst_unused:UNUSED_PAD src0_sel:BYTE_1 src1_sel:DWORD
	v_and_b32_sdwa v58, v38, s27 dst_sel:DWORD dst_unused:UNUSED_PAD src0_sel:WORD_1 src1_sel:DWORD
	v_sub_i16 v43, v58, v43 clamp
	v_lshlrev_b16_sdwa v38, v46, v38 dst_sel:DWORD dst_unused:UNUSED_PAD src0_sel:DWORD src1_sel:WORD_1
	v_lshlrev_b16_e32 v58, 8, v59
	v_and_b32_e32 v43, 0xffffff00, v43
	v_sub_i16 v38, v38, v58 clamp
	v_or_b32_sdwa v38, v38, v43 dst_sel:WORD_1 dst_unused:UNUSED_PAD src0_sel:BYTE_1 src1_sel:DWORD
	v_and_b32_e32 v43, 0x80000000, v42
	v_lshrrev_b16_e32 v57, 5, v57
	v_cmp_ne_u16_sdwa s[20:21], v43, v19 src0_sel:BYTE_3 src1_sel:DWORD
	v_bfe_i32 v57, v57, 0, 1
	v_lshrrev_b32_e32 v42, 22, v42
	v_cndmask_b32_e64 v43, 0, -1, s[20:21]
	v_or_b32_sdwa v38, v56, v38 dst_sel:DWORD dst_unused:UNUSED_PAD src0_sel:WORD_0 src1_sel:DWORD
	v_bfe_i32 v56, v29, 25, 1
	v_bfe_i32 v42, v42, 0, 1
	v_lshlrev_b16_e32 v43, 8, v43
	v_lshlrev_b16_e32 v57, 8, v57
	v_or_b32_sdwa v58, v42, v43 dst_sel:WORD_1 dst_unused:UNUSED_PAD src0_sel:BYTE_0 src1_sel:DWORD
	v_or_b32_sdwa v59, v56, v57 dst_sel:DWORD dst_unused:UNUSED_PAD src0_sel:BYTE_0 src1_sel:DWORD
	v_or_b32_sdwa v58, v59, v58 dst_sel:DWORD dst_unused:UNUSED_PAD src0_sel:WORD_0 src1_sel:DWORD
	v_xor_b32_e32 v39, v39, v58
	v_and_b32_e32 v58, 0xffffff00, v39
	v_sub_i16 v57, v58, v57 clamp
	v_lshlrev_b16_e32 v58, 8, v39
	v_lshlrev_b16_e32 v56, 8, v56
	v_and_b32_e32 v57, 0xffffff00, v57
	v_sub_i16 v56, v58, v56 clamp
	v_or_b32_sdwa v56, v56, v57 dst_sel:DWORD dst_unused:UNUSED_PAD src0_sel:BYTE_1 src1_sel:DWORD
	v_and_b32_sdwa v57, v39, s27 dst_sel:DWORD dst_unused:UNUSED_PAD src0_sel:WORD_1 src1_sel:DWORD
	v_sub_i16 v43, v57, v43 clamp
	v_lshlrev_b16_sdwa v39, v46, v39 dst_sel:DWORD dst_unused:UNUSED_PAD src0_sel:DWORD src1_sel:WORD_1
	v_lshlrev_b16_e32 v42, 8, v42
	v_and_b32_e32 v43, 0xffffff00, v43
	v_sub_i16 v39, v39, v42 clamp
	v_bfe_u32 v42, v31, 7, 8
	v_or_b32_sdwa v39, v39, v43 dst_sel:WORD_1 dst_unused:UNUSED_PAD src0_sel:BYTE_1 src1_sel:DWORD
	v_bcnt_u32_b32 v43, v42, 0
	v_and_b32_e32 v43, 1, v43
	v_lshlrev_b32_e32 v43, 7, v43
	v_xor_b32_e32 v42, v43, v42
	v_mul_lo_u32 v42, v42, s23
	v_or_b32_sdwa v39, v56, v39 dst_sel:DWORD dst_unused:UNUSED_PAD src0_sel:WORD_0 src1_sel:DWORD
	v_and_b32_e32 v43, 0x8000000, v42
	v_lshrrev_b32_e32 v56, 8, v42
	v_lshrrev_b16_e32 v57, 1, v56
	v_cmp_ne_u16_sdwa s[20:21], v43, v19 src0_sel:BYTE_3 src1_sel:DWORD
	v_bfe_i32 v57, v57, 0, 1
	v_lshrrev_b32_e32 v58, 18, v42
	v_cndmask_b32_e64 v43, 0, -1, s[20:21]
	v_bfe_i32 v58, v58, 0, 1
	v_lshlrev_b16_e32 v43, 8, v43
	v_lshlrev_b16_e32 v57, 8, v57
	v_or_b32_sdwa v59, v58, v43 dst_sel:WORD_1 dst_unused:UNUSED_PAD src0_sel:BYTE_0 src1_sel:DWORD
	v_or_b32_sdwa v60, v55, v57 dst_sel:DWORD dst_unused:UNUSED_PAD src0_sel:BYTE_0 src1_sel:DWORD
	v_or_b32_sdwa v59, v60, v59 dst_sel:DWORD dst_unused:UNUSED_PAD src0_sel:WORD_0 src1_sel:DWORD
	s_waitcnt vmcnt(3)
	v_xor_b32_e32 v36, v36, v59
	v_and_b32_e32 v59, 0xffffff00, v36
	v_sub_i16 v57, v59, v57 clamp
	v_lshlrev_b16_e32 v59, 8, v36
	v_lshlrev_b16_e32 v55, 8, v55
	v_and_b32_e32 v57, 0xffffff00, v57
	v_sub_i16 v55, v59, v55 clamp
	v_or_b32_sdwa v55, v55, v57 dst_sel:DWORD dst_unused:UNUSED_PAD src0_sel:BYTE_1 src1_sel:DWORD
	v_and_b32_sdwa v57, v36, s27 dst_sel:DWORD dst_unused:UNUSED_PAD src0_sel:WORD_1 src1_sel:DWORD
	v_sub_i16 v43, v57, v43 clamp
	v_lshlrev_b16_sdwa v36, v46, v36 dst_sel:DWORD dst_unused:UNUSED_PAD src0_sel:DWORD src1_sel:WORD_1
	v_lshlrev_b16_e32 v57, 8, v58
	v_and_b32_e32 v43, 0xffffff00, v43
	v_sub_i16 v36, v36, v57 clamp
	v_or_b32_sdwa v36, v36, v43 dst_sel:WORD_1 dst_unused:UNUSED_PAD src0_sel:BYTE_1 src1_sel:DWORD
	v_dot4c_i32_i8_e32 v50, v14, v15
	v_or_b32_sdwa v36, v55, v36 dst_sel:DWORD dst_unused:UNUSED_PAD src0_sel:WORD_0 src1_sel:DWORD
	v_dot4c_i32_i8_e32 v52, v36, v15
	v_and_b32_e32 v15, 0x80000000, v42
	v_lshrrev_b16_e32 v55, 5, v56
	v_cmp_ne_u16_sdwa s[20:21], v15, v19 src0_sel:BYTE_3 src1_sel:DWORD
	v_bfe_i32 v55, v55, 0, 1
	v_lshrrev_b32_e32 v42, 22, v42
	v_cndmask_b32_e64 v15, 0, -1, s[20:21]
	v_bfe_i32 v43, v31, 11, 1
	v_bfe_i32 v42, v42, 0, 1
	v_lshlrev_b16_e32 v15, 8, v15
	v_lshlrev_b16_e32 v55, 8, v55
	v_or_b32_sdwa v56, v42, v15 dst_sel:WORD_1 dst_unused:UNUSED_PAD src0_sel:BYTE_0 src1_sel:DWORD
	v_or_b32_sdwa v57, v43, v55 dst_sel:DWORD dst_unused:UNUSED_PAD src0_sel:BYTE_0 src1_sel:DWORD
	v_or_b32_sdwa v56, v57, v56 dst_sel:DWORD dst_unused:UNUSED_PAD src0_sel:WORD_0 src1_sel:DWORD
	v_xor_b32_e32 v37, v37, v56
	v_and_b32_e32 v56, 0xffffff00, v37
	v_sub_i16 v55, v56, v55 clamp
	v_lshlrev_b16_e32 v56, 8, v37
	v_lshlrev_b16_e32 v43, 8, v43
	v_and_b32_e32 v55, 0xffffff00, v55
	v_sub_i16 v43, v56, v43 clamp
	v_or_b32_sdwa v43, v43, v55 dst_sel:DWORD dst_unused:UNUSED_PAD src0_sel:BYTE_1 src1_sel:DWORD
	v_and_b32_sdwa v55, v37, s27 dst_sel:DWORD dst_unused:UNUSED_PAD src0_sel:WORD_1 src1_sel:DWORD
	v_sub_i16 v15, v55, v15 clamp
	v_lshlrev_b16_sdwa v37, v46, v37 dst_sel:DWORD dst_unused:UNUSED_PAD src0_sel:DWORD src1_sel:WORD_1
	v_lshlrev_b16_e32 v42, 8, v42
	v_and_b32_e32 v15, 0xffffff00, v15
	v_sub_i16 v37, v37, v42 clamp
	v_or_b32_sdwa v15, v37, v15 dst_sel:WORD_1 dst_unused:UNUSED_PAD src0_sel:BYTE_1 src1_sel:DWORD
	v_dot4c_i32_i8_e32 v50, v30, v8
	v_or_b32_sdwa v15, v43, v15 dst_sel:DWORD dst_unused:UNUSED_PAD src0_sel:WORD_0 src1_sel:DWORD
	v_dot4c_i32_i8_e32 v52, v15, v8
	v_bfe_u32 v8, v31, 14, 8
	v_bcnt_u32_b32 v37, v8, 0
	v_and_b32_e32 v37, 1, v37
	v_lshlrev_b32_e32 v37, 7, v37
	v_xor_b32_e32 v8, v37, v8
	v_mul_lo_u32 v8, v8, s23
	v_and_b32_e32 v37, 0x8000000, v8
	v_lshrrev_b32_e32 v42, 8, v8
	v_lshrrev_b16_e32 v43, 1, v42
	v_cmp_ne_u16_sdwa s[20:21], v37, v19 src0_sel:BYTE_3 src1_sel:DWORD
	v_bfe_i32 v43, v43, 0, 1
	v_lshrrev_b32_e32 v55, 18, v8
	v_cndmask_b32_e64 v37, 0, -1, s[20:21]
	v_bfe_i32 v55, v55, 0, 1
	v_lshlrev_b16_e32 v37, 8, v37
	v_lshlrev_b16_e32 v43, 8, v43
	v_or_b32_sdwa v56, v55, v37 dst_sel:WORD_1 dst_unused:UNUSED_PAD src0_sel:BYTE_0 src1_sel:DWORD
	v_or_b32_sdwa v57, v54, v43 dst_sel:DWORD dst_unused:UNUSED_PAD src0_sel:BYTE_0 src1_sel:DWORD
	v_or_b32_sdwa v56, v57, v56 dst_sel:DWORD dst_unused:UNUSED_PAD src0_sel:WORD_0 src1_sel:DWORD
	s_waitcnt vmcnt(2)
	v_xor_b32_e32 v34, v34, v56
	v_and_b32_e32 v56, 0xffffff00, v34
	v_sub_i16 v43, v56, v43 clamp
	v_lshlrev_b16_e32 v56, 8, v34
	v_lshlrev_b16_e32 v54, 8, v54
	v_and_b32_e32 v43, 0xffffff00, v43
	v_sub_i16 v54, v56, v54 clamp
	v_or_b32_sdwa v43, v54, v43 dst_sel:DWORD dst_unused:UNUSED_PAD src0_sel:BYTE_1 src1_sel:DWORD
	v_and_b32_sdwa v54, v34, s27 dst_sel:DWORD dst_unused:UNUSED_PAD src0_sel:WORD_1 src1_sel:DWORD
	v_sub_i16 v37, v54, v37 clamp
	v_lshlrev_b16_sdwa v34, v46, v34 dst_sel:DWORD dst_unused:UNUSED_PAD src0_sel:DWORD src1_sel:WORD_1
	v_lshlrev_b16_e32 v54, 8, v55
	v_and_b32_e32 v37, 0xffffff00, v37
	v_sub_i16 v34, v34, v54 clamp
	v_or_b32_sdwa v34, v34, v37 dst_sel:WORD_1 dst_unused:UNUSED_PAD src0_sel:BYTE_1 src1_sel:DWORD
	v_dot4c_i32_i8_e32 v50, v40, v9
	v_or_b32_sdwa v34, v43, v34 dst_sel:DWORD dst_unused:UNUSED_PAD src0_sel:WORD_0 src1_sel:DWORD
	v_dot4c_i32_i8_e32 v52, v34, v9
	v_and_b32_e32 v9, 0x80000000, v8
	v_lshrrev_b16_e32 v42, 5, v42
	v_cmp_ne_u16_sdwa s[20:21], v9, v19 src0_sel:BYTE_3 src1_sel:DWORD
	v_bfe_i32 v42, v42, 0, 1
	v_lshrrev_b32_e32 v8, 22, v8
	v_cndmask_b32_e64 v9, 0, -1, s[20:21]
	v_bfe_i32 v37, v31, 18, 1
	v_bfe_i32 v8, v8, 0, 1
	v_lshlrev_b16_e32 v9, 8, v9
	v_lshlrev_b16_e32 v42, 8, v42
	v_or_b32_sdwa v43, v8, v9 dst_sel:WORD_1 dst_unused:UNUSED_PAD src0_sel:BYTE_0 src1_sel:DWORD
	v_or_b32_sdwa v54, v37, v42 dst_sel:DWORD dst_unused:UNUSED_PAD src0_sel:BYTE_0 src1_sel:DWORD
	v_or_b32_sdwa v43, v54, v43 dst_sel:DWORD dst_unused:UNUSED_PAD src0_sel:WORD_0 src1_sel:DWORD
	v_xor_b32_e32 v35, v35, v43
	v_and_b32_e32 v43, 0xffffff00, v35
	v_sub_i16 v42, v43, v42 clamp
	v_lshlrev_b16_e32 v43, 8, v35
	v_lshlrev_b16_e32 v37, 8, v37
	v_and_b32_e32 v42, 0xffffff00, v42
	v_sub_i16 v37, v43, v37 clamp
	v_or_b32_sdwa v37, v37, v42 dst_sel:DWORD dst_unused:UNUSED_PAD src0_sel:BYTE_1 src1_sel:DWORD
	v_and_b32_sdwa v42, v35, s27 dst_sel:DWORD dst_unused:UNUSED_PAD src0_sel:WORD_1 src1_sel:DWORD
	v_sub_i16 v9, v42, v9 clamp
	v_lshlrev_b16_sdwa v35, v46, v35 dst_sel:DWORD dst_unused:UNUSED_PAD src0_sel:DWORD src1_sel:WORD_1
	v_lshlrev_b16_e32 v8, 8, v8
	v_and_b32_e32 v9, 0xffffff00, v9
	v_sub_i16 v8, v35, v8 clamp
	v_or_b32_sdwa v8, v8, v9 dst_sel:WORD_1 dst_unused:UNUSED_PAD src0_sel:BYTE_1 src1_sel:DWORD
	v_dot4c_i32_i8_e32 v50, v41, v10
	v_or_b32_sdwa v35, v37, v8 dst_sel:DWORD dst_unused:UNUSED_PAD src0_sel:WORD_0 src1_sel:DWORD
	v_bfe_u32 v8, v31, 21, 8
	v_bcnt_u32_b32 v9, v8, 0
	v_and_b32_e32 v9, 1, v9
	v_lshlrev_b32_e32 v9, 7, v9
	v_xor_b32_e32 v8, v9, v8
	v_mul_lo_u32 v8, v8, s23
	v_and_b32_e32 v9, 0x8000000, v8
	v_lshrrev_b32_e32 v37, 8, v8
	v_lshrrev_b16_e32 v42, 1, v37
	v_cmp_ne_u16_sdwa s[20:21], v9, v19 src0_sel:BYTE_3 src1_sel:DWORD
	v_bfe_i32 v42, v42, 0, 1
	v_lshrrev_b32_e32 v43, 18, v8
	v_cndmask_b32_e64 v9, 0, -1, s[20:21]
	v_dot4c_i32_i8_e32 v52, v35, v10
	v_bfe_i32 v10, v31, 21, 1
	v_bfe_i32 v43, v43, 0, 1
	v_lshlrev_b16_e32 v9, 8, v9
	v_lshlrev_b16_e32 v42, 8, v42
	v_or_b32_sdwa v54, v43, v9 dst_sel:WORD_1 dst_unused:UNUSED_PAD src0_sel:BYTE_0 src1_sel:DWORD
	v_or_b32_sdwa v55, v10, v42 dst_sel:DWORD dst_unused:UNUSED_PAD src0_sel:BYTE_0 src1_sel:DWORD
	v_or_b32_sdwa v54, v55, v54 dst_sel:DWORD dst_unused:UNUSED_PAD src0_sel:WORD_0 src1_sel:DWORD
	s_waitcnt vmcnt(1)
	v_xor_b32_e32 v32, v32, v54
	v_and_b32_e32 v54, 0xffffff00, v32
	v_sub_i16 v42, v54, v42 clamp
	v_lshlrev_b16_e32 v54, 8, v32
	v_lshlrev_b16_e32 v10, 8, v10
	v_and_b32_e32 v42, 0xffffff00, v42
	v_sub_i16 v10, v54, v10 clamp
	v_or_b32_sdwa v10, v10, v42 dst_sel:DWORD dst_unused:UNUSED_PAD src0_sel:BYTE_1 src1_sel:DWORD
	v_and_b32_sdwa v42, v32, s27 dst_sel:DWORD dst_unused:UNUSED_PAD src0_sel:WORD_1 src1_sel:DWORD
	v_sub_i16 v9, v42, v9 clamp
	v_lshlrev_b16_sdwa v32, v46, v32 dst_sel:DWORD dst_unused:UNUSED_PAD src0_sel:DWORD src1_sel:WORD_1
	v_lshlrev_b16_e32 v42, 8, v43
	v_and_b32_e32 v9, 0xffffff00, v9
	v_sub_i16 v32, v32, v42 clamp
	v_or_b32_sdwa v9, v32, v9 dst_sel:WORD_1 dst_unused:UNUSED_PAD src0_sel:BYTE_1 src1_sel:DWORD
	v_dot4c_i32_i8_e32 v50, v38, v11
	v_or_b32_sdwa v42, v10, v9 dst_sel:DWORD dst_unused:UNUSED_PAD src0_sel:WORD_0 src1_sel:DWORD
	v_and_b32_e32 v9, 0x80000000, v8
	v_dot4c_i32_i8_e32 v52, v42, v11
	v_lshrrev_b16_e32 v11, 5, v37
	v_cmp_ne_u16_sdwa s[20:21], v9, v19 src0_sel:BYTE_3 src1_sel:DWORD
	v_bfe_i32 v11, v11, 0, 1
	v_lshrrev_b32_e32 v8, 22, v8
	v_cndmask_b32_e64 v9, 0, -1, s[20:21]
	v_bfe_i32 v10, v31, 25, 1
	v_bfe_i32 v8, v8, 0, 1
	v_lshlrev_b16_e32 v9, 8, v9
	v_lshlrev_b16_e32 v11, 8, v11
	v_or_b32_sdwa v32, v8, v9 dst_sel:WORD_1 dst_unused:UNUSED_PAD src0_sel:BYTE_0 src1_sel:DWORD
	v_or_b32_sdwa v37, v10, v11 dst_sel:DWORD dst_unused:UNUSED_PAD src0_sel:BYTE_0 src1_sel:DWORD
	v_or_b32_sdwa v32, v37, v32 dst_sel:DWORD dst_unused:UNUSED_PAD src0_sel:WORD_0 src1_sel:DWORD
	v_xor_b32_e32 v32, v33, v32
	v_and_b32_e32 v33, 0xffffff00, v32
	v_sub_i16 v11, v33, v11 clamp
	v_lshlrev_b16_e32 v33, 8, v32
	v_lshlrev_b16_e32 v10, 8, v10
	v_and_b32_e32 v11, 0xffffff00, v11
	v_sub_i16 v10, v33, v10 clamp
	v_or_b32_sdwa v10, v10, v11 dst_sel:DWORD dst_unused:UNUSED_PAD src0_sel:BYTE_1 src1_sel:DWORD
	v_and_b32_sdwa v11, v32, s27 dst_sel:DWORD dst_unused:UNUSED_PAD src0_sel:WORD_1 src1_sel:DWORD
	v_sub_i16 v9, v11, v9 clamp
	v_lshlrev_b16_sdwa v11, v46, v32 dst_sel:DWORD dst_unused:UNUSED_PAD src0_sel:DWORD src1_sel:WORD_1
	v_lshlrev_b16_e32 v8, 8, v8
	v_and_b32_e32 v9, 0xffffff00, v9
	v_sub_i16 v8, v11, v8 clamp
	v_or_b32_sdwa v8, v8, v9 dst_sel:WORD_1 dst_unused:UNUSED_PAD src0_sel:BYTE_1 src1_sel:DWORD
	v_lshrrev_b32_e32 v9, 27, v29
	v_dot4c_i32_i8_e32 v50, v39, v49
	v_or_b32_e32 v29, 1, v9
	v_or_b32_sdwa v37, v10, v8 dst_sel:DWORD dst_unused:UNUSED_PAD src0_sel:WORD_0 src1_sel:DWORD
	v_lshrrev_b32_e32 v8, 27, v31
	v_mul_lo_u32 v9, v50, v29
	v_ashrrev_i32_e32 v10, 31, v9
	v_dot4c_i32_i8_e32 v52, v37, v49
	v_or_b32_e32 v31, 1, v8
	v_lshrrev_b32_e32 v10, 29, v10
	v_add_u32_e32 v9, v9, v10
	v_mul_lo_u32 v8, v52, v31
	v_ashrrev_i32_e32 v32, 3, v9
	v_ashrrev_i32_e32 v9, 31, v8
	v_lshrrev_b32_e32 v9, 29, v9
	v_add_u32_e32 v8, v8, v9
	v_ashrrev_i32_e32 v33, 3, v8
	s_waitcnt vmcnt(0)
	v_cvt_f32_f16_e32 v9, v53
	v_cvt_f32_f16_e32 v8, v51
	v_cvt_f32_i32_e32 v33, v33
	v_cvt_f32_i32_e32 v32, v32
	v_pk_mul_f32 v[10:11], v[12:13], v[8:9] op_sel_hi:[0,1]
	v_pk_fma_f32 v[4:5], v[10:11], v[32:33], v[4:5]
	v_add_u32_e32 v10, s9, v44
	v_mad_u64_u32 v[10:11], s[20:21], v10, 36, s[24:25]
	v_mad_u64_u32 v[10:11], s[20:21], v20, 36, v[10:11]
	global_load_dword v12, v[10:11], off offset:32
	global_load_dwordx4 v[50:53], v[10:11], off offset:16
	global_load_dwordx4 v[54:57], v[10:11], off
	v_mov_b32_e32 v11, 0
	v_mov_b32_e32 v32, 0
	s_waitcnt vmcnt(0)
	v_dot4c_i32_i8_e32 v11, v47, v55
	v_dot4c_i32_i8_e32 v11, v48, v56
	v_dot4c_i32_i8_e32 v32, v28, v55
	v_dot4c_i32_i8_e32 v32, v13, v56
	v_dot4c_i32_i8_e32 v11, v14, v57
	v_dot4c_i32_i8_e32 v11, v30, v50
	v_dot4c_i32_i8_e32 v32, v36, v57
	v_dot4c_i32_i8_e32 v11, v40, v51
	v_dot4c_i32_i8_e32 v32, v15, v50
	v_dot4c_i32_i8_e32 v11, v41, v52
	v_dot4c_i32_i8_e32 v32, v34, v51
	v_dot4c_i32_i8_e32 v11, v38, v53
	v_dot4c_i32_i8_e32 v32, v35, v52
	v_dot4c_i32_i8_e32 v11, v39, v12
	v_dot4c_i32_i8_e32 v32, v42, v53
	v_dot4c_i32_i8_e32 v32, v37, v12
	v_cvt_f32_f16_e32 v10, v54
	v_mul_lo_u32 v11, v11, v29
	s_nop 0
	v_mul_lo_u32 v12, v32, v31
	v_ashrrev_i32_e32 v32, 31, v11
	v_lshrrev_b32_e32 v32, 29, v32
	v_add_u32_e32 v11, v11, v32
	v_ashrrev_i32_e32 v32, 3, v11
	v_ashrrev_i32_e32 v11, 31, v12
	v_lshrrev_b32_e32 v11, 29, v11
	v_add_u32_e32 v11, v12, v11
	v_ashrrev_i32_e32 v12, 3, v11
	v_cvt_f32_i32_e32 v33, v12
	v_cvt_f32_i32_e32 v32, v32
	v_pk_mul_f32 v[10:11], v[10:11], v[8:9] op_sel_hi:[0,1]
	v_pk_fma_f32 v[6:7], v[10:11], v[32:33], v[6:7]
	v_add_u32_e32 v10, s26, v44
	v_mad_u64_u32 v[10:11], s[20:21], v10, 36, s[24:25]
	v_mad_u64_u32 v[10:11], s[20:21], v20, 36, v[10:11]
	global_load_dword v12, v[10:11], off offset:32
	global_load_dwordx4 v[50:53], v[10:11], off offset:16
	global_load_dwordx4 v[54:57], v[10:11], off
	v_mov_b32_e32 v11, 0
	v_mov_b32_e32 v32, 0
	s_waitcnt vmcnt(0)
	v_dot4c_i32_i8_e32 v11, v47, v55
	v_dot4c_i32_i8_e32 v11, v48, v56
	v_dot4c_i32_i8_e32 v32, v28, v55
	v_dot4c_i32_i8_e32 v32, v13, v56
	v_dot4c_i32_i8_e32 v11, v14, v57
	v_dot4c_i32_i8_e32 v11, v30, v50
	v_dot4c_i32_i8_e32 v32, v36, v57
	v_dot4c_i32_i8_e32 v11, v40, v51
	v_dot4c_i32_i8_e32 v32, v15, v50
	v_dot4c_i32_i8_e32 v11, v41, v52
	v_dot4c_i32_i8_e32 v32, v34, v51
	v_dot4c_i32_i8_e32 v11, v38, v53
	v_dot4c_i32_i8_e32 v32, v35, v52
	v_dot4c_i32_i8_e32 v11, v39, v12
	v_dot4c_i32_i8_e32 v32, v42, v53
	v_dot4c_i32_i8_e32 v32, v37, v12
	v_cvt_f32_f16_e32 v10, v54
	v_mul_lo_u32 v11, v11, v29
	s_nop 0
	v_mul_lo_u32 v12, v32, v31
	v_ashrrev_i32_e32 v32, 31, v11
	v_lshrrev_b32_e32 v32, 29, v32
	v_add_u32_e32 v11, v11, v32
	v_ashrrev_i32_e32 v32, 3, v11
	v_ashrrev_i32_e32 v11, 31, v12
	v_lshrrev_b32_e32 v11, 29, v11
	v_add_u32_e32 v11, v12, v11
	v_ashrrev_i32_e32 v12, 3, v11
	;; [unrolled: 41-line block ×3, first 2 shown]
	v_cvt_f32_i32_e32 v33, v12
	v_cvt_f32_i32_e32 v32, v32
	v_pk_mul_f32 v[10:11], v[10:11], v[8:9] op_sel_hi:[0,1]
	v_pk_fma_f32 v[2:3], v[10:11], v[32:33], v[2:3]
	v_add_u32_e32 v10, s15, v44
	v_mad_u64_u32 v[10:11], s[20:21], v10, 36, s[24:25]
	v_mad_u64_u32 v[10:11], s[20:21], v20, 36, v[10:11]
	global_load_dword v12, v[10:11], off offset:32
	global_load_dwordx4 v[50:53], v[10:11], off offset:16
	global_load_dwordx4 v[54:57], v[10:11], off
	v_mov_b32_e32 v11, 0
	v_mov_b32_e32 v32, 0
	v_add_u32_e32 v44, 64, v44
	s_waitcnt vmcnt(0)
	v_dot4c_i32_i8_e32 v11, v47, v55
	v_dot4c_i32_i8_e32 v11, v48, v56
	;; [unrolled: 1-line block ×15, first 2 shown]
	v_mul_lo_u32 v11, v11, v29
	v_ashrrev_i32_e32 v13, 31, v11
	v_dot4c_i32_i8_e32 v32, v37, v12
	v_lshrrev_b32_e32 v13, 29, v13
	v_add_u32_e32 v11, v11, v13
	v_cvt_f32_f16_e32 v10, v54
	v_mul_lo_u32 v12, v32, v31
	v_ashrrev_i32_e32 v13, 3, v11
	v_ashrrev_i32_e32 v11, 31, v12
	v_lshrrev_b32_e32 v11, 29, v11
	v_add_u32_e32 v11, v12, v11
	v_ashrrev_i32_e32 v11, 3, v11
	v_pk_mul_f32 v[8:9], v[10:11], v[8:9] op_sel_hi:[0,1]
	v_cvt_f32_i32_e32 v11, v11
	v_cvt_f32_i32_e32 v10, v13
	v_pk_fma_f32 v[26:27], v[8:9], v[10:11], v[26:27]
	s_andn2_b64 exec, exec, s[12:13]
	s_cbranch_execnz .LBB164_2
; %bb.3:
	s_or_b64 exec, exec, s[12:13]
	scratch_store_dwordx4 off, v[4:7], off
	scratch_store_dwordx4 off, v[0:3], off offset:16
	scratch_store_dwordx2 off, v[26:27], off offset:32
.LBB164_4:
	s_or_b64 exec, exec, s[6:7]
	s_mov_b32 s5, 0
	v_cmp_eq_u32_e32 vcc, 0, v17
	s_waitcnt lgkmcnt(0)
	; wave barrier
	s_and_saveexec_b64 s[6:7], vcc
	s_cbranch_execz .LBB164_15
; %bb.5:
	scratch_load_dwordx2 v[2:3], off, off
	v_mbcnt_lo_u32_b32 v0, -1, 0
	v_mbcnt_hi_u32_b32 v12, -1, v0
	s_load_dwordx2 s[6:7], s[0:1], 0x38
	s_mul_i32 s0, s3, s14
	v_or_b32_e32 v1, s2, v16
	v_and_b32_e32 v0, 64, v12
	s_mul_i32 s4, s4, s18
	s_add_i32 s2, s0, s2
	v_cmp_gt_u32_e64 s[0:1], s10, v1
	v_xor_b32_e32 v1, 32, v12
	v_add_u32_e32 v13, 64, v0
	s_add_i32 s4, s2, s4
	v_cmp_lt_i32_e64 s[2:3], v1, v13
	v_cmp_gt_u32_e32 vcc, 2, v16
	s_nop 0
	v_cndmask_b32_e64 v0, v12, v1, s[2:3]
	v_lshlrev_b32_e32 v0, 2, v0
	v_xor_b32_e32 v1, 16, v12
	v_cmp_lt_i32_e64 s[2:3], v1, v13
	s_waitcnt vmcnt(0)
	ds_bpermute_b32 v4, v0, v2
	ds_bpermute_b32 v5, v0, v3
	v_cndmask_b32_e64 v1, v12, v1, s[2:3]
	v_lshlrev_b32_e32 v1, 2, v1
	s_waitcnt lgkmcnt(0)
	v_pk_add_f32 v[4:5], v[2:3], v[4:5]
	ds_bpermute_b32 v6, v1, v4
	ds_bpermute_b32 v7, v1, v5
	v_xor_b32_e32 v2, 8, v12
	v_cmp_lt_i32_e64 s[2:3], v2, v13
	v_xor_b32_e32 v3, 4, v12
	s_waitcnt lgkmcnt(0)
	v_pk_add_f32 v[4:5], v[4:5], v[6:7]
	v_cndmask_b32_e64 v2, v12, v2, s[2:3]
	v_lshlrev_b32_e32 v2, 2, v2
	ds_bpermute_b32 v6, v2, v4
	ds_bpermute_b32 v7, v2, v5
	v_cmp_lt_i32_e64 s[2:3], v3, v13
	s_waitcnt lgkmcnt(0)
	v_pk_add_f32 v[6:7], v[4:5], v[6:7]
	v_cndmask_b32_e64 v3, v12, v3, s[2:3]
	v_lshlrev_b32_e32 v3, 2, v3
	ds_bpermute_b32 v8, v3, v6
	ds_bpermute_b32 v9, v3, v7
	v_xor_b32_e32 v4, 2, v12
	v_cmp_lt_i32_e64 s[2:3], v4, v13
	v_xor_b32_e32 v5, 1, v12
	s_waitcnt lgkmcnt(0)
	v_pk_add_f32 v[8:9], v[6:7], v[8:9]
	v_cndmask_b32_e64 v4, v12, v4, s[2:3]
	v_lshlrev_b32_e32 v4, 2, v4
	ds_bpermute_b32 v10, v4, v8
	ds_bpermute_b32 v11, v4, v9
	v_cmp_lt_i32_e64 s[2:3], v5, v13
	s_waitcnt lgkmcnt(0)
	v_pk_add_f32 v[8:9], v[8:9], v[10:11]
	v_cndmask_b32_e64 v5, v12, v5, s[2:3]
	v_lshlrev_b32_e32 v6, 2, v5
	ds_bpermute_b32 v10, v6, v8
	ds_bpermute_b32 v11, v6, v9
	s_lshl_b64 s[2:3], s[4:5], 2
	s_add_u32 s2, s6, s2
	s_addc_u32 s3, s7, s3
	s_and_b64 s[0:1], vcc, s[0:1]
	s_waitcnt lgkmcnt(0)
	v_pk_add_f32 v[8:9], v[8:9], v[10:11]
	v_lshlrev_b32_e32 v5, 2, v16
	scratch_store_dwordx2 off, v[8:9], off
	s_and_saveexec_b64 s[4:5], s[0:1]
	s_cbranch_execz .LBB164_7
; %bb.6:
	scratch_load_dword v7, v5, off
	s_waitcnt vmcnt(0)
	global_store_dword v5, v7, s[2:3]
.LBB164_7:
	s_or_b64 exec, exec, s[4:5]
	scratch_load_dwordx2 v[8:9], off, off offset:8
	s_waitcnt vmcnt(0)
	ds_bpermute_b32 v10, v0, v8
	ds_bpermute_b32 v11, v0, v9
	s_waitcnt lgkmcnt(0)
	v_pk_add_f32 v[8:9], v[8:9], v[10:11]
	ds_bpermute_b32 v10, v1, v8
	ds_bpermute_b32 v11, v1, v9
	s_waitcnt lgkmcnt(0)
	v_pk_add_f32 v[8:9], v[8:9], v[10:11]
	;; [unrolled: 4-line block ×6, first 2 shown]
	scratch_store_dwordx2 off, v[8:9], off offset:8
	s_and_saveexec_b64 s[4:5], s[0:1]
	s_cbranch_execz .LBB164_9
; %bb.8:
	scratch_load_dword v7, v5, off offset:8
	v_add_u32_e32 v8, s10, v16
	v_mov_b32_e32 v9, 0
	v_lshl_add_u64 v[8:9], v[8:9], 2, s[2:3]
	s_waitcnt vmcnt(0)
	global_store_dword v[8:9], v7, off
.LBB164_9:
	s_or_b64 exec, exec, s[4:5]
	scratch_load_dwordx2 v[8:9], off, off offset:16
	s_waitcnt vmcnt(0)
	ds_bpermute_b32 v10, v0, v8
	ds_bpermute_b32 v11, v0, v9
	s_waitcnt lgkmcnt(0)
	v_pk_add_f32 v[8:9], v[8:9], v[10:11]
	ds_bpermute_b32 v10, v1, v8
	ds_bpermute_b32 v11, v1, v9
	s_waitcnt lgkmcnt(0)
	v_pk_add_f32 v[8:9], v[8:9], v[10:11]
	;; [unrolled: 4-line block ×6, first 2 shown]
	scratch_store_dwordx2 off, v[8:9], off offset:16
	s_and_saveexec_b64 s[4:5], s[0:1]
	s_cbranch_execz .LBB164_11
; %bb.10:
	scratch_load_dword v7, v5, off offset:16
	v_lshl_or_b32 v8, s10, 1, v16
	v_mov_b32_e32 v9, 0
	v_lshl_add_u64 v[8:9], v[8:9], 2, s[2:3]
	s_waitcnt vmcnt(0)
	global_store_dword v[8:9], v7, off
.LBB164_11:
	s_or_b64 exec, exec, s[4:5]
	scratch_load_dwordx2 v[8:9], off, off offset:24
	s_waitcnt vmcnt(0)
	ds_bpermute_b32 v10, v0, v8
	ds_bpermute_b32 v11, v0, v9
	s_waitcnt lgkmcnt(0)
	v_pk_add_f32 v[8:9], v[8:9], v[10:11]
	ds_bpermute_b32 v10, v1, v8
	ds_bpermute_b32 v11, v1, v9
	s_waitcnt lgkmcnt(0)
	v_pk_add_f32 v[8:9], v[8:9], v[10:11]
	;; [unrolled: 4-line block ×6, first 2 shown]
	scratch_store_dwordx2 off, v[8:9], off offset:24
	s_and_saveexec_b64 s[4:5], s[0:1]
	s_cbranch_execz .LBB164_13
; %bb.12:
	scratch_load_dword v7, v5, off offset:24
	v_mad_u64_u32 v[8:9], s[6:7], s10, 3, v[16:17]
	v_mov_b32_e32 v9, 0
	v_lshl_add_u64 v[8:9], v[8:9], 2, s[2:3]
	s_waitcnt vmcnt(0)
	global_store_dword v[8:9], v7, off
.LBB164_13:
	s_or_b64 exec, exec, s[4:5]
	scratch_load_dwordx2 v[8:9], off, off offset:32
	s_waitcnt vmcnt(0)
	ds_bpermute_b32 v10, v0, v8
	ds_bpermute_b32 v11, v0, v9
	s_waitcnt lgkmcnt(0)
	v_pk_add_f32 v[8:9], v[8:9], v[10:11]
	ds_bpermute_b32 v0, v1, v8
	ds_bpermute_b32 v1, v1, v9
	s_waitcnt lgkmcnt(0)
	v_pk_add_f32 v[0:1], v[8:9], v[0:1]
	ds_bpermute_b32 v8, v2, v0
	ds_bpermute_b32 v9, v2, v1
	s_waitcnt lgkmcnt(0)
	v_pk_add_f32 v[0:1], v[0:1], v[8:9]
	ds_bpermute_b32 v2, v3, v0
	ds_bpermute_b32 v3, v3, v1
	s_waitcnt lgkmcnt(0)
	v_pk_add_f32 v[0:1], v[0:1], v[2:3]
	ds_bpermute_b32 v2, v4, v0
	ds_bpermute_b32 v3, v4, v1
	s_waitcnt lgkmcnt(0)
	v_pk_add_f32 v[0:1], v[0:1], v[2:3]
	ds_bpermute_b32 v2, v6, v0
	ds_bpermute_b32 v3, v6, v1
	s_waitcnt lgkmcnt(0)
	v_pk_add_f32 v[0:1], v[0:1], v[2:3]
	scratch_store_dwordx2 off, v[0:1], off offset:32
	s_and_b64 exec, exec, s[0:1]
	s_cbranch_execz .LBB164_15
; %bb.14:
	scratch_load_dword v2, v5, off offset:32
	v_lshl_or_b32 v0, s10, 2, v16
	v_mov_b32_e32 v1, 0
	v_lshl_add_u64 v[0:1], v[0:1], 2, s[2:3]
	s_waitcnt vmcnt(0)
	global_store_dword v[0:1], v2, off
.LBB164_15:
	s_endpgm
	.section	.rodata,"a",@progbits
	.p2align	6, 0x0
	.amdhsa_kernel _ZL13mul_mat_vec_qIL9ggml_type16ELi5ELb0ELb0EEvPKvS2_PKi31ggml_cuda_mm_fusion_args_devicePfj15HIP_vector_typeIjLj3EEjjjS8_jjjS8_jjjj
		.amdhsa_group_segment_fixed_size 0
		.amdhsa_private_segment_fixed_size 48
		.amdhsa_kernarg_size 144
		.amdhsa_user_sgpr_count 2
		.amdhsa_user_sgpr_dispatch_ptr 0
		.amdhsa_user_sgpr_queue_ptr 0
		.amdhsa_user_sgpr_kernarg_segment_ptr 1
		.amdhsa_user_sgpr_dispatch_id 0
		.amdhsa_user_sgpr_kernarg_preload_length 0
		.amdhsa_user_sgpr_kernarg_preload_offset 0
		.amdhsa_user_sgpr_private_segment_size 0
		.amdhsa_uses_dynamic_stack 0
		.amdhsa_enable_private_segment 1
		.amdhsa_system_sgpr_workgroup_id_x 1
		.amdhsa_system_sgpr_workgroup_id_y 1
		.amdhsa_system_sgpr_workgroup_id_z 1
		.amdhsa_system_sgpr_workgroup_info 0
		.amdhsa_system_vgpr_workitem_id 1
		.amdhsa_next_free_vgpr 63
		.amdhsa_next_free_sgpr 30
		.amdhsa_accum_offset 64
		.amdhsa_reserve_vcc 1
		.amdhsa_float_round_mode_32 0
		.amdhsa_float_round_mode_16_64 0
		.amdhsa_float_denorm_mode_32 3
		.amdhsa_float_denorm_mode_16_64 3
		.amdhsa_dx10_clamp 1
		.amdhsa_ieee_mode 1
		.amdhsa_fp16_overflow 0
		.amdhsa_tg_split 0
		.amdhsa_exception_fp_ieee_invalid_op 0
		.amdhsa_exception_fp_denorm_src 0
		.amdhsa_exception_fp_ieee_div_zero 0
		.amdhsa_exception_fp_ieee_overflow 0
		.amdhsa_exception_fp_ieee_underflow 0
		.amdhsa_exception_fp_ieee_inexact 0
		.amdhsa_exception_int_div_zero 0
	.end_amdhsa_kernel
	.section	.text._ZL13mul_mat_vec_qIL9ggml_type16ELi5ELb0ELb0EEvPKvS2_PKi31ggml_cuda_mm_fusion_args_devicePfj15HIP_vector_typeIjLj3EEjjjS8_jjjS8_jjjj,"axG",@progbits,_ZL13mul_mat_vec_qIL9ggml_type16ELi5ELb0ELb0EEvPKvS2_PKi31ggml_cuda_mm_fusion_args_devicePfj15HIP_vector_typeIjLj3EEjjjS8_jjjS8_jjjj,comdat
.Lfunc_end164:
	.size	_ZL13mul_mat_vec_qIL9ggml_type16ELi5ELb0ELb0EEvPKvS2_PKi31ggml_cuda_mm_fusion_args_devicePfj15HIP_vector_typeIjLj3EEjjjS8_jjjS8_jjjj, .Lfunc_end164-_ZL13mul_mat_vec_qIL9ggml_type16ELi5ELb0ELb0EEvPKvS2_PKi31ggml_cuda_mm_fusion_args_devicePfj15HIP_vector_typeIjLj3EEjjjS8_jjjS8_jjjj
                                        ; -- End function
	.section	.AMDGPU.csdata,"",@progbits
; Kernel info:
; codeLenInByte = 6704
; NumSgprs: 36
; NumVgprs: 63
; NumAgprs: 0
; TotalNumVgprs: 63
; ScratchSize: 48
; MemoryBound: 0
; FloatMode: 240
; IeeeMode: 1
; LDSByteSize: 0 bytes/workgroup (compile time only)
; SGPRBlocks: 4
; VGPRBlocks: 7
; NumSGPRsForWavesPerEU: 36
; NumVGPRsForWavesPerEU: 63
; AccumOffset: 64
; Occupancy: 8
; WaveLimiterHint : 0
; COMPUTE_PGM_RSRC2:SCRATCH_EN: 1
; COMPUTE_PGM_RSRC2:USER_SGPR: 2
; COMPUTE_PGM_RSRC2:TRAP_HANDLER: 0
; COMPUTE_PGM_RSRC2:TGID_X_EN: 1
; COMPUTE_PGM_RSRC2:TGID_Y_EN: 1
; COMPUTE_PGM_RSRC2:TGID_Z_EN: 1
; COMPUTE_PGM_RSRC2:TIDIG_COMP_CNT: 1
; COMPUTE_PGM_RSRC3_GFX90A:ACCUM_OFFSET: 15
; COMPUTE_PGM_RSRC3_GFX90A:TG_SPLIT: 0
	.section	.text._ZL13mul_mat_vec_qIL9ggml_type16ELi6ELb0ELb0EEvPKvS2_PKi31ggml_cuda_mm_fusion_args_devicePfj15HIP_vector_typeIjLj3EEjjjS8_jjjS8_jjjj,"axG",@progbits,_ZL13mul_mat_vec_qIL9ggml_type16ELi6ELb0ELb0EEvPKvS2_PKi31ggml_cuda_mm_fusion_args_devicePfj15HIP_vector_typeIjLj3EEjjjS8_jjjS8_jjjj,comdat
	.globl	_ZL13mul_mat_vec_qIL9ggml_type16ELi6ELb0ELb0EEvPKvS2_PKi31ggml_cuda_mm_fusion_args_devicePfj15HIP_vector_typeIjLj3EEjjjS8_jjjS8_jjjj ; -- Begin function _ZL13mul_mat_vec_qIL9ggml_type16ELi6ELb0ELb0EEvPKvS2_PKi31ggml_cuda_mm_fusion_args_devicePfj15HIP_vector_typeIjLj3EEjjjS8_jjjS8_jjjj
	.p2align	8
	.type	_ZL13mul_mat_vec_qIL9ggml_type16ELi6ELb0ELb0EEvPKvS2_PKi31ggml_cuda_mm_fusion_args_devicePfj15HIP_vector_typeIjLj3EEjjjS8_jjjS8_jjjj,@function
_ZL13mul_mat_vec_qIL9ggml_type16ELi6ELb0ELb0EEvPKvS2_PKi31ggml_cuda_mm_fusion_args_devicePfj15HIP_vector_typeIjLj3EEjjjS8_jjjS8_jjjj: ; @_ZL13mul_mat_vec_qIL9ggml_type16ELi6ELb0ELb0EEvPKvS2_PKi31ggml_cuda_mm_fusion_args_devicePfj15HIP_vector_typeIjLj3EEjjjS8_jjjS8_jjjj
; %bb.0:
	v_bfe_u32 v21, v0, 10, 10
	v_and_b32_e32 v20, 0x3ff, v0
	s_mov_b32 s20, 0
	s_load_dword s5, s[0:1], 0x40
	s_load_dwordx4 s[8:11], s[0:1], 0x50
	s_load_dword s27, s[0:1], 0x60
	s_load_dwordx4 s[12:15], s[0:1], 0x68
	s_load_dword s26, s[0:1], 0x78
	s_load_dwordx4 s[16:19], s[0:1], 0x80
	v_lshl_or_b32 v4, v21, 6, v20
	s_mov_b32 s21, s20
	s_waitcnt lgkmcnt(0)
	s_lshr_b32 s5, s5, 8
	s_mov_b32 s22, s20
	s_mov_b32 s23, s20
	v_mov_b64_e32 v[0:1], s[20:21]
	v_lshrrev_b32_e32 v25, 3, v4
	s_lshl_b32 s2, s2, 1
	v_mov_b64_e32 v[2:3], s[22:23]
	v_cmp_gt_u32_e32 vcc, s5, v25
	scratch_store_dwordx4 off, v[0:3], off offset:32
	scratch_store_dwordx4 off, v[0:3], off offset:16
	scratch_store_dwordx4 off, v[0:3], off
	s_and_saveexec_b64 s[6:7], vcc
	s_cbranch_execz .LBB165_4
; %bb.1:
	s_load_dwordx4 s[20:23], s[0:1], 0x0
	s_mul_i32 s17, s4, s17
	s_mul_i32 s24, s17, 36
	;; [unrolled: 1-line block ×3, first 2 shown]
	s_mul_hi_u32 s19, s17, 36
	s_waitcnt lgkmcnt(0)
	s_add_u32 s24, s22, s24
	s_addc_u32 s19, s23, s19
	s_mul_i32 s28, s13, 36
	s_mul_hi_u32 s29, s13, 36
	s_add_u32 s24, s24, s28
	s_mul_hi_u32 s11, s11, s3
	s_addc_u32 s25, s19, s29
	s_add_i32 s11, s3, s11
	s_lshr_b32 s11, s11, s27
	s_mul_i32 s11, s11, s12
	s_mul_hi_u32 s12, s15, s4
	s_add_i32 s12, s4, s12
	s_lshr_b32 s12, s12, s26
	s_mul_i32 s12, s12, s16
	s_mul_i32 s13, s2, s8
	s_add_i32 s12, s12, s11
	s_add_i32 s11, s12, s13
	;; [unrolled: 1-line block ×3, first 2 shown]
	s_mul_i32 s8, s8, s13
	v_lshl_add_u32 v1, v21, 6, v20
	s_add_i32 s8, s12, s8
	v_lshrrev_b32_e32 v1, 3, v1
	s_movk_i32 s12, 0x120
	v_mov_b64_e32 v[2:3], s[28:29]
	v_mad_u64_u32 v[2:3], s[12:13], v1, s12, v[2:3]
	v_lshlrev_b32_e32 v0, 1, v20
	v_and_b32_e32 v24, 7, v20
	v_mad_u64_u32 v[2:3], s[12:13], s17, 36, v[2:3]
	v_and_b32_e32 v0, 14, v0
	v_mad_u64_u32 v[2:3], s[12:13], v24, 36, v[2:3]
	v_lshlrev_b32_e32 v0, 1, v0
	v_mov_b32_e32 v23, 0
	v_lshl_add_u64 v[2:3], v[2:3], 0, s[22:23]
	v_lshlrev_b32_e32 v48, 3, v25
	s_mul_i32 s15, s9, 5
	s_lshl_b32 s19, s9, 2
	s_mul_i32 s26, s9, 3
	s_lshl_b32 s27, s9, 1
	v_lshl_add_u64 v[26:27], v[2:3], 0, 16
	s_mov_b64 s[12:13], 0
	s_movk_i32 s22, 0x42
	v_mov_b64_e32 v[28:29], s[20:21]
	v_lshlrev_b32_e32 v22, 1, v0
	s_mov_b32 s23, 0x1010101
	s_movk_i32 s28, 0xff00
	s_mov_b64 s[16:17], 0x900
	v_mov_b32_e32 v49, 3
	v_mov_b32_e32 v50, 8
	;; [unrolled: 1-line block ×14, first 2 shown]
.LBB165_2:                              ; =>This Inner Loop Header: Depth=1
	v_add_u32_e32 v30, s11, v25
	v_mad_i64_i32 v[32:33], s[20:21], v30, s22, v[28:29]
	v_lshl_add_u64 v[30:31], v[32:33], 0, v[22:23]
	global_load_dword v53, v[26:27], off offset:16
	global_load_dwordx4 v[12:15], v[26:27], off
	global_load_dwordx4 v[16:19], v[26:27], off offset:-16
	s_getpc_b64 s[20:21]
	s_add_u32 s20, s20, _ZL11iq2xxs_grid@rel32@lo+4
	s_addc_u32 s21, s21, _ZL11iq2xxs_grid@rel32@hi+12
	global_load_dwordx2 v[30:31], v[30:31], off offset:2
	v_mov_b32_e32 v54, 0
	v_lshl_add_u64 v[26:27], v[26:27], 0, s[16:17]
	s_waitcnt vmcnt(1)
	v_cvt_f32_f16_e32 v16, v16
	s_waitcnt vmcnt(0)
	v_lshlrev_b32_sdwa v34, v49, v30 dst_sel:DWORD dst_unused:UNUSED_PAD src0_sel:DWORD src1_sel:BYTE_0
	global_load_dwordx2 v[34:35], v34, s[20:21]
	v_and_b32_e32 v36, 0xff, v31
	v_bcnt_u32_b32 v37, v36, 0
	v_and_b32_e32 v37, 1, v37
	v_lshlrev_b32_e32 v37, 7, v37
	v_xor_b32_e32 v36, v37, v36
	v_mul_lo_u32 v36, v36, s23
	v_and_b32_e32 v37, 0x8000000, v36
	v_lshrrev_b32_e32 v39, 8, v36
	v_lshrrev_b16_e32 v40, 1, v39
	v_cmp_ne_u16_sdwa s[30:31], v37, v23 src0_sel:BYTE_3 src1_sel:DWORD
	v_and_b32_e32 v38, 1, v31
	v_bfe_i32 v40, v40, 0, 1
	v_lshrrev_b32_e32 v41, 18, v36
	v_cndmask_b32_e64 v37, 0, -1, s[30:31]
	v_sub_u16_e32 v38, 0, v38
	v_bfe_i32 v41, v41, 0, 1
	v_lshlrev_b16_e32 v37, 8, v37
	v_lshlrev_b16_e32 v40, 8, v40
	v_or_b32_sdwa v42, v41, v37 dst_sel:WORD_1 dst_unused:UNUSED_PAD src0_sel:BYTE_0 src1_sel:DWORD
	v_or_b32_sdwa v43, v38, v40 dst_sel:DWORD dst_unused:UNUSED_PAD src0_sel:BYTE_0 src1_sel:DWORD
	v_or_b32_sdwa v42, v43, v42 dst_sel:DWORD dst_unused:UNUSED_PAD src0_sel:WORD_0 src1_sel:DWORD
	v_lshlrev_b16_e32 v38, 8, v38
	v_bfe_i32 v61, v31, 7, 1
	v_bfe_i32 v60, v31, 14, 1
	s_waitcnt vmcnt(0)
	v_xor_b32_e32 v34, v34, v42
	v_and_b32_e32 v42, 0xffffff00, v34
	v_sub_i16 v40, v42, v40 clamp
	v_lshlrev_b16_e32 v42, 8, v34
	v_and_b32_e32 v40, 0xffffff00, v40
	v_sub_i16 v38, v42, v38 clamp
	v_or_b32_sdwa v38, v38, v40 dst_sel:DWORD dst_unused:UNUSED_PAD src0_sel:BYTE_1 src1_sel:DWORD
	v_and_b32_sdwa v40, v34, s28 dst_sel:DWORD dst_unused:UNUSED_PAD src0_sel:WORD_1 src1_sel:DWORD
	v_sub_i16 v37, v40, v37 clamp
	v_lshlrev_b16_sdwa v34, v50, v34 dst_sel:DWORD dst_unused:UNUSED_PAD src0_sel:DWORD src1_sel:WORD_1
	v_lshlrev_b16_e32 v40, 8, v41
	v_and_b32_e32 v37, 0xffffff00, v37
	v_sub_i16 v34, v34, v40 clamp
	v_or_b32_sdwa v34, v34, v37 dst_sel:WORD_1 dst_unused:UNUSED_PAD src0_sel:BYTE_1 src1_sel:DWORD
	v_bfe_i32 v37, v31, 4, 1
	v_or_b32_sdwa v51, v38, v34 dst_sel:DWORD dst_unused:UNUSED_PAD src0_sel:WORD_0 src1_sel:DWORD
	v_and_b32_e32 v34, 0x80000000, v36
	v_lshrrev_b16_e32 v38, 5, v39
	v_cmp_ne_u16_sdwa s[30:31], v34, v23 src0_sel:BYTE_3 src1_sel:DWORD
	v_bfe_i32 v38, v38, 0, 1
	v_lshrrev_b32_e32 v36, 22, v36
	v_cndmask_b32_e64 v34, 0, -1, s[30:31]
	v_bfe_i32 v36, v36, 0, 1
	v_lshlrev_b16_e32 v34, 8, v34
	v_lshlrev_b16_e32 v38, 8, v38
	v_or_b32_sdwa v39, v36, v34 dst_sel:WORD_1 dst_unused:UNUSED_PAD src0_sel:BYTE_0 src1_sel:DWORD
	v_or_b32_sdwa v40, v37, v38 dst_sel:DWORD dst_unused:UNUSED_PAD src0_sel:BYTE_0 src1_sel:DWORD
	v_or_b32_sdwa v39, v40, v39 dst_sel:DWORD dst_unused:UNUSED_PAD src0_sel:WORD_0 src1_sel:DWORD
	v_xor_b32_e32 v35, v35, v39
	v_and_b32_e32 v39, 0xffffff00, v35
	v_sub_i16 v38, v39, v38 clamp
	v_lshlrev_b16_e32 v39, 8, v35
	v_lshlrev_b16_e32 v37, 8, v37
	v_and_b32_e32 v38, 0xffffff00, v38
	v_sub_i16 v37, v39, v37 clamp
	v_or_b32_sdwa v37, v37, v38 dst_sel:DWORD dst_unused:UNUSED_PAD src0_sel:BYTE_1 src1_sel:DWORD
	v_and_b32_sdwa v38, v35, s28 dst_sel:DWORD dst_unused:UNUSED_PAD src0_sel:WORD_1 src1_sel:DWORD
	v_sub_i16 v34, v38, v34 clamp
	v_lshlrev_b16_sdwa v35, v50, v35 dst_sel:DWORD dst_unused:UNUSED_PAD src0_sel:DWORD src1_sel:WORD_1
	v_lshlrev_b16_e32 v36, 8, v36
	v_and_b32_e32 v34, 0xffffff00, v34
	v_sub_i16 v35, v35, v36 clamp
	v_or_b32_sdwa v34, v35, v34 dst_sel:WORD_1 dst_unused:UNUSED_PAD src0_sel:BYTE_1 src1_sel:DWORD
	v_dot4c_i32_i8_e32 v54, v51, v17
	v_or_b32_sdwa v52, v37, v34 dst_sel:DWORD dst_unused:UNUSED_PAD src0_sel:WORD_0 src1_sel:DWORD
	v_lshlrev_b32_sdwa v34, v49, v30 dst_sel:DWORD dst_unused:UNUSED_PAD src0_sel:DWORD src1_sel:BYTE_1
	global_load_dwordx2 v[44:45], v34, s[20:21]
	v_lshlrev_b32_sdwa v34, v49, v30 dst_sel:DWORD dst_unused:UNUSED_PAD src0_sel:DWORD src1_sel:BYTE_2
	v_lshlrev_b32_sdwa v30, v49, v30 dst_sel:DWORD dst_unused:UNUSED_PAD src0_sel:DWORD src1_sel:BYTE_3
	global_load_dwordx2 v[42:43], v34, s[20:21]
	global_load_dwordx2 v[40:41], v30, s[20:21]
	global_load_ushort v55, v[32:33], off
	v_add_u32_e32 v30, s8, v25
	v_mad_i64_i32 v[46:47], s[30:31], v30, s22, v[28:29]
	v_lshl_add_u64 v[32:33], v[46:47], 0, v[22:23]
	global_load_dwordx2 v[32:33], v[32:33], off offset:2
	v_dot4c_i32_i8_e32 v54, v52, v18
	v_add_u32_e32 v25, 8, v25
	v_cmp_le_u32_e32 vcc, s5, v25
	s_or_b64 s[12:13], vcc, s[12:13]
	s_waitcnt vmcnt(0)
	v_lshlrev_b32_sdwa v30, v49, v32 dst_sel:DWORD dst_unused:UNUSED_PAD src0_sel:DWORD src1_sel:BYTE_0
	global_load_dwordx2 v[34:35], v30, s[20:21]
	v_and_b32_e32 v30, 0xff, v33
	v_bcnt_u32_b32 v36, v30, 0
	v_and_b32_e32 v36, 1, v36
	v_lshlrev_b32_e32 v36, 7, v36
	v_xor_b32_e32 v30, v36, v30
	v_mul_lo_u32 v36, v30, s23
	v_and_b32_e32 v30, 0x8000000, v36
	v_lshrrev_b32_e32 v38, 8, v36
	v_lshrrev_b16_e32 v39, 1, v38
	v_cmp_ne_u16_sdwa s[30:31], v30, v23 src0_sel:BYTE_3 src1_sel:DWORD
	v_and_b32_e32 v37, 1, v33
	v_bfe_i32 v39, v39, 0, 1
	v_lshrrev_b32_e32 v56, 18, v36
	v_cndmask_b32_e64 v30, 0, -1, s[30:31]
	v_sub_u16_e32 v37, 0, v37
	v_bfe_i32 v56, v56, 0, 1
	v_lshlrev_b16_e32 v30, 8, v30
	v_lshlrev_b16_e32 v39, 8, v39
	v_or_b32_sdwa v57, v56, v30 dst_sel:WORD_1 dst_unused:UNUSED_PAD src0_sel:BYTE_0 src1_sel:DWORD
	v_or_b32_sdwa v58, v37, v39 dst_sel:DWORD dst_unused:UNUSED_PAD src0_sel:BYTE_0 src1_sel:DWORD
	v_or_b32_sdwa v57, v58, v57 dst_sel:DWORD dst_unused:UNUSED_PAD src0_sel:WORD_0 src1_sel:DWORD
	v_lshlrev_b16_e32 v37, 8, v37
	v_bfe_i32 v59, v33, 7, 1
	v_bfe_i32 v58, v33, 14, 1
	s_waitcnt vmcnt(0)
	v_xor_b32_e32 v34, v34, v57
	v_and_b32_e32 v57, 0xffffff00, v34
	v_sub_i16 v39, v57, v39 clamp
	v_lshlrev_b16_e32 v57, 8, v34
	v_and_b32_e32 v39, 0xffffff00, v39
	v_sub_i16 v37, v57, v37 clamp
	v_or_b32_sdwa v37, v37, v39 dst_sel:DWORD dst_unused:UNUSED_PAD src0_sel:BYTE_1 src1_sel:DWORD
	v_and_b32_sdwa v39, v34, s28 dst_sel:DWORD dst_unused:UNUSED_PAD src0_sel:WORD_1 src1_sel:DWORD
	v_sub_i16 v30, v39, v30 clamp
	v_lshlrev_b16_sdwa v34, v50, v34 dst_sel:DWORD dst_unused:UNUSED_PAD src0_sel:DWORD src1_sel:WORD_1
	v_lshlrev_b16_e32 v39, 8, v56
	v_and_b32_e32 v30, 0xffffff00, v30
	v_sub_i16 v34, v34, v39 clamp
	v_or_b32_sdwa v30, v34, v30 dst_sel:WORD_1 dst_unused:UNUSED_PAD src0_sel:BYTE_1 src1_sel:DWORD
	v_mov_b32_e32 v56, 0
	v_or_b32_sdwa v30, v37, v30 dst_sel:DWORD dst_unused:UNUSED_PAD src0_sel:WORD_0 src1_sel:DWORD
	v_dot4c_i32_i8_e32 v56, v30, v17
	v_and_b32_e32 v17, 0x80000000, v36
	v_lshrrev_b16_e32 v37, 5, v38
	v_cmp_ne_u16_sdwa s[30:31], v17, v23 src0_sel:BYTE_3 src1_sel:DWORD
	v_bfe_i32 v37, v37, 0, 1
	v_lshrrev_b32_e32 v36, 22, v36
	v_cndmask_b32_e64 v17, 0, -1, s[30:31]
	v_bfe_i32 v34, v33, 4, 1
	v_bfe_i32 v36, v36, 0, 1
	v_lshlrev_b16_e32 v17, 8, v17
	v_lshlrev_b16_e32 v37, 8, v37
	v_or_b32_sdwa v38, v36, v17 dst_sel:WORD_1 dst_unused:UNUSED_PAD src0_sel:BYTE_0 src1_sel:DWORD
	v_or_b32_sdwa v39, v34, v37 dst_sel:DWORD dst_unused:UNUSED_PAD src0_sel:BYTE_0 src1_sel:DWORD
	v_or_b32_sdwa v38, v39, v38 dst_sel:DWORD dst_unused:UNUSED_PAD src0_sel:WORD_0 src1_sel:DWORD
	v_xor_b32_e32 v35, v35, v38
	v_and_b32_e32 v38, 0xffffff00, v35
	v_sub_i16 v37, v38, v37 clamp
	v_lshlrev_b16_e32 v38, 8, v35
	v_lshlrev_b16_e32 v34, 8, v34
	v_and_b32_e32 v37, 0xffffff00, v37
	v_sub_i16 v34, v38, v34 clamp
	v_or_b32_sdwa v34, v34, v37 dst_sel:DWORD dst_unused:UNUSED_PAD src0_sel:BYTE_1 src1_sel:DWORD
	v_and_b32_sdwa v37, v35, s28 dst_sel:DWORD dst_unused:UNUSED_PAD src0_sel:WORD_1 src1_sel:DWORD
	v_sub_i16 v17, v37, v17 clamp
	v_lshlrev_b16_sdwa v35, v50, v35 dst_sel:DWORD dst_unused:UNUSED_PAD src0_sel:DWORD src1_sel:WORD_1
	v_lshlrev_b16_e32 v36, 8, v36
	v_and_b32_e32 v17, 0xffffff00, v17
	v_sub_i16 v35, v35, v36 clamp
	v_or_b32_sdwa v17, v35, v17 dst_sel:WORD_1 dst_unused:UNUSED_PAD src0_sel:BYTE_1 src1_sel:DWORD
	s_nop 0
	v_or_b32_sdwa v17, v34, v17 dst_sel:DWORD dst_unused:UNUSED_PAD src0_sel:WORD_0 src1_sel:DWORD
	v_dot4c_i32_i8_e32 v56, v17, v18
	v_lshlrev_b32_sdwa v18, v49, v32 dst_sel:DWORD dst_unused:UNUSED_PAD src0_sel:DWORD src1_sel:BYTE_1
	global_load_dwordx2 v[38:39], v18, s[20:21]
	v_lshlrev_b32_sdwa v18, v49, v32 dst_sel:DWORD dst_unused:UNUSED_PAD src0_sel:DWORD src1_sel:BYTE_2
	global_load_dwordx2 v[36:37], v18, s[20:21]
	v_lshlrev_b32_sdwa v18, v49, v32 dst_sel:DWORD dst_unused:UNUSED_PAD src0_sel:DWORD src1_sel:BYTE_3
	global_load_dwordx2 v[34:35], v18, s[20:21]
	global_load_ushort v57, v[46:47], off
	v_bfe_u32 v18, v31, 7, 8
	v_bcnt_u32_b32 v32, v18, 0
	v_and_b32_e32 v32, 1, v32
	v_lshlrev_b32_e32 v32, 7, v32
	v_xor_b32_e32 v18, v32, v18
	v_mul_lo_u32 v32, v18, s23
	v_and_b32_e32 v18, 0x8000000, v32
	v_lshrrev_b32_e32 v46, 8, v32
	v_lshrrev_b16_e32 v47, 1, v46
	v_cmp_ne_u16_sdwa s[20:21], v18, v23 src0_sel:BYTE_3 src1_sel:DWORD
	v_bfe_i32 v47, v47, 0, 1
	v_lshrrev_b32_e32 v62, 18, v32
	v_cndmask_b32_e64 v18, 0, -1, s[20:21]
	v_bfe_i32 v62, v62, 0, 1
	v_lshlrev_b16_e32 v18, 8, v18
	v_lshlrev_b16_e32 v47, 8, v47
	v_or_b32_sdwa v63, v62, v18 dst_sel:WORD_1 dst_unused:UNUSED_PAD src0_sel:BYTE_0 src1_sel:DWORD
	v_or_b32_sdwa v64, v61, v47 dst_sel:DWORD dst_unused:UNUSED_PAD src0_sel:BYTE_0 src1_sel:DWORD
	v_or_b32_sdwa v63, v64, v63 dst_sel:DWORD dst_unused:UNUSED_PAD src0_sel:WORD_0 src1_sel:DWORD
	v_xor_b32_e32 v44, v44, v63
	v_and_b32_e32 v63, 0xffffff00, v44
	v_sub_i16 v47, v63, v47 clamp
	v_lshlrev_b16_e32 v63, 8, v44
	v_lshlrev_b16_e32 v61, 8, v61
	v_and_b32_e32 v47, 0xffffff00, v47
	v_sub_i16 v61, v63, v61 clamp
	v_or_b32_sdwa v47, v61, v47 dst_sel:DWORD dst_unused:UNUSED_PAD src0_sel:BYTE_1 src1_sel:DWORD
	v_and_b32_sdwa v61, v44, s28 dst_sel:DWORD dst_unused:UNUSED_PAD src0_sel:WORD_1 src1_sel:DWORD
	v_sub_i16 v18, v61, v18 clamp
	v_lshlrev_b16_sdwa v44, v50, v44 dst_sel:DWORD dst_unused:UNUSED_PAD src0_sel:DWORD src1_sel:WORD_1
	v_lshlrev_b16_e32 v61, 8, v62
	v_and_b32_e32 v18, 0xffffff00, v18
	v_sub_i16 v44, v44, v61 clamp
	v_or_b32_sdwa v18, v44, v18 dst_sel:WORD_1 dst_unused:UNUSED_PAD src0_sel:BYTE_1 src1_sel:DWORD
	v_and_b32_e32 v44, 0x80000000, v32
	v_lshrrev_b16_e32 v46, 5, v46
	v_cmp_ne_u16_sdwa s[20:21], v44, v23 src0_sel:BYTE_3 src1_sel:DWORD
	v_bfe_i32 v46, v46, 0, 1
	v_lshrrev_b32_e32 v32, 22, v32
	v_cndmask_b32_e64 v44, 0, -1, s[20:21]
	v_or_b32_sdwa v18, v47, v18 dst_sel:DWORD dst_unused:UNUSED_PAD src0_sel:WORD_0 src1_sel:DWORD
	v_bfe_i32 v47, v31, 11, 1
	v_bfe_i32 v32, v32, 0, 1
	v_lshlrev_b16_e32 v44, 8, v44
	v_lshlrev_b16_e32 v46, 8, v46
	v_or_b32_sdwa v61, v32, v44 dst_sel:WORD_1 dst_unused:UNUSED_PAD src0_sel:BYTE_0 src1_sel:DWORD
	v_or_b32_sdwa v62, v47, v46 dst_sel:DWORD dst_unused:UNUSED_PAD src0_sel:BYTE_0 src1_sel:DWORD
	v_or_b32_sdwa v61, v62, v61 dst_sel:DWORD dst_unused:UNUSED_PAD src0_sel:WORD_0 src1_sel:DWORD
	v_xor_b32_e32 v45, v45, v61
	v_and_b32_e32 v61, 0xffffff00, v45
	v_sub_i16 v46, v61, v46 clamp
	v_lshlrev_b16_e32 v61, 8, v45
	v_lshlrev_b16_e32 v47, 8, v47
	v_and_b32_e32 v46, 0xffffff00, v46
	v_sub_i16 v47, v61, v47 clamp
	v_or_b32_sdwa v46, v47, v46 dst_sel:DWORD dst_unused:UNUSED_PAD src0_sel:BYTE_1 src1_sel:DWORD
	v_and_b32_sdwa v47, v45, s28 dst_sel:DWORD dst_unused:UNUSED_PAD src0_sel:WORD_1 src1_sel:DWORD
	v_sub_i16 v44, v47, v44 clamp
	v_lshlrev_b16_sdwa v45, v50, v45 dst_sel:DWORD dst_unused:UNUSED_PAD src0_sel:DWORD src1_sel:WORD_1
	v_lshlrev_b16_e32 v32, 8, v32
	v_and_b32_e32 v44, 0xffffff00, v44
	v_sub_i16 v32, v45, v32 clamp
	v_or_b32_sdwa v32, v32, v44 dst_sel:WORD_1 dst_unused:UNUSED_PAD src0_sel:BYTE_1 src1_sel:DWORD
	v_bfe_u32 v44, v31, 14, 8
	v_bcnt_u32_b32 v45, v44, 0
	v_and_b32_e32 v45, 1, v45
	v_lshlrev_b32_e32 v45, 7, v45
	v_xor_b32_e32 v44, v45, v44
	v_mul_lo_u32 v44, v44, s23
	v_or_b32_sdwa v32, v46, v32 dst_sel:DWORD dst_unused:UNUSED_PAD src0_sel:WORD_0 src1_sel:DWORD
	v_and_b32_e32 v45, 0x8000000, v44
	v_lshrrev_b32_e32 v46, 8, v44
	v_lshrrev_b16_e32 v47, 1, v46
	v_cmp_ne_u16_sdwa s[20:21], v45, v23 src0_sel:BYTE_3 src1_sel:DWORD
	v_bfe_i32 v47, v47, 0, 1
	v_lshrrev_b32_e32 v61, 18, v44
	v_cndmask_b32_e64 v45, 0, -1, s[20:21]
	v_bfe_i32 v61, v61, 0, 1
	v_lshlrev_b16_e32 v45, 8, v45
	v_lshlrev_b16_e32 v47, 8, v47
	v_or_b32_sdwa v62, v61, v45 dst_sel:WORD_1 dst_unused:UNUSED_PAD src0_sel:BYTE_0 src1_sel:DWORD
	v_or_b32_sdwa v63, v60, v47 dst_sel:DWORD dst_unused:UNUSED_PAD src0_sel:BYTE_0 src1_sel:DWORD
	v_or_b32_sdwa v62, v63, v62 dst_sel:DWORD dst_unused:UNUSED_PAD src0_sel:WORD_0 src1_sel:DWORD
	v_xor_b32_e32 v42, v42, v62
	v_and_b32_e32 v62, 0xffffff00, v42
	v_sub_i16 v47, v62, v47 clamp
	v_lshlrev_b16_e32 v62, 8, v42
	v_lshlrev_b16_e32 v60, 8, v60
	v_and_b32_e32 v47, 0xffffff00, v47
	v_sub_i16 v60, v62, v60 clamp
	v_or_b32_sdwa v47, v60, v47 dst_sel:DWORD dst_unused:UNUSED_PAD src0_sel:BYTE_1 src1_sel:DWORD
	v_and_b32_sdwa v60, v42, s28 dst_sel:DWORD dst_unused:UNUSED_PAD src0_sel:WORD_1 src1_sel:DWORD
	v_sub_i16 v45, v60, v45 clamp
	v_lshlrev_b16_sdwa v42, v50, v42 dst_sel:DWORD dst_unused:UNUSED_PAD src0_sel:DWORD src1_sel:WORD_1
	v_lshlrev_b16_e32 v60, 8, v61
	v_and_b32_e32 v45, 0xffffff00, v45
	v_sub_i16 v42, v42, v60 clamp
	v_or_b32_sdwa v42, v42, v45 dst_sel:WORD_1 dst_unused:UNUSED_PAD src0_sel:BYTE_1 src1_sel:DWORD
	v_and_b32_e32 v45, 0x80000000, v44
	v_lshrrev_b16_e32 v46, 5, v46
	v_cmp_ne_u16_sdwa s[20:21], v45, v23 src0_sel:BYTE_3 src1_sel:DWORD
	v_bfe_i32 v46, v46, 0, 1
	v_lshrrev_b32_e32 v44, 22, v44
	v_cndmask_b32_e64 v45, 0, -1, s[20:21]
	v_or_b32_sdwa v42, v47, v42 dst_sel:DWORD dst_unused:UNUSED_PAD src0_sel:WORD_0 src1_sel:DWORD
	v_bfe_i32 v47, v31, 18, 1
	v_bfe_i32 v44, v44, 0, 1
	v_lshlrev_b16_e32 v45, 8, v45
	v_lshlrev_b16_e32 v46, 8, v46
	v_or_b32_sdwa v60, v44, v45 dst_sel:WORD_1 dst_unused:UNUSED_PAD src0_sel:BYTE_0 src1_sel:DWORD
	v_or_b32_sdwa v61, v47, v46 dst_sel:DWORD dst_unused:UNUSED_PAD src0_sel:BYTE_0 src1_sel:DWORD
	v_or_b32_sdwa v60, v61, v60 dst_sel:DWORD dst_unused:UNUSED_PAD src0_sel:WORD_0 src1_sel:DWORD
	v_xor_b32_e32 v43, v43, v60
	v_and_b32_e32 v60, 0xffffff00, v43
	v_sub_i16 v46, v60, v46 clamp
	v_lshlrev_b16_e32 v60, 8, v43
	v_lshlrev_b16_e32 v47, 8, v47
	v_and_b32_e32 v46, 0xffffff00, v46
	v_sub_i16 v47, v60, v47 clamp
	v_or_b32_sdwa v46, v47, v46 dst_sel:DWORD dst_unused:UNUSED_PAD src0_sel:BYTE_1 src1_sel:DWORD
	v_and_b32_sdwa v47, v43, s28 dst_sel:DWORD dst_unused:UNUSED_PAD src0_sel:WORD_1 src1_sel:DWORD
	v_sub_i16 v45, v47, v45 clamp
	v_lshlrev_b16_sdwa v43, v50, v43 dst_sel:DWORD dst_unused:UNUSED_PAD src0_sel:DWORD src1_sel:WORD_1
	v_lshlrev_b16_e32 v44, 8, v44
	v_and_b32_e32 v45, 0xffffff00, v45
	v_sub_i16 v43, v43, v44 clamp
	v_bfe_u32 v44, v31, 21, 8
	v_or_b32_sdwa v43, v43, v45 dst_sel:WORD_1 dst_unused:UNUSED_PAD src0_sel:BYTE_1 src1_sel:DWORD
	v_bcnt_u32_b32 v45, v44, 0
	v_and_b32_e32 v45, 1, v45
	v_lshlrev_b32_e32 v45, 7, v45
	v_xor_b32_e32 v44, v45, v44
	v_mul_lo_u32 v44, v44, s23
	v_and_b32_e32 v45, 0x8000000, v44
	v_lshrrev_b32_e32 v47, 8, v44
	v_lshrrev_b16_e32 v60, 1, v47
	v_cmp_ne_u16_sdwa s[20:21], v45, v23 src0_sel:BYTE_3 src1_sel:DWORD
	v_bfe_i32 v60, v60, 0, 1
	v_lshrrev_b32_e32 v61, 18, v44
	v_cndmask_b32_e64 v45, 0, -1, s[20:21]
	v_or_b32_sdwa v43, v46, v43 dst_sel:DWORD dst_unused:UNUSED_PAD src0_sel:WORD_0 src1_sel:DWORD
	v_bfe_i32 v46, v31, 21, 1
	v_bfe_i32 v61, v61, 0, 1
	v_lshlrev_b16_e32 v45, 8, v45
	v_lshlrev_b16_e32 v60, 8, v60
	v_or_b32_sdwa v62, v61, v45 dst_sel:WORD_1 dst_unused:UNUSED_PAD src0_sel:BYTE_0 src1_sel:DWORD
	v_or_b32_sdwa v63, v46, v60 dst_sel:DWORD dst_unused:UNUSED_PAD src0_sel:BYTE_0 src1_sel:DWORD
	v_or_b32_sdwa v62, v63, v62 dst_sel:DWORD dst_unused:UNUSED_PAD src0_sel:WORD_0 src1_sel:DWORD
	v_xor_b32_e32 v40, v40, v62
	v_and_b32_e32 v62, 0xffffff00, v40
	v_sub_i16 v60, v62, v60 clamp
	v_lshlrev_b16_e32 v62, 8, v40
	v_lshlrev_b16_e32 v46, 8, v46
	v_and_b32_e32 v60, 0xffffff00, v60
	v_sub_i16 v46, v62, v46 clamp
	v_or_b32_sdwa v46, v46, v60 dst_sel:DWORD dst_unused:UNUSED_PAD src0_sel:BYTE_1 src1_sel:DWORD
	v_and_b32_sdwa v60, v40, s28 dst_sel:DWORD dst_unused:UNUSED_PAD src0_sel:WORD_1 src1_sel:DWORD
	v_sub_i16 v45, v60, v45 clamp
	v_lshlrev_b16_sdwa v40, v50, v40 dst_sel:DWORD dst_unused:UNUSED_PAD src0_sel:DWORD src1_sel:WORD_1
	v_lshlrev_b16_e32 v60, 8, v61
	v_and_b32_e32 v45, 0xffffff00, v45
	v_sub_i16 v40, v40, v60 clamp
	v_or_b32_sdwa v40, v40, v45 dst_sel:WORD_1 dst_unused:UNUSED_PAD src0_sel:BYTE_1 src1_sel:DWORD
	v_and_b32_e32 v45, 0x80000000, v44
	v_lshrrev_b16_e32 v47, 5, v47
	v_cmp_ne_u16_sdwa s[20:21], v45, v23 src0_sel:BYTE_3 src1_sel:DWORD
	v_bfe_i32 v47, v47, 0, 1
	v_lshrrev_b32_e32 v44, 22, v44
	v_cndmask_b32_e64 v45, 0, -1, s[20:21]
	v_or_b32_sdwa v40, v46, v40 dst_sel:DWORD dst_unused:UNUSED_PAD src0_sel:WORD_0 src1_sel:DWORD
	v_bfe_i32 v46, v31, 25, 1
	v_bfe_i32 v44, v44, 0, 1
	v_lshlrev_b16_e32 v45, 8, v45
	v_lshlrev_b16_e32 v47, 8, v47
	v_or_b32_sdwa v60, v44, v45 dst_sel:WORD_1 dst_unused:UNUSED_PAD src0_sel:BYTE_0 src1_sel:DWORD
	v_or_b32_sdwa v61, v46, v47 dst_sel:DWORD dst_unused:UNUSED_PAD src0_sel:BYTE_0 src1_sel:DWORD
	v_or_b32_sdwa v60, v61, v60 dst_sel:DWORD dst_unused:UNUSED_PAD src0_sel:WORD_0 src1_sel:DWORD
	v_xor_b32_e32 v41, v41, v60
	v_and_b32_e32 v60, 0xffffff00, v41
	v_sub_i16 v47, v60, v47 clamp
	v_lshlrev_b16_e32 v60, 8, v41
	v_lshlrev_b16_e32 v46, 8, v46
	v_and_b32_e32 v47, 0xffffff00, v47
	v_sub_i16 v46, v60, v46 clamp
	v_or_b32_sdwa v46, v46, v47 dst_sel:DWORD dst_unused:UNUSED_PAD src0_sel:BYTE_1 src1_sel:DWORD
	v_and_b32_sdwa v47, v41, s28 dst_sel:DWORD dst_unused:UNUSED_PAD src0_sel:WORD_1 src1_sel:DWORD
	v_sub_i16 v45, v47, v45 clamp
	v_lshlrev_b16_sdwa v41, v50, v41 dst_sel:DWORD dst_unused:UNUSED_PAD src0_sel:DWORD src1_sel:WORD_1
	v_lshlrev_b16_e32 v44, 8, v44
	v_and_b32_e32 v45, 0xffffff00, v45
	v_sub_i16 v41, v41, v44 clamp
	v_bfe_u32 v44, v33, 7, 8
	v_or_b32_sdwa v41, v41, v45 dst_sel:WORD_1 dst_unused:UNUSED_PAD src0_sel:BYTE_1 src1_sel:DWORD
	v_bcnt_u32_b32 v45, v44, 0
	v_and_b32_e32 v45, 1, v45
	v_lshlrev_b32_e32 v45, 7, v45
	v_xor_b32_e32 v44, v45, v44
	v_mul_lo_u32 v44, v44, s23
	v_or_b32_sdwa v41, v46, v41 dst_sel:DWORD dst_unused:UNUSED_PAD src0_sel:WORD_0 src1_sel:DWORD
	v_and_b32_e32 v45, 0x8000000, v44
	v_lshrrev_b32_e32 v46, 8, v44
	v_lshrrev_b16_e32 v47, 1, v46
	v_cmp_ne_u16_sdwa s[20:21], v45, v23 src0_sel:BYTE_3 src1_sel:DWORD
	v_bfe_i32 v47, v47, 0, 1
	v_lshrrev_b32_e32 v60, 18, v44
	v_cndmask_b32_e64 v45, 0, -1, s[20:21]
	v_bfe_i32 v60, v60, 0, 1
	v_lshlrev_b16_e32 v45, 8, v45
	v_lshlrev_b16_e32 v47, 8, v47
	v_or_b32_sdwa v61, v60, v45 dst_sel:WORD_1 dst_unused:UNUSED_PAD src0_sel:BYTE_0 src1_sel:DWORD
	v_or_b32_sdwa v62, v59, v47 dst_sel:DWORD dst_unused:UNUSED_PAD src0_sel:BYTE_0 src1_sel:DWORD
	v_or_b32_sdwa v61, v62, v61 dst_sel:DWORD dst_unused:UNUSED_PAD src0_sel:WORD_0 src1_sel:DWORD
	s_waitcnt vmcnt(3)
	v_xor_b32_e32 v38, v38, v61
	v_and_b32_e32 v61, 0xffffff00, v38
	v_sub_i16 v47, v61, v47 clamp
	v_lshlrev_b16_e32 v61, 8, v38
	v_lshlrev_b16_e32 v59, 8, v59
	v_and_b32_e32 v47, 0xffffff00, v47
	v_sub_i16 v59, v61, v59 clamp
	v_or_b32_sdwa v47, v59, v47 dst_sel:DWORD dst_unused:UNUSED_PAD src0_sel:BYTE_1 src1_sel:DWORD
	v_and_b32_sdwa v59, v38, s28 dst_sel:DWORD dst_unused:UNUSED_PAD src0_sel:WORD_1 src1_sel:DWORD
	v_sub_i16 v45, v59, v45 clamp
	v_lshlrev_b16_sdwa v38, v50, v38 dst_sel:DWORD dst_unused:UNUSED_PAD src0_sel:DWORD src1_sel:WORD_1
	v_lshlrev_b16_e32 v59, 8, v60
	v_and_b32_e32 v45, 0xffffff00, v45
	v_sub_i16 v38, v38, v59 clamp
	v_or_b32_sdwa v38, v38, v45 dst_sel:WORD_1 dst_unused:UNUSED_PAD src0_sel:BYTE_1 src1_sel:DWORD
	v_dot4c_i32_i8_e32 v54, v18, v19
	v_or_b32_sdwa v38, v47, v38 dst_sel:DWORD dst_unused:UNUSED_PAD src0_sel:WORD_0 src1_sel:DWORD
	v_dot4c_i32_i8_e32 v56, v38, v19
	v_and_b32_e32 v19, 0x80000000, v44
	v_lshrrev_b16_e32 v46, 5, v46
	v_cmp_ne_u16_sdwa s[20:21], v19, v23 src0_sel:BYTE_3 src1_sel:DWORD
	v_bfe_i32 v46, v46, 0, 1
	v_lshrrev_b32_e32 v44, 22, v44
	v_cndmask_b32_e64 v19, 0, -1, s[20:21]
	v_bfe_i32 v45, v33, 11, 1
	v_bfe_i32 v44, v44, 0, 1
	v_lshlrev_b16_e32 v19, 8, v19
	v_lshlrev_b16_e32 v46, 8, v46
	v_or_b32_sdwa v47, v44, v19 dst_sel:WORD_1 dst_unused:UNUSED_PAD src0_sel:BYTE_0 src1_sel:DWORD
	v_or_b32_sdwa v59, v45, v46 dst_sel:DWORD dst_unused:UNUSED_PAD src0_sel:BYTE_0 src1_sel:DWORD
	v_or_b32_sdwa v47, v59, v47 dst_sel:DWORD dst_unused:UNUSED_PAD src0_sel:WORD_0 src1_sel:DWORD
	v_xor_b32_e32 v39, v39, v47
	v_and_b32_e32 v47, 0xffffff00, v39
	v_sub_i16 v46, v47, v46 clamp
	v_lshlrev_b16_e32 v47, 8, v39
	v_lshlrev_b16_e32 v45, 8, v45
	v_and_b32_e32 v46, 0xffffff00, v46
	v_sub_i16 v45, v47, v45 clamp
	v_or_b32_sdwa v45, v45, v46 dst_sel:DWORD dst_unused:UNUSED_PAD src0_sel:BYTE_1 src1_sel:DWORD
	v_and_b32_sdwa v46, v39, s28 dst_sel:DWORD dst_unused:UNUSED_PAD src0_sel:WORD_1 src1_sel:DWORD
	v_sub_i16 v19, v46, v19 clamp
	v_lshlrev_b16_sdwa v39, v50, v39 dst_sel:DWORD dst_unused:UNUSED_PAD src0_sel:DWORD src1_sel:WORD_1
	v_lshlrev_b16_e32 v44, 8, v44
	v_and_b32_e32 v19, 0xffffff00, v19
	v_sub_i16 v39, v39, v44 clamp
	v_or_b32_sdwa v19, v39, v19 dst_sel:WORD_1 dst_unused:UNUSED_PAD src0_sel:BYTE_1 src1_sel:DWORD
	v_dot4c_i32_i8_e32 v54, v32, v12
	v_or_b32_sdwa v19, v45, v19 dst_sel:DWORD dst_unused:UNUSED_PAD src0_sel:WORD_0 src1_sel:DWORD
	v_dot4c_i32_i8_e32 v56, v19, v12
	v_bfe_u32 v12, v33, 14, 8
	v_bcnt_u32_b32 v39, v12, 0
	v_and_b32_e32 v39, 1, v39
	v_lshlrev_b32_e32 v39, 7, v39
	v_xor_b32_e32 v12, v39, v12
	v_mul_lo_u32 v12, v12, s23
	v_and_b32_e32 v39, 0x8000000, v12
	v_lshrrev_b32_e32 v44, 8, v12
	v_lshrrev_b16_e32 v45, 1, v44
	v_cmp_ne_u16_sdwa s[20:21], v39, v23 src0_sel:BYTE_3 src1_sel:DWORD
	v_bfe_i32 v45, v45, 0, 1
	v_lshrrev_b32_e32 v46, 18, v12
	v_cndmask_b32_e64 v39, 0, -1, s[20:21]
	v_bfe_i32 v46, v46, 0, 1
	v_lshlrev_b16_e32 v39, 8, v39
	v_lshlrev_b16_e32 v45, 8, v45
	v_or_b32_sdwa v47, v46, v39 dst_sel:WORD_1 dst_unused:UNUSED_PAD src0_sel:BYTE_0 src1_sel:DWORD
	v_or_b32_sdwa v59, v58, v45 dst_sel:DWORD dst_unused:UNUSED_PAD src0_sel:BYTE_0 src1_sel:DWORD
	v_or_b32_sdwa v47, v59, v47 dst_sel:DWORD dst_unused:UNUSED_PAD src0_sel:WORD_0 src1_sel:DWORD
	s_waitcnt vmcnt(2)
	v_xor_b32_e32 v36, v36, v47
	v_and_b32_e32 v47, 0xffffff00, v36
	v_sub_i16 v45, v47, v45 clamp
	v_lshlrev_b16_e32 v47, 8, v36
	v_lshlrev_b16_e32 v58, 8, v58
	v_and_b32_e32 v45, 0xffffff00, v45
	v_sub_i16 v47, v47, v58 clamp
	v_or_b32_sdwa v45, v47, v45 dst_sel:DWORD dst_unused:UNUSED_PAD src0_sel:BYTE_1 src1_sel:DWORD
	v_and_b32_sdwa v47, v36, s28 dst_sel:DWORD dst_unused:UNUSED_PAD src0_sel:WORD_1 src1_sel:DWORD
	v_sub_i16 v39, v47, v39 clamp
	v_lshlrev_b16_sdwa v36, v50, v36 dst_sel:DWORD dst_unused:UNUSED_PAD src0_sel:DWORD src1_sel:WORD_1
	v_lshlrev_b16_e32 v46, 8, v46
	v_and_b32_e32 v39, 0xffffff00, v39
	v_sub_i16 v36, v36, v46 clamp
	v_or_b32_sdwa v36, v36, v39 dst_sel:WORD_1 dst_unused:UNUSED_PAD src0_sel:BYTE_1 src1_sel:DWORD
	v_dot4c_i32_i8_e32 v54, v42, v13
	v_or_b32_sdwa v36, v45, v36 dst_sel:DWORD dst_unused:UNUSED_PAD src0_sel:WORD_0 src1_sel:DWORD
	v_dot4c_i32_i8_e32 v56, v36, v13
	v_and_b32_e32 v13, 0x80000000, v12
	v_lshrrev_b16_e32 v44, 5, v44
	v_cmp_ne_u16_sdwa s[20:21], v13, v23 src0_sel:BYTE_3 src1_sel:DWORD
	v_bfe_i32 v44, v44, 0, 1
	v_lshrrev_b32_e32 v12, 22, v12
	v_cndmask_b32_e64 v13, 0, -1, s[20:21]
	v_bfe_i32 v39, v33, 18, 1
	v_bfe_i32 v12, v12, 0, 1
	v_lshlrev_b16_e32 v13, 8, v13
	v_lshlrev_b16_e32 v44, 8, v44
	v_or_b32_sdwa v45, v12, v13 dst_sel:WORD_1 dst_unused:UNUSED_PAD src0_sel:BYTE_0 src1_sel:DWORD
	v_or_b32_sdwa v46, v39, v44 dst_sel:DWORD dst_unused:UNUSED_PAD src0_sel:BYTE_0 src1_sel:DWORD
	v_or_b32_sdwa v45, v46, v45 dst_sel:DWORD dst_unused:UNUSED_PAD src0_sel:WORD_0 src1_sel:DWORD
	v_xor_b32_e32 v37, v37, v45
	v_and_b32_e32 v45, 0xffffff00, v37
	v_sub_i16 v44, v45, v44 clamp
	v_lshlrev_b16_e32 v45, 8, v37
	v_lshlrev_b16_e32 v39, 8, v39
	v_and_b32_e32 v44, 0xffffff00, v44
	v_sub_i16 v39, v45, v39 clamp
	v_or_b32_sdwa v39, v39, v44 dst_sel:DWORD dst_unused:UNUSED_PAD src0_sel:BYTE_1 src1_sel:DWORD
	v_and_b32_sdwa v44, v37, s28 dst_sel:DWORD dst_unused:UNUSED_PAD src0_sel:WORD_1 src1_sel:DWORD
	v_sub_i16 v13, v44, v13 clamp
	v_lshlrev_b16_sdwa v37, v50, v37 dst_sel:DWORD dst_unused:UNUSED_PAD src0_sel:DWORD src1_sel:WORD_1
	v_lshlrev_b16_e32 v12, 8, v12
	v_and_b32_e32 v13, 0xffffff00, v13
	v_sub_i16 v12, v37, v12 clamp
	v_or_b32_sdwa v12, v12, v13 dst_sel:WORD_1 dst_unused:UNUSED_PAD src0_sel:BYTE_1 src1_sel:DWORD
	v_dot4c_i32_i8_e32 v54, v43, v14
	v_or_b32_sdwa v37, v39, v12 dst_sel:DWORD dst_unused:UNUSED_PAD src0_sel:WORD_0 src1_sel:DWORD
	v_bfe_u32 v12, v33, 21, 8
	v_bcnt_u32_b32 v13, v12, 0
	v_and_b32_e32 v13, 1, v13
	v_lshlrev_b32_e32 v13, 7, v13
	v_xor_b32_e32 v12, v13, v12
	v_mul_lo_u32 v12, v12, s23
	v_and_b32_e32 v39, 0x8000000, v12
	v_lshrrev_b32_e32 v13, 8, v12
	v_dot4c_i32_i8_e32 v56, v37, v14
	v_lshrrev_b16_e32 v14, 1, v13
	v_cmp_ne_u16_sdwa s[20:21], v39, v23 src0_sel:BYTE_3 src1_sel:DWORD
	v_bfe_i32 v45, v14, 0, 1
	v_lshrrev_b32_e32 v14, 18, v12
	v_cndmask_b32_e64 v39, 0, -1, s[20:21]
	v_bfe_i32 v44, v33, 21, 1
	v_bfe_i32 v14, v14, 0, 1
	v_lshlrev_b16_e32 v39, 8, v39
	v_lshlrev_b16_e32 v45, 8, v45
	v_or_b32_sdwa v46, v14, v39 dst_sel:WORD_1 dst_unused:UNUSED_PAD src0_sel:BYTE_0 src1_sel:DWORD
	v_or_b32_sdwa v47, v44, v45 dst_sel:DWORD dst_unused:UNUSED_PAD src0_sel:BYTE_0 src1_sel:DWORD
	v_or_b32_sdwa v46, v47, v46 dst_sel:DWORD dst_unused:UNUSED_PAD src0_sel:WORD_0 src1_sel:DWORD
	s_waitcnt vmcnt(1)
	v_xor_b32_e32 v34, v34, v46
	v_and_b32_e32 v46, 0xffffff00, v34
	v_sub_i16 v45, v46, v45 clamp
	v_lshlrev_b16_e32 v46, 8, v34
	v_lshlrev_b16_e32 v44, 8, v44
	v_and_b32_e32 v45, 0xffffff00, v45
	v_sub_i16 v44, v46, v44 clamp
	v_or_b32_sdwa v44, v44, v45 dst_sel:DWORD dst_unused:UNUSED_PAD src0_sel:BYTE_1 src1_sel:DWORD
	v_and_b32_sdwa v45, v34, s28 dst_sel:DWORD dst_unused:UNUSED_PAD src0_sel:WORD_1 src1_sel:DWORD
	v_sub_i16 v39, v45, v39 clamp
	v_lshlrev_b16_sdwa v34, v50, v34 dst_sel:DWORD dst_unused:UNUSED_PAD src0_sel:DWORD src1_sel:WORD_1
	v_lshlrev_b16_e32 v14, 8, v14
	v_and_b32_e32 v39, 0xffffff00, v39
	v_sub_i16 v14, v34, v14 clamp
	v_or_b32_sdwa v14, v14, v39 dst_sel:WORD_1 dst_unused:UNUSED_PAD src0_sel:BYTE_1 src1_sel:DWORD
	v_dot4c_i32_i8_e32 v54, v40, v15
	v_or_b32_sdwa v14, v44, v14 dst_sel:DWORD dst_unused:UNUSED_PAD src0_sel:WORD_0 src1_sel:DWORD
	v_dot4c_i32_i8_e32 v56, v14, v15
	v_and_b32_e32 v15, 0x80000000, v12
	v_lshrrev_b16_e32 v13, 5, v13
	v_cmp_ne_u16_sdwa s[20:21], v15, v23 src0_sel:BYTE_3 src1_sel:DWORD
	v_bfe_i32 v13, v13, 0, 1
	v_lshrrev_b32_e32 v12, 22, v12
	v_cndmask_b32_e64 v15, 0, -1, s[20:21]
	v_bfe_i32 v34, v33, 25, 1
	v_bfe_i32 v12, v12, 0, 1
	v_lshlrev_b16_e32 v15, 8, v15
	v_lshlrev_b16_e32 v13, 8, v13
	v_or_b32_sdwa v39, v12, v15 dst_sel:WORD_1 dst_unused:UNUSED_PAD src0_sel:BYTE_0 src1_sel:DWORD
	v_or_b32_sdwa v44, v34, v13 dst_sel:DWORD dst_unused:UNUSED_PAD src0_sel:BYTE_0 src1_sel:DWORD
	v_or_b32_sdwa v39, v44, v39 dst_sel:DWORD dst_unused:UNUSED_PAD src0_sel:WORD_0 src1_sel:DWORD
	v_xor_b32_e32 v35, v35, v39
	v_and_b32_e32 v39, 0xffffff00, v35
	v_sub_i16 v13, v39, v13 clamp
	v_lshlrev_b16_e32 v39, 8, v35
	v_lshlrev_b16_e32 v34, 8, v34
	v_and_b32_e32 v13, 0xffffff00, v13
	v_sub_i16 v34, v39, v34 clamp
	v_or_b32_sdwa v13, v34, v13 dst_sel:DWORD dst_unused:UNUSED_PAD src0_sel:BYTE_1 src1_sel:DWORD
	v_and_b32_sdwa v34, v35, s28 dst_sel:DWORD dst_unused:UNUSED_PAD src0_sel:WORD_1 src1_sel:DWORD
	v_sub_i16 v15, v34, v15 clamp
	v_lshlrev_b16_sdwa v34, v50, v35 dst_sel:DWORD dst_unused:UNUSED_PAD src0_sel:DWORD src1_sel:WORD_1
	v_lshlrev_b16_e32 v12, 8, v12
	v_and_b32_e32 v15, 0xffffff00, v15
	v_sub_i16 v12, v34, v12 clamp
	v_or_b32_sdwa v12, v12, v15 dst_sel:WORD_1 dst_unused:UNUSED_PAD src0_sel:BYTE_1 src1_sel:DWORD
	v_dot4c_i32_i8_e32 v54, v41, v53
	v_or_b32_sdwa v15, v13, v12 dst_sel:DWORD dst_unused:UNUSED_PAD src0_sel:WORD_0 src1_sel:DWORD
	v_lshrrev_b32_e32 v13, 27, v31
	v_or_b32_e32 v31, 1, v13
	v_mul_lo_u32 v13, v54, v31
	v_lshrrev_b32_e32 v12, 27, v33
	v_ashrrev_i32_e32 v34, 31, v13
	v_dot4c_i32_i8_e32 v56, v15, v53
	v_or_b32_e32 v33, 1, v12
	v_lshrrev_b32_e32 v34, 29, v34
	v_add_u32_e32 v13, v13, v34
	v_mul_lo_u32 v12, v56, v33
	v_ashrrev_i32_e32 v39, 3, v13
	v_ashrrev_i32_e32 v13, 31, v12
	v_lshrrev_b32_e32 v13, 29, v13
	v_add_u32_e32 v12, v12, v13
	v_ashrrev_i32_e32 v44, 3, v12
	s_waitcnt vmcnt(0)
	v_cvt_f32_f16_e32 v13, v57
	v_cvt_f32_f16_e32 v12, v55
	v_cvt_f32_i32_e32 v45, v44
	v_cvt_f32_i32_e32 v44, v39
	v_pk_mul_f32 v[34:35], v[16:17], v[12:13] op_sel_hi:[0,1]
	v_add_u32_e32 v16, s9, v48
	v_pk_fma_f32 v[8:9], v[34:35], v[44:45], v[8:9]
	v_mad_u64_u32 v[34:35], s[20:21], v16, 36, s[24:25]
	v_mad_u64_u32 v[34:35], s[20:21], v24, 36, v[34:35]
	global_load_dword v39, v[34:35], off offset:32
	global_load_dwordx4 v[44:47], v[34:35], off offset:16
	global_load_dwordx4 v[54:57], v[34:35], off
	v_mov_b32_e32 v34, 0
	v_mov_b32_e32 v35, 0
	s_waitcnt vmcnt(0)
	v_dot4c_i32_i8_e32 v34, v51, v55
	v_dot4c_i32_i8_e32 v34, v52, v56
	v_dot4c_i32_i8_e32 v35, v30, v55
	v_dot4c_i32_i8_e32 v34, v18, v57
	v_dot4c_i32_i8_e32 v35, v17, v56
	v_dot4c_i32_i8_e32 v34, v32, v44
	v_dot4c_i32_i8_e32 v34, v42, v45
	v_dot4c_i32_i8_e32 v35, v38, v57
	v_dot4c_i32_i8_e32 v34, v43, v46
	v_dot4c_i32_i8_e32 v35, v19, v44
	v_dot4c_i32_i8_e32 v34, v40, v47
	v_dot4c_i32_i8_e32 v35, v36, v45
	v_dot4c_i32_i8_e32 v34, v41, v39
	v_dot4c_i32_i8_e32 v35, v37, v46
	v_dot4c_i32_i8_e32 v35, v14, v47
	v_dot4c_i32_i8_e32 v35, v15, v39
	v_mul_lo_u32 v34, v34, v31
	v_ashrrev_i32_e32 v39, 31, v34
	v_lshrrev_b32_e32 v39, 29, v39
	v_mul_lo_u32 v35, v35, v33
	v_add_u32_e32 v34, v34, v39
	v_ashrrev_i32_e32 v39, 3, v34
	v_ashrrev_i32_e32 v34, 31, v35
	v_lshrrev_b32_e32 v34, 29, v34
	v_add_u32_e32 v34, v35, v34
	v_cvt_f32_f16_e32 v16, v54
	v_ashrrev_i32_e32 v44, 3, v34
	v_cvt_f32_i32_e32 v45, v44
	v_cvt_f32_i32_e32 v44, v39
	v_pk_mul_f32 v[34:35], v[16:17], v[12:13] op_sel_hi:[0,1]
	v_add_u32_e32 v16, s27, v48
	v_pk_fma_f32 v[10:11], v[34:35], v[44:45], v[10:11]
	v_mad_u64_u32 v[34:35], s[20:21], v16, 36, s[24:25]
	v_mad_u64_u32 v[34:35], s[20:21], v24, 36, v[34:35]
	global_load_dword v39, v[34:35], off offset:32
	global_load_dwordx4 v[44:47], v[34:35], off offset:16
	global_load_dwordx4 v[54:57], v[34:35], off
	v_mov_b32_e32 v34, 0
	v_mov_b32_e32 v35, 0
	s_waitcnt vmcnt(0)
	v_dot4c_i32_i8_e32 v34, v51, v55
	v_dot4c_i32_i8_e32 v34, v52, v56
	v_dot4c_i32_i8_e32 v35, v30, v55
	v_dot4c_i32_i8_e32 v34, v18, v57
	v_dot4c_i32_i8_e32 v35, v17, v56
	v_dot4c_i32_i8_e32 v34, v32, v44
	v_dot4c_i32_i8_e32 v34, v42, v45
	v_dot4c_i32_i8_e32 v35, v38, v57
	v_dot4c_i32_i8_e32 v34, v43, v46
	v_dot4c_i32_i8_e32 v35, v19, v44
	v_dot4c_i32_i8_e32 v34, v40, v47
	v_dot4c_i32_i8_e32 v35, v36, v45
	v_dot4c_i32_i8_e32 v34, v41, v39
	v_dot4c_i32_i8_e32 v35, v37, v46
	v_dot4c_i32_i8_e32 v35, v14, v47
	v_dot4c_i32_i8_e32 v35, v15, v39
	v_mul_lo_u32 v34, v34, v31
	v_ashrrev_i32_e32 v39, 31, v34
	v_lshrrev_b32_e32 v39, 29, v39
	v_mul_lo_u32 v35, v35, v33
	v_add_u32_e32 v34, v34, v39
	v_ashrrev_i32_e32 v39, 3, v34
	v_ashrrev_i32_e32 v34, 31, v35
	v_lshrrev_b32_e32 v34, 29, v34
	v_add_u32_e32 v34, v35, v34
	v_cvt_f32_f16_e32 v16, v54
	v_ashrrev_i32_e32 v44, 3, v34
	;; [unrolled: 40-line block ×4, first 2 shown]
	v_cvt_f32_i32_e32 v45, v44
	v_cvt_f32_i32_e32 v44, v39
	v_pk_mul_f32 v[34:35], v[16:17], v[12:13] op_sel_hi:[0,1]
	v_add_u32_e32 v16, s15, v48
	v_add_u32_e32 v48, 64, v48
	v_pk_fma_f32 v[0:1], v[34:35], v[44:45], v[0:1]
	v_mad_u64_u32 v[34:35], s[20:21], v16, 36, s[24:25]
	v_mad_u64_u32 v[34:35], s[20:21], v24, 36, v[34:35]
	global_load_dword v39, v[34:35], off offset:32
	global_load_dwordx4 v[44:47], v[34:35], off offset:16
	global_load_dwordx4 v[54:57], v[34:35], off
	v_mov_b32_e32 v34, 0
	v_mov_b32_e32 v35, 0
	s_waitcnt vmcnt(0)
	v_dot4c_i32_i8_e32 v34, v51, v55
	v_dot4c_i32_i8_e32 v34, v52, v56
	;; [unrolled: 1-line block ×16, first 2 shown]
	v_cvt_f32_f16_e32 v16, v54
	v_mul_lo_u32 v15, v34, v31
	v_ashrrev_i32_e32 v17, 31, v15
	v_lshrrev_b32_e32 v17, 29, v17
	v_mul_lo_u32 v14, v35, v33
	v_add_u32_e32 v15, v15, v17
	v_ashrrev_i32_e32 v17, 3, v15
	v_ashrrev_i32_e32 v15, 31, v14
	v_lshrrev_b32_e32 v15, 29, v15
	v_add_u32_e32 v14, v14, v15
	v_ashrrev_i32_e32 v14, 3, v14
	v_cvt_f32_i32_e32 v15, v14
	v_cvt_f32_i32_e32 v14, v17
	v_pk_mul_f32 v[12:13], v[16:17], v[12:13] op_sel_hi:[0,1]
	v_pk_fma_f32 v[2:3], v[12:13], v[14:15], v[2:3]
	s_andn2_b64 exec, exec, s[12:13]
	s_cbranch_execnz .LBB165_2
; %bb.3:
	s_or_b64 exec, exec, s[12:13]
	scratch_store_dwordx4 off, v[8:11], off
	scratch_store_dwordx4 off, v[4:7], off offset:16
	scratch_store_dwordx4 off, v[0:3], off offset:32
.LBB165_4:
	s_or_b64 exec, exec, s[6:7]
	s_mov_b32 s5, 0
	v_cmp_eq_u32_e32 vcc, 0, v21
	s_waitcnt lgkmcnt(0)
	; wave barrier
	s_and_saveexec_b64 s[6:7], vcc
	s_cbranch_execz .LBB165_17
; %bb.5:
	scratch_load_dwordx2 v[2:3], off, off
	v_mbcnt_lo_u32_b32 v0, -1, 0
	v_mbcnt_hi_u32_b32 v12, -1, v0
	s_load_dwordx2 s[6:7], s[0:1], 0x38
	s_mul_i32 s0, s3, s14
	v_or_b32_e32 v1, s2, v20
	v_and_b32_e32 v0, 64, v12
	s_mul_i32 s4, s4, s18
	s_add_i32 s2, s0, s2
	v_cmp_gt_u32_e64 s[0:1], s10, v1
	v_xor_b32_e32 v1, 32, v12
	v_add_u32_e32 v13, 64, v0
	s_add_i32 s4, s2, s4
	v_cmp_lt_i32_e64 s[2:3], v1, v13
	v_cmp_gt_u32_e32 vcc, 2, v20
	s_nop 0
	v_cndmask_b32_e64 v0, v12, v1, s[2:3]
	v_lshlrev_b32_e32 v0, 2, v0
	v_xor_b32_e32 v1, 16, v12
	v_cmp_lt_i32_e64 s[2:3], v1, v13
	s_waitcnt vmcnt(0)
	ds_bpermute_b32 v4, v0, v2
	ds_bpermute_b32 v5, v0, v3
	v_cndmask_b32_e64 v1, v12, v1, s[2:3]
	v_lshlrev_b32_e32 v1, 2, v1
	s_waitcnt lgkmcnt(0)
	v_pk_add_f32 v[4:5], v[2:3], v[4:5]
	ds_bpermute_b32 v6, v1, v4
	ds_bpermute_b32 v7, v1, v5
	v_xor_b32_e32 v2, 8, v12
	v_cmp_lt_i32_e64 s[2:3], v2, v13
	v_xor_b32_e32 v3, 4, v12
	s_waitcnt lgkmcnt(0)
	v_pk_add_f32 v[4:5], v[4:5], v[6:7]
	v_cndmask_b32_e64 v2, v12, v2, s[2:3]
	v_lshlrev_b32_e32 v2, 2, v2
	ds_bpermute_b32 v6, v2, v4
	ds_bpermute_b32 v7, v2, v5
	v_cmp_lt_i32_e64 s[2:3], v3, v13
	s_waitcnt lgkmcnt(0)
	v_pk_add_f32 v[6:7], v[4:5], v[6:7]
	v_cndmask_b32_e64 v3, v12, v3, s[2:3]
	v_lshlrev_b32_e32 v3, 2, v3
	ds_bpermute_b32 v8, v3, v6
	ds_bpermute_b32 v9, v3, v7
	v_xor_b32_e32 v4, 2, v12
	v_cmp_lt_i32_e64 s[2:3], v4, v13
	v_xor_b32_e32 v5, 1, v12
	s_waitcnt lgkmcnt(0)
	v_pk_add_f32 v[8:9], v[6:7], v[8:9]
	v_cndmask_b32_e64 v4, v12, v4, s[2:3]
	v_lshlrev_b32_e32 v4, 2, v4
	ds_bpermute_b32 v10, v4, v8
	ds_bpermute_b32 v11, v4, v9
	v_cmp_lt_i32_e64 s[2:3], v5, v13
	s_waitcnt lgkmcnt(0)
	v_pk_add_f32 v[8:9], v[8:9], v[10:11]
	v_cndmask_b32_e64 v5, v12, v5, s[2:3]
	v_lshlrev_b32_e32 v6, 2, v5
	ds_bpermute_b32 v10, v6, v8
	ds_bpermute_b32 v11, v6, v9
	s_lshl_b64 s[2:3], s[4:5], 2
	s_add_u32 s2, s6, s2
	s_addc_u32 s3, s7, s3
	s_and_b64 s[0:1], vcc, s[0:1]
	s_waitcnt lgkmcnt(0)
	v_pk_add_f32 v[8:9], v[8:9], v[10:11]
	v_lshlrev_b32_e32 v5, 2, v20
	scratch_store_dwordx2 off, v[8:9], off
	s_and_saveexec_b64 s[4:5], s[0:1]
	s_cbranch_execz .LBB165_7
; %bb.6:
	scratch_load_dword v7, v5, off
	s_waitcnt vmcnt(0)
	global_store_dword v5, v7, s[2:3]
.LBB165_7:
	s_or_b64 exec, exec, s[4:5]
	scratch_load_dwordx2 v[8:9], off, off offset:8
	s_waitcnt vmcnt(0)
	ds_bpermute_b32 v10, v0, v8
	ds_bpermute_b32 v11, v0, v9
	s_waitcnt lgkmcnt(0)
	v_pk_add_f32 v[8:9], v[8:9], v[10:11]
	ds_bpermute_b32 v10, v1, v8
	ds_bpermute_b32 v11, v1, v9
	s_waitcnt lgkmcnt(0)
	v_pk_add_f32 v[8:9], v[8:9], v[10:11]
	;; [unrolled: 4-line block ×6, first 2 shown]
	scratch_store_dwordx2 off, v[8:9], off offset:8
	s_and_saveexec_b64 s[4:5], s[0:1]
	s_cbranch_execz .LBB165_9
; %bb.8:
	scratch_load_dword v7, v5, off offset:8
	v_add_u32_e32 v8, s10, v20
	v_mov_b32_e32 v9, 0
	v_lshl_add_u64 v[8:9], v[8:9], 2, s[2:3]
	s_waitcnt vmcnt(0)
	global_store_dword v[8:9], v7, off
.LBB165_9:
	s_or_b64 exec, exec, s[4:5]
	scratch_load_dwordx2 v[8:9], off, off offset:16
	s_waitcnt vmcnt(0)
	ds_bpermute_b32 v10, v0, v8
	ds_bpermute_b32 v11, v0, v9
	s_waitcnt lgkmcnt(0)
	v_pk_add_f32 v[8:9], v[8:9], v[10:11]
	ds_bpermute_b32 v10, v1, v8
	ds_bpermute_b32 v11, v1, v9
	s_waitcnt lgkmcnt(0)
	v_pk_add_f32 v[8:9], v[8:9], v[10:11]
	;; [unrolled: 4-line block ×6, first 2 shown]
	scratch_store_dwordx2 off, v[8:9], off offset:16
	s_and_saveexec_b64 s[4:5], s[0:1]
	s_cbranch_execz .LBB165_11
; %bb.10:
	scratch_load_dword v7, v5, off offset:16
	v_lshl_or_b32 v8, s10, 1, v20
	v_mov_b32_e32 v9, 0
	v_lshl_add_u64 v[8:9], v[8:9], 2, s[2:3]
	s_waitcnt vmcnt(0)
	global_store_dword v[8:9], v7, off
.LBB165_11:
	s_or_b64 exec, exec, s[4:5]
	scratch_load_dwordx2 v[8:9], off, off offset:24
	s_waitcnt vmcnt(0)
	ds_bpermute_b32 v10, v0, v8
	ds_bpermute_b32 v11, v0, v9
	s_waitcnt lgkmcnt(0)
	v_pk_add_f32 v[8:9], v[8:9], v[10:11]
	ds_bpermute_b32 v10, v1, v8
	ds_bpermute_b32 v11, v1, v9
	s_waitcnt lgkmcnt(0)
	v_pk_add_f32 v[8:9], v[8:9], v[10:11]
	;; [unrolled: 4-line block ×6, first 2 shown]
	scratch_store_dwordx2 off, v[8:9], off offset:24
	s_and_saveexec_b64 s[4:5], s[0:1]
	s_cbranch_execz .LBB165_13
; %bb.12:
	scratch_load_dword v7, v5, off offset:24
	v_mad_u64_u32 v[8:9], s[6:7], s10, 3, v[20:21]
	v_mov_b32_e32 v9, 0
	v_lshl_add_u64 v[8:9], v[8:9], 2, s[2:3]
	s_waitcnt vmcnt(0)
	global_store_dword v[8:9], v7, off
.LBB165_13:
	s_or_b64 exec, exec, s[4:5]
	scratch_load_dwordx2 v[8:9], off, off offset:32
	s_waitcnt vmcnt(0)
	ds_bpermute_b32 v10, v0, v8
	ds_bpermute_b32 v11, v0, v9
	s_waitcnt lgkmcnt(0)
	v_pk_add_f32 v[8:9], v[8:9], v[10:11]
	ds_bpermute_b32 v10, v1, v8
	ds_bpermute_b32 v11, v1, v9
	s_waitcnt lgkmcnt(0)
	v_pk_add_f32 v[8:9], v[8:9], v[10:11]
	;; [unrolled: 4-line block ×6, first 2 shown]
	scratch_store_dwordx2 off, v[8:9], off offset:32
	s_and_saveexec_b64 s[4:5], s[0:1]
	s_cbranch_execz .LBB165_15
; %bb.14:
	scratch_load_dword v7, v5, off offset:32
	v_lshl_or_b32 v8, s10, 2, v20
	v_mov_b32_e32 v9, 0
	v_lshl_add_u64 v[8:9], v[8:9], 2, s[2:3]
	s_waitcnt vmcnt(0)
	global_store_dword v[8:9], v7, off
.LBB165_15:
	s_or_b64 exec, exec, s[4:5]
	scratch_load_dwordx2 v[8:9], off, off offset:40
	s_waitcnt vmcnt(0)
	ds_bpermute_b32 v10, v0, v8
	ds_bpermute_b32 v11, v0, v9
	s_waitcnt lgkmcnt(0)
	v_pk_add_f32 v[8:9], v[8:9], v[10:11]
	ds_bpermute_b32 v0, v1, v8
	ds_bpermute_b32 v1, v1, v9
	s_waitcnt lgkmcnt(0)
	v_pk_add_f32 v[0:1], v[8:9], v[0:1]
	;; [unrolled: 4-line block ×6, first 2 shown]
	scratch_store_dwordx2 off, v[0:1], off offset:40
	s_and_b64 exec, exec, s[0:1]
	s_cbranch_execz .LBB165_17
; %bb.16:
	scratch_load_dword v2, v5, off offset:40
	v_mad_u64_u32 v[0:1], s[0:1], s10, 5, v[20:21]
	v_mov_b32_e32 v1, 0
	v_lshl_add_u64 v[0:1], v[0:1], 2, s[2:3]
	s_waitcnt vmcnt(0)
	global_store_dword v[0:1], v2, off
.LBB165_17:
	s_endpgm
	.section	.rodata,"a",@progbits
	.p2align	6, 0x0
	.amdhsa_kernel _ZL13mul_mat_vec_qIL9ggml_type16ELi6ELb0ELb0EEvPKvS2_PKi31ggml_cuda_mm_fusion_args_devicePfj15HIP_vector_typeIjLj3EEjjjS8_jjjS8_jjjj
		.amdhsa_group_segment_fixed_size 0
		.amdhsa_private_segment_fixed_size 64
		.amdhsa_kernarg_size 144
		.amdhsa_user_sgpr_count 2
		.amdhsa_user_sgpr_dispatch_ptr 0
		.amdhsa_user_sgpr_queue_ptr 0
		.amdhsa_user_sgpr_kernarg_segment_ptr 1
		.amdhsa_user_sgpr_dispatch_id 0
		.amdhsa_user_sgpr_kernarg_preload_length 0
		.amdhsa_user_sgpr_kernarg_preload_offset 0
		.amdhsa_user_sgpr_private_segment_size 0
		.amdhsa_uses_dynamic_stack 0
		.amdhsa_enable_private_segment 1
		.amdhsa_system_sgpr_workgroup_id_x 1
		.amdhsa_system_sgpr_workgroup_id_y 1
		.amdhsa_system_sgpr_workgroup_id_z 1
		.amdhsa_system_sgpr_workgroup_info 0
		.amdhsa_system_vgpr_workitem_id 1
		.amdhsa_next_free_vgpr 65
		.amdhsa_next_free_sgpr 32
		.amdhsa_accum_offset 68
		.amdhsa_reserve_vcc 1
		.amdhsa_float_round_mode_32 0
		.amdhsa_float_round_mode_16_64 0
		.amdhsa_float_denorm_mode_32 3
		.amdhsa_float_denorm_mode_16_64 3
		.amdhsa_dx10_clamp 1
		.amdhsa_ieee_mode 1
		.amdhsa_fp16_overflow 0
		.amdhsa_tg_split 0
		.amdhsa_exception_fp_ieee_invalid_op 0
		.amdhsa_exception_fp_denorm_src 0
		.amdhsa_exception_fp_ieee_div_zero 0
		.amdhsa_exception_fp_ieee_overflow 0
		.amdhsa_exception_fp_ieee_underflow 0
		.amdhsa_exception_fp_ieee_inexact 0
		.amdhsa_exception_int_div_zero 0
	.end_amdhsa_kernel
	.section	.text._ZL13mul_mat_vec_qIL9ggml_type16ELi6ELb0ELb0EEvPKvS2_PKi31ggml_cuda_mm_fusion_args_devicePfj15HIP_vector_typeIjLj3EEjjjS8_jjjS8_jjjj,"axG",@progbits,_ZL13mul_mat_vec_qIL9ggml_type16ELi6ELb0ELb0EEvPKvS2_PKi31ggml_cuda_mm_fusion_args_devicePfj15HIP_vector_typeIjLj3EEjjjS8_jjjS8_jjjj,comdat
.Lfunc_end165:
	.size	_ZL13mul_mat_vec_qIL9ggml_type16ELi6ELb0ELb0EEvPKvS2_PKi31ggml_cuda_mm_fusion_args_devicePfj15HIP_vector_typeIjLj3EEjjjS8_jjjS8_jjjj, .Lfunc_end165-_ZL13mul_mat_vec_qIL9ggml_type16ELi6ELb0ELb0EEvPKvS2_PKi31ggml_cuda_mm_fusion_args_devicePfj15HIP_vector_typeIjLj3EEjjjS8_jjjS8_jjjj
                                        ; -- End function
	.section	.AMDGPU.csdata,"",@progbits
; Kernel info:
; codeLenInByte = 7136
; NumSgprs: 38
; NumVgprs: 65
; NumAgprs: 0
; TotalNumVgprs: 65
; ScratchSize: 64
; MemoryBound: 0
; FloatMode: 240
; IeeeMode: 1
; LDSByteSize: 0 bytes/workgroup (compile time only)
; SGPRBlocks: 4
; VGPRBlocks: 8
; NumSGPRsForWavesPerEU: 38
; NumVGPRsForWavesPerEU: 65
; AccumOffset: 68
; Occupancy: 7
; WaveLimiterHint : 0
; COMPUTE_PGM_RSRC2:SCRATCH_EN: 1
; COMPUTE_PGM_RSRC2:USER_SGPR: 2
; COMPUTE_PGM_RSRC2:TRAP_HANDLER: 0
; COMPUTE_PGM_RSRC2:TGID_X_EN: 1
; COMPUTE_PGM_RSRC2:TGID_Y_EN: 1
; COMPUTE_PGM_RSRC2:TGID_Z_EN: 1
; COMPUTE_PGM_RSRC2:TIDIG_COMP_CNT: 1
; COMPUTE_PGM_RSRC3_GFX90A:ACCUM_OFFSET: 16
; COMPUTE_PGM_RSRC3_GFX90A:TG_SPLIT: 0
	.section	.text._ZL13mul_mat_vec_qIL9ggml_type16ELi7ELb0ELb0EEvPKvS2_PKi31ggml_cuda_mm_fusion_args_devicePfj15HIP_vector_typeIjLj3EEjjjS8_jjjS8_jjjj,"axG",@progbits,_ZL13mul_mat_vec_qIL9ggml_type16ELi7ELb0ELb0EEvPKvS2_PKi31ggml_cuda_mm_fusion_args_devicePfj15HIP_vector_typeIjLj3EEjjjS8_jjjS8_jjjj,comdat
	.globl	_ZL13mul_mat_vec_qIL9ggml_type16ELi7ELb0ELb0EEvPKvS2_PKi31ggml_cuda_mm_fusion_args_devicePfj15HIP_vector_typeIjLj3EEjjjS8_jjjS8_jjjj ; -- Begin function _ZL13mul_mat_vec_qIL9ggml_type16ELi7ELb0ELb0EEvPKvS2_PKi31ggml_cuda_mm_fusion_args_devicePfj15HIP_vector_typeIjLj3EEjjjS8_jjjS8_jjjj
	.p2align	8
	.type	_ZL13mul_mat_vec_qIL9ggml_type16ELi7ELb0ELb0EEvPKvS2_PKi31ggml_cuda_mm_fusion_args_devicePfj15HIP_vector_typeIjLj3EEjjjS8_jjjS8_jjjj,@function
_ZL13mul_mat_vec_qIL9ggml_type16ELi7ELb0ELb0EEvPKvS2_PKi31ggml_cuda_mm_fusion_args_devicePfj15HIP_vector_typeIjLj3EEjjjS8_jjjS8_jjjj: ; @_ZL13mul_mat_vec_qIL9ggml_type16ELi7ELb0ELb0EEvPKvS2_PKi31ggml_cuda_mm_fusion_args_devicePfj15HIP_vector_typeIjLj3EEjjjS8_jjjS8_jjjj
; %bb.0:
	v_bfe_u32 v13, v0, 10, 10
	v_and_b32_e32 v12, 0x3ff, v0
	s_mov_b32 s20, 0
	s_load_dword s5, s[0:1], 0x40
	s_load_dwordx4 s[8:11], s[0:1], 0x50
	s_load_dword s27, s[0:1], 0x60
	s_load_dwordx4 s[12:15], s[0:1], 0x68
	;; [unrolled: 2-line block ×3, first 2 shown]
	v_lshl_or_b32 v4, v13, 6, v12
	s_mov_b32 s21, s20
	s_waitcnt lgkmcnt(0)
	s_lshr_b32 s5, s5, 8
	v_mov_b32_e32 v15, 0
	s_mov_b32 s22, s20
	s_mov_b32 s23, s20
	v_mov_b64_e32 v[0:1], s[20:21]
	v_lshrrev_b32_e32 v17, 3, v4
	s_lshl_b32 s2, s2, 1
	v_mov_b32_e32 v14, v15
	v_mov_b64_e32 v[2:3], s[22:23]
	v_cmp_gt_u32_e32 vcc, s5, v17
	scratch_store_dwordx2 off, v[14:15], off offset:48
	scratch_store_dwordx4 off, v[0:3], off offset:32
	scratch_store_dwordx4 off, v[0:3], off offset:16
	scratch_store_dwordx4 off, v[0:3], off
	s_and_saveexec_b64 s[6:7], vcc
	s_cbranch_execz .LBB166_3
; %bb.1:
	s_load_dwordx4 s[20:23], s[0:1], 0x0
	s_mul_i32 s17, s4, s17
	s_mul_i32 s24, s17, 36
	;; [unrolled: 1-line block ×3, first 2 shown]
	s_mul_hi_u32 s19, s17, 36
	s_waitcnt lgkmcnt(0)
	s_add_u32 s24, s22, s24
	s_addc_u32 s19, s23, s19
	s_mul_i32 s28, s13, 36
	s_mul_hi_u32 s29, s13, 36
	s_add_u32 s24, s24, s28
	s_mul_hi_u32 s11, s11, s3
	s_addc_u32 s25, s19, s29
	s_add_i32 s11, s3, s11
	s_lshr_b32 s11, s11, s27
	s_mul_i32 s11, s11, s12
	s_mul_hi_u32 s12, s15, s4
	s_add_i32 s12, s4, s12
	s_lshr_b32 s12, s12, s26
	s_mul_i32 s12, s12, s16
	s_mul_i32 s13, s2, s8
	s_add_i32 s12, s12, s11
	s_add_i32 s11, s12, s13
	;; [unrolled: 1-line block ×3, first 2 shown]
	s_mul_i32 s8, s8, s13
	v_lshl_add_u32 v1, v13, 6, v12
	s_add_i32 s8, s12, s8
	v_lshrrev_b32_e32 v1, 3, v1
	s_movk_i32 s12, 0x120
	v_mov_b64_e32 v[2:3], s[28:29]
	v_mad_u64_u32 v[2:3], s[12:13], v1, s12, v[2:3]
	v_lshlrev_b32_e32 v0, 1, v12
	v_and_b32_e32 v16, 7, v12
	v_mad_u64_u32 v[2:3], s[12:13], s17, 36, v[2:3]
	v_and_b32_e32 v0, 14, v0
	v_mad_u64_u32 v[2:3], s[12:13], v16, 36, v[2:3]
	v_lshlrev_b32_e32 v0, 1, v0
	v_lshl_add_u64 v[2:3], v[2:3], 0, s[22:23]
	v_lshlrev_b32_e32 v44, 3, v17
	s_mul_i32 s15, s9, 6
	s_mul_i32 s19, s9, 5
	s_lshl_b32 s26, s9, 2
	s_mul_i32 s27, s9, 3
	v_lshl_add_u64 v[18:19], v[2:3], 0, 16
	s_lshl_b32 s22, s9, 1
	s_mov_b64 s[12:13], 0
	s_movk_i32 s23, 0x42
	v_mov_b64_e32 v[20:21], s[20:21]
	v_lshlrev_b32_e32 v14, 1, v0
	s_mov_b32 s28, 0xffff
	s_mov_b32 s29, 0x1010101
	s_movk_i32 s30, 0xff00
	s_mov_b64 s[16:17], 0x900
	v_mov_b32_e32 v45, 8
	v_mov_b32_e32 v46, 3
.LBB166_2:                              ; =>This Inner Loop Header: Depth=1
	v_add_u32_e32 v8, s11, v17
	v_mad_i64_i32 v[22:23], s[20:21], v8, s23, v[20:21]
	v_lshl_add_u64 v[28:29], v[22:23], 0, v[14:15]
	global_load_dword v42, v[18:19], off offset:16
	global_load_dwordx4 v[0:3], v[18:19], off
	global_load_dwordx4 v[4:7], v[18:19], off offset:-16
	global_load_ushort v8, v[28:29], off offset:2
	global_load_dword v50, v[28:29], off offset:2
	global_load_dword v49, v[28:29], off offset:4
	s_getpc_b64 s[20:21]
	s_add_u32 s20, s20, _ZL11iq2xxs_grid@rel32@lo+4
	s_addc_u32 s21, s21, _ZL11iq2xxs_grid@rel32@hi+12
	v_mov_b32_e32 v43, 0
	global_load_dword v48, v[28:29], off offset:6
	v_lshl_add_u64 v[18:19], v[18:19], 0, s[16:17]
	s_waitcnt vmcnt(3)
	v_and_b32_sdwa v9, s28, v8 dst_sel:DWORD dst_unused:UNUSED_PAD src0_sel:DWORD src1_sel:BYTE_0
	v_lshlrev_b32_e32 v9, 3, v9
	global_load_dwordx2 v[34:35], v9, s[20:21]
	s_waitcnt vmcnt(2)
	v_bfe_u32 v9, v49, 16, 8
	v_bcnt_u32_b32 v10, v9, 0
	v_and_b32_e32 v10, 1, v10
	v_lshlrev_b32_e32 v10, 7, v10
	v_xor_b32_e32 v9, v10, v9
	v_mul_lo_u32 v9, v9, s29
	v_and_b32_e32 v10, 0x8000000, v9
	v_lshrrev_b32_e32 v24, 8, v9
	v_lshrrev_b32_e32 v54, 16, v49
	v_lshrrev_b16_e32 v25, 1, v24
	v_cmp_ne_u16_sdwa s[34:35], v10, v15 src0_sel:BYTE_3 src1_sel:DWORD
	v_and_b32_e32 v11, 1, v54
	v_bfe_i32 v25, v25, 0, 1
	v_lshrrev_b32_e32 v26, 18, v9
	v_cndmask_b32_e64 v10, 0, -1, s[34:35]
	v_sub_u16_e32 v11, 0, v11
	v_bfe_i32 v26, v26, 0, 1
	v_lshlrev_b16_e32 v10, 8, v10
	v_lshlrev_b16_e32 v25, 8, v25
	v_or_b32_sdwa v27, v26, v10 dst_sel:WORD_1 dst_unused:UNUSED_PAD src0_sel:BYTE_0 src1_sel:DWORD
	v_or_b32_sdwa v30, v11, v25 dst_sel:DWORD dst_unused:UNUSED_PAD src0_sel:BYTE_0 src1_sel:DWORD
	v_or_b32_sdwa v27, v30, v27 dst_sel:DWORD dst_unused:UNUSED_PAD src0_sel:WORD_0 src1_sel:DWORD
	v_lshlrev_b16_e32 v11, 8, v11
	v_lshlrev_b16_e32 v26, 8, v26
	v_lshrrev_b16_e32 v24, 5, v24
	v_bfe_i32 v24, v24, 0, 1
	v_lshlrev_b16_e32 v24, 8, v24
	v_lshlrev_b32_sdwa v8, v46, v8 dst_sel:DWORD dst_unused:UNUSED_PAD src0_sel:DWORD src1_sel:BYTE_1
	v_bfe_u32 v63, v49, 23, 8
	v_bcnt_u32_b32 v64, v63, 0
	v_and_b32_e32 v64, 1, v64
	v_lshlrev_b32_e32 v64, 7, v64
	v_xor_b32_e32 v63, v64, v63
	v_mul_lo_u32 v63, v63, s29
	v_and_b32_e32 v64, 0x8000000, v63
	v_lshrrev_b32_e32 v65, 8, v63
	v_lshrrev_b16_e32 v66, 1, v65
	v_bfe_i32 v66, v66, 0, 1
	v_lshrrev_b32_e32 v67, 18, v63
	v_bfe_i32 v55, v54, 7, 1
	v_bfe_i32 v67, v67, 0, 1
	v_lshlrev_b16_e32 v66, 8, v66
	v_or_b32_sdwa v69, v55, v66 dst_sel:DWORD dst_unused:UNUSED_PAD src0_sel:BYTE_0 src1_sel:DWORD
	v_lshlrev_b16_e32 v55, 8, v55
	s_waitcnt vmcnt(1)
	v_and_b32_e32 v62, 0xffff0000, v48
	v_bfe_i32 v56, v54, 14, 1
	v_or_b32_e32 v62, v62, v54
	v_lshrrev_b32_e32 v61, 16, v48
	v_cvt_f32_f16_e32 v4, v4
	s_waitcnt vmcnt(0)
	v_xor_b32_e32 v27, v34, v27
	v_and_b32_e32 v30, 0xffffff00, v27
	v_sub_i16 v25, v30, v25 clamp
	v_lshlrev_b16_e32 v30, 8, v27
	v_and_b32_e32 v25, 0xffffff00, v25
	v_sub_i16 v11, v30, v11 clamp
	v_or_b32_sdwa v11, v11, v25 dst_sel:DWORD dst_unused:UNUSED_PAD src0_sel:BYTE_1 src1_sel:DWORD
	v_and_b32_sdwa v25, v27, s30 dst_sel:DWORD dst_unused:UNUSED_PAD src0_sel:WORD_1 src1_sel:DWORD
	v_sub_i16 v10, v25, v10 clamp
	v_lshlrev_b16_sdwa v25, v45, v27 dst_sel:DWORD dst_unused:UNUSED_PAD src0_sel:DWORD src1_sel:WORD_1
	v_and_b32_e32 v10, 0xffffff00, v10
	v_sub_i16 v25, v25, v26 clamp
	v_or_b32_sdwa v10, v25, v10 dst_sel:WORD_1 dst_unused:UNUSED_PAD src0_sel:BYTE_1 src1_sel:DWORD
	global_load_dwordx2 v[30:31], v8, s[20:21]
	v_or_b32_sdwa v10, v11, v10 dst_sel:DWORD dst_unused:UNUSED_PAD src0_sel:WORD_0 src1_sel:DWORD
	v_dot4c_i32_i8_e32 v43, v10, v5
	v_and_b32_e32 v10, 0x80000000, v9
	v_cmp_ne_u16_sdwa s[34:35], v10, v15 src0_sel:BYTE_3 src1_sel:DWORD
	v_lshrrev_b32_e32 v9, 22, v9
	v_bfe_i32 v11, v54, 4, 1
	v_cndmask_b32_e64 v10, 0, -1, s[34:35]
	v_bfe_i32 v9, v9, 0, 1
	v_lshlrev_b16_e32 v10, 8, v10
	v_or_b32_sdwa v25, v9, v10 dst_sel:WORD_1 dst_unused:UNUSED_PAD src0_sel:BYTE_0 src1_sel:DWORD
	v_or_b32_sdwa v26, v11, v24 dst_sel:DWORD dst_unused:UNUSED_PAD src0_sel:BYTE_0 src1_sel:DWORD
	v_or_b32_sdwa v25, v26, v25 dst_sel:DWORD dst_unused:UNUSED_PAD src0_sel:WORD_0 src1_sel:DWORD
	v_xor_b32_e32 v25, v35, v25
	v_and_b32_e32 v26, 0xffffff00, v25
	v_sub_i16 v24, v26, v24 clamp
	v_lshlrev_b16_e32 v26, 8, v25
	v_lshlrev_b16_e32 v11, 8, v11
	v_and_b32_e32 v24, 0xffffff00, v24
	v_sub_i16 v11, v26, v11 clamp
	v_or_b32_sdwa v11, v11, v24 dst_sel:DWORD dst_unused:UNUSED_PAD src0_sel:BYTE_1 src1_sel:DWORD
	v_and_b32_sdwa v24, v25, s30 dst_sel:DWORD dst_unused:UNUSED_PAD src0_sel:WORD_1 src1_sel:DWORD
	v_sub_i16 v10, v24, v10 clamp
	v_lshlrev_b16_sdwa v24, v45, v25 dst_sel:DWORD dst_unused:UNUSED_PAD src0_sel:DWORD src1_sel:WORD_1
	v_lshlrev_b16_e32 v9, 8, v9
	v_and_b32_e32 v10, 0xffffff00, v10
	v_sub_i16 v9, v24, v9 clamp
	v_or_b32_sdwa v9, v9, v10 dst_sel:WORD_1 dst_unused:UNUSED_PAD src0_sel:BYTE_1 src1_sel:DWORD
	v_lshlrev_b32_sdwa v8, v46, v50 dst_sel:DWORD dst_unused:UNUSED_PAD src0_sel:DWORD src1_sel:BYTE_2
	v_or_b32_sdwa v9, v11, v9 dst_sel:DWORD dst_unused:UNUSED_PAD src0_sel:WORD_0 src1_sel:DWORD
	v_lshlrev_b32_sdwa v24, v46, v50 dst_sel:DWORD dst_unused:UNUSED_PAD src0_sel:DWORD src1_sel:BYTE_3
	v_dot4c_i32_i8_e32 v43, v9, v6
	global_load_dwordx2 v[10:11], v8, s[20:21]
	s_nop 0
	global_load_dwordx2 v[8:9], v24, s[20:21]
	global_load_ushort v53, v[22:23], off
	v_add_u32_e32 v24, s8, v17
	v_mad_i64_i32 v[24:25], s[34:35], v24, s23, v[20:21]
	v_lshl_add_u64 v[26:27], v[24:25], 0, v[14:15]
	global_load_ushort v32, v[26:27], off offset:2
	global_load_dword v52, v[26:27], off offset:2
	global_load_dword v51, v[26:27], off offset:4
	v_bfe_i32 v54, v54, 11, 1
	global_load_dword v47, v[26:27], off offset:6
	v_add_u32_e32 v17, 8, v17
	v_cmp_le_u32_e32 vcc, s5, v17
	s_or_b64 s[12:13], vcc, s[12:13]
	s_waitcnt vmcnt(3)
	v_and_b32_sdwa v33, s28, v32 dst_sel:DWORD dst_unused:UNUSED_PAD src0_sel:DWORD src1_sel:BYTE_0
	v_lshlrev_b32_e32 v33, 3, v33
	global_load_dwordx2 v[36:37], v33, s[20:21]
	s_waitcnt vmcnt(2)
	v_bfe_u32 v33, v51, 16, 8
	v_bcnt_u32_b32 v38, v33, 0
	v_and_b32_e32 v38, 1, v38
	v_lshlrev_b32_e32 v38, 7, v38
	v_xor_b32_e32 v33, v38, v33
	v_mul_lo_u32 v33, v33, s29
	v_and_b32_e32 v38, 0x8000000, v33
	v_lshrrev_b32_e32 v40, 8, v33
	v_lshrrev_b32_e32 v57, 16, v51
	v_lshrrev_b16_e32 v41, 1, v40
	v_cmp_ne_u16_sdwa s[34:35], v38, v15 src0_sel:BYTE_3 src1_sel:DWORD
	v_and_b32_e32 v39, 1, v57
	v_bfe_i32 v41, v41, 0, 1
	v_lshrrev_b32_e32 v58, 18, v33
	v_cndmask_b32_e64 v38, 0, -1, s[34:35]
	v_sub_u16_e32 v39, 0, v39
	v_bfe_i32 v58, v58, 0, 1
	v_lshlrev_b16_e32 v38, 8, v38
	v_lshlrev_b16_e32 v41, 8, v41
	v_or_b32_sdwa v59, v58, v38 dst_sel:WORD_1 dst_unused:UNUSED_PAD src0_sel:BYTE_0 src1_sel:DWORD
	v_or_b32_sdwa v60, v39, v41 dst_sel:DWORD dst_unused:UNUSED_PAD src0_sel:BYTE_0 src1_sel:DWORD
	v_or_b32_sdwa v59, v60, v59 dst_sel:DWORD dst_unused:UNUSED_PAD src0_sel:WORD_0 src1_sel:DWORD
	v_lshlrev_b16_e32 v39, 8, v39
	v_lshlrev_b16_e32 v58, 8, v58
	s_waitcnt vmcnt(0)
	v_xor_b32_e32 v59, v36, v59
	v_and_b32_e32 v60, 0xffffff00, v59
	v_sub_i16 v41, v60, v41 clamp
	v_lshlrev_b16_e32 v60, 8, v59
	v_and_b32_e32 v41, 0xffffff00, v41
	v_sub_i16 v39, v60, v39 clamp
	v_or_b32_sdwa v39, v39, v41 dst_sel:DWORD dst_unused:UNUSED_PAD src0_sel:BYTE_1 src1_sel:DWORD
	v_and_b32_sdwa v41, v59, s30 dst_sel:DWORD dst_unused:UNUSED_PAD src0_sel:WORD_1 src1_sel:DWORD
	v_sub_i16 v38, v41, v38 clamp
	v_lshlrev_b16_sdwa v41, v45, v59 dst_sel:DWORD dst_unused:UNUSED_PAD src0_sel:DWORD src1_sel:WORD_1
	v_and_b32_e32 v38, 0xffffff00, v38
	v_sub_i16 v41, v41, v58 clamp
	v_or_b32_sdwa v38, v41, v38 dst_sel:WORD_1 dst_unused:UNUSED_PAD src0_sel:BYTE_1 src1_sel:DWORD
	v_mov_b32_e32 v58, 0
	v_or_b32_sdwa v38, v39, v38 dst_sel:DWORD dst_unused:UNUSED_PAD src0_sel:WORD_0 src1_sel:DWORD
	v_dot4c_i32_i8_e32 v58, v38, v5
	v_and_b32_e32 v5, 0x80000000, v33
	v_cmp_ne_u16_sdwa s[34:35], v5, v15 src0_sel:BYTE_3 src1_sel:DWORD
	v_lshrrev_b16_e32 v39, 5, v40
	v_bfe_i32 v39, v39, 0, 1
	v_cndmask_b32_e64 v5, 0, -1, s[34:35]
	v_cmp_ne_u16_sdwa s[34:35], v64, v15 src0_sel:BYTE_3 src1_sel:DWORD
	v_lshrrev_b32_e32 v33, 22, v33
	v_bfe_i32 v38, v57, 4, 1
	v_cndmask_b32_e64 v64, 0, -1, s[34:35]
	v_lshlrev_b16_e32 v64, 8, v64
	v_or_b32_sdwa v68, v67, v64 dst_sel:WORD_1 dst_unused:UNUSED_PAD src0_sel:BYTE_0 src1_sel:DWORD
	v_lshlrev_b16_e32 v67, 8, v67
	v_or_b32_sdwa v68, v69, v68 dst_sel:DWORD dst_unused:UNUSED_PAD src0_sel:WORD_0 src1_sel:DWORD
	v_xor_b32_e32 v68, v30, v68
	v_and_b32_e32 v69, 0xffffff00, v68
	v_sub_i16 v66, v69, v66 clamp
	v_lshlrev_b16_e32 v69, 8, v68
	v_and_b32_e32 v66, 0xffffff00, v66
	v_sub_i16 v55, v69, v55 clamp
	v_or_b32_sdwa v55, v55, v66 dst_sel:DWORD dst_unused:UNUSED_PAD src0_sel:BYTE_1 src1_sel:DWORD
	v_and_b32_sdwa v66, v68, s30 dst_sel:DWORD dst_unused:UNUSED_PAD src0_sel:WORD_1 src1_sel:DWORD
	v_sub_i16 v64, v66, v64 clamp
	v_lshlrev_b16_sdwa v66, v45, v68 dst_sel:DWORD dst_unused:UNUSED_PAD src0_sel:DWORD src1_sel:WORD_1
	v_and_b32_e32 v64, 0xffffff00, v64
	v_sub_i16 v66, v66, v67 clamp
	v_or_b32_sdwa v64, v66, v64 dst_sel:WORD_1 dst_unused:UNUSED_PAD src0_sel:BYTE_1 src1_sel:DWORD
	v_bfe_i32 v33, v33, 0, 1
	v_or_b32_sdwa v55, v55, v64 dst_sel:DWORD dst_unused:UNUSED_PAD src0_sel:WORD_0 src1_sel:DWORD
	v_dot4c_i32_i8_e32 v43, v55, v7
	v_and_b32_e32 v55, 0x80000000, v63
	v_lshrrev_b16_e32 v64, 5, v65
	v_cmp_ne_u16_sdwa s[34:35], v55, v15 src0_sel:BYTE_3 src1_sel:DWORD
	v_bfe_i32 v64, v64, 0, 1
	v_lshrrev_b32_e32 v63, 22, v63
	v_cndmask_b32_e64 v55, 0, -1, s[34:35]
	v_bfe_i32 v63, v63, 0, 1
	v_lshlrev_b16_e32 v55, 8, v55
	v_lshlrev_b16_e32 v64, 8, v64
	;; [unrolled: 1-line block ×4, first 2 shown]
	v_or_b32_sdwa v65, v63, v55 dst_sel:WORD_1 dst_unused:UNUSED_PAD src0_sel:BYTE_0 src1_sel:DWORD
	v_or_b32_sdwa v66, v54, v64 dst_sel:DWORD dst_unused:UNUSED_PAD src0_sel:BYTE_0 src1_sel:DWORD
	v_or_b32_sdwa v40, v33, v5 dst_sel:WORD_1 dst_unused:UNUSED_PAD src0_sel:BYTE_0 src1_sel:DWORD
	v_or_b32_sdwa v41, v38, v39 dst_sel:DWORD dst_unused:UNUSED_PAD src0_sel:BYTE_0 src1_sel:DWORD
	v_or_b32_sdwa v65, v66, v65 dst_sel:DWORD dst_unused:UNUSED_PAD src0_sel:WORD_0 src1_sel:DWORD
	v_or_b32_sdwa v40, v41, v40 dst_sel:DWORD dst_unused:UNUSED_PAD src0_sel:WORD_0 src1_sel:DWORD
	v_xor_b32_e32 v65, v31, v65
	v_xor_b32_e32 v40, v37, v40
	v_and_b32_e32 v66, 0xffffff00, v65
	v_and_b32_e32 v41, 0xffffff00, v40
	v_sub_i16 v64, v66, v64 clamp
	v_lshlrev_b16_e32 v66, 8, v65
	v_lshlrev_b16_e32 v54, 8, v54
	v_sub_i16 v39, v41, v39 clamp
	v_lshlrev_b16_e32 v41, 8, v40
	v_lshlrev_b16_e32 v38, 8, v38
	v_and_b32_e32 v64, 0xffffff00, v64
	v_sub_i16 v54, v66, v54 clamp
	v_and_b32_e32 v39, 0xffffff00, v39
	v_sub_i16 v38, v41, v38 clamp
	v_or_b32_sdwa v54, v54, v64 dst_sel:DWORD dst_unused:UNUSED_PAD src0_sel:BYTE_1 src1_sel:DWORD
	v_and_b32_sdwa v64, v65, s30 dst_sel:DWORD dst_unused:UNUSED_PAD src0_sel:WORD_1 src1_sel:DWORD
	v_or_b32_sdwa v38, v38, v39 dst_sel:DWORD dst_unused:UNUSED_PAD src0_sel:BYTE_1 src1_sel:DWORD
	v_and_b32_sdwa v39, v40, s30 dst_sel:DWORD dst_unused:UNUSED_PAD src0_sel:WORD_1 src1_sel:DWORD
	v_sub_i16 v55, v64, v55 clamp
	v_lshlrev_b16_sdwa v64, v45, v65 dst_sel:DWORD dst_unused:UNUSED_PAD src0_sel:DWORD src1_sel:WORD_1
	v_lshlrev_b16_e32 v63, 8, v63
	v_sub_i16 v5, v39, v5 clamp
	v_lshlrev_b16_sdwa v39, v45, v40 dst_sel:DWORD dst_unused:UNUSED_PAD src0_sel:DWORD src1_sel:WORD_1
	v_lshlrev_b16_e32 v33, 8, v33
	v_and_b32_e32 v55, 0xffffff00, v55
	v_sub_i16 v63, v64, v63 clamp
	v_and_b32_e32 v5, 0xffffff00, v5
	v_sub_i16 v33, v39, v33 clamp
	v_or_b32_sdwa v55, v63, v55 dst_sel:WORD_1 dst_unused:UNUSED_PAD src0_sel:BYTE_1 src1_sel:DWORD
	v_or_b32_sdwa v5, v33, v5 dst_sel:WORD_1 dst_unused:UNUSED_PAD src0_sel:BYTE_1 src1_sel:DWORD
	v_or_b32_sdwa v54, v54, v55 dst_sel:DWORD dst_unused:UNUSED_PAD src0_sel:WORD_0 src1_sel:DWORD
	v_or_b32_sdwa v5, v38, v5 dst_sel:DWORD dst_unused:UNUSED_PAD src0_sel:WORD_0 src1_sel:DWORD
	v_dot4c_i32_i8_e32 v43, v54, v0
	v_bfe_u32 v54, v62, 14, 8
	v_dot4c_i32_i8_e32 v58, v5, v6
	v_lshlrev_b32_sdwa v5, v46, v32 dst_sel:DWORD dst_unused:UNUSED_PAD src0_sel:DWORD src1_sel:BYTE_1
	v_bcnt_u32_b32 v55, v54, 0
	global_load_dwordx2 v[32:33], v5, s[20:21]
	v_and_b32_e32 v55, 1, v55
	v_lshlrev_b32_e32 v55, 7, v55
	v_xor_b32_e32 v54, v55, v54
	v_mul_lo_u32 v54, v54, s29
	v_and_b32_e32 v55, 0x8000000, v54
	v_lshrrev_b32_e32 v62, 8, v54
	v_lshrrev_b16_e32 v63, 1, v62
	v_cmp_ne_u16_sdwa s[34:35], v55, v15 src0_sel:BYTE_3 src1_sel:DWORD
	v_bfe_i32 v63, v63, 0, 1
	v_lshrrev_b32_e32 v64, 18, v54
	v_cndmask_b32_e64 v55, 0, -1, s[34:35]
	v_bfe_i32 v64, v64, 0, 1
	v_lshlrev_b16_e32 v55, 8, v55
	v_lshlrev_b16_e32 v63, 8, v63
	v_or_b32_sdwa v65, v64, v55 dst_sel:WORD_1 dst_unused:UNUSED_PAD src0_sel:BYTE_0 src1_sel:DWORD
	v_or_b32_sdwa v66, v56, v63 dst_sel:DWORD dst_unused:UNUSED_PAD src0_sel:BYTE_0 src1_sel:DWORD
	v_or_b32_sdwa v65, v66, v65 dst_sel:DWORD dst_unused:UNUSED_PAD src0_sel:WORD_0 src1_sel:DWORD
	v_xor_b32_e32 v10, v10, v65
	v_and_b32_e32 v65, 0xffffff00, v10
	v_sub_i16 v63, v65, v63 clamp
	v_lshlrev_b16_e32 v65, 8, v10
	v_lshlrev_b16_e32 v56, 8, v56
	v_and_b32_e32 v63, 0xffffff00, v63
	v_sub_i16 v56, v65, v56 clamp
	v_or_b32_sdwa v56, v56, v63 dst_sel:DWORD dst_unused:UNUSED_PAD src0_sel:BYTE_1 src1_sel:DWORD
	v_and_b32_sdwa v63, v10, s30 dst_sel:DWORD dst_unused:UNUSED_PAD src0_sel:WORD_1 src1_sel:DWORD
	v_sub_i16 v55, v63, v55 clamp
	v_lshlrev_b16_sdwa v10, v45, v10 dst_sel:DWORD dst_unused:UNUSED_PAD src0_sel:DWORD src1_sel:WORD_1
	v_lshlrev_b16_e32 v63, 8, v64
	v_and_b32_e32 v55, 0xffffff00, v55
	v_sub_i16 v10, v10, v63 clamp
	v_or_b32_sdwa v10, v10, v55 dst_sel:WORD_1 dst_unused:UNUSED_PAD src0_sel:BYTE_1 src1_sel:DWORD
	v_bfe_i32 v55, v61, 2, 1
	v_or_b32_sdwa v10, v56, v10 dst_sel:DWORD dst_unused:UNUSED_PAD src0_sel:WORD_0 src1_sel:DWORD
	v_dot4c_i32_i8_e32 v43, v10, v1
	v_and_b32_e32 v10, 0x80000000, v54
	v_lshrrev_b16_e32 v56, 5, v62
	v_cmp_ne_u16_sdwa s[34:35], v10, v15 src0_sel:BYTE_3 src1_sel:DWORD
	v_bfe_i32 v56, v56, 0, 1
	v_lshrrev_b32_e32 v54, 22, v54
	v_cndmask_b32_e64 v10, 0, -1, s[34:35]
	v_bfe_i32 v54, v54, 0, 1
	v_lshlrev_b16_e32 v10, 8, v10
	v_lshlrev_b16_e32 v56, 8, v56
	v_or_b32_sdwa v62, v54, v10 dst_sel:WORD_1 dst_unused:UNUSED_PAD src0_sel:BYTE_0 src1_sel:DWORD
	v_or_b32_sdwa v63, v55, v56 dst_sel:DWORD dst_unused:UNUSED_PAD src0_sel:BYTE_0 src1_sel:DWORD
	v_or_b32_sdwa v62, v63, v62 dst_sel:DWORD dst_unused:UNUSED_PAD src0_sel:WORD_0 src1_sel:DWORD
	v_xor_b32_e32 v11, v11, v62
	v_and_b32_e32 v62, 0xffffff00, v11
	v_sub_i16 v56, v62, v56 clamp
	v_lshlrev_b16_e32 v62, 8, v11
	v_lshlrev_b16_e32 v55, 8, v55
	v_and_b32_e32 v56, 0xffffff00, v56
	v_sub_i16 v55, v62, v55 clamp
	v_or_b32_sdwa v55, v55, v56 dst_sel:DWORD dst_unused:UNUSED_PAD src0_sel:BYTE_1 src1_sel:DWORD
	v_and_b32_sdwa v56, v11, s30 dst_sel:DWORD dst_unused:UNUSED_PAD src0_sel:WORD_1 src1_sel:DWORD
	v_sub_i16 v10, v56, v10 clamp
	v_lshlrev_b16_sdwa v11, v45, v11 dst_sel:DWORD dst_unused:UNUSED_PAD src0_sel:DWORD src1_sel:WORD_1
	v_lshlrev_b16_e32 v54, 8, v54
	v_and_b32_e32 v10, 0xffffff00, v10
	v_sub_i16 v11, v11, v54 clamp
	v_or_b32_sdwa v10, v11, v10 dst_sel:WORD_1 dst_unused:UNUSED_PAD src0_sel:BYTE_1 src1_sel:DWORD
	v_lshlrev_b32_sdwa v6, v46, v52 dst_sel:DWORD dst_unused:UNUSED_PAD src0_sel:DWORD src1_sel:BYTE_2
	global_load_dwordx2 v[40:41], v6, s[20:21]
	v_or_b32_sdwa v10, v55, v10 dst_sel:DWORD dst_unused:UNUSED_PAD src0_sel:WORD_0 src1_sel:DWORD
	v_dot4c_i32_i8_e32 v43, v10, v2
	v_bfe_u32 v10, v48, 21, 8
	v_bcnt_u32_b32 v11, v10, 0
	v_and_b32_e32 v11, 1, v11
	v_lshlrev_b32_e32 v11, 7, v11
	v_xor_b32_e32 v10, v11, v10
	v_mul_lo_u32 v10, v10, s29
	v_and_b32_e32 v11, 0x8000000, v10
	v_lshrrev_b32_e32 v55, 8, v10
	v_lshrrev_b16_e32 v56, 1, v55
	v_cmp_ne_u16_sdwa s[34:35], v11, v15 src0_sel:BYTE_3 src1_sel:DWORD
	v_bfe_i32 v56, v56, 0, 1
	v_lshrrev_b32_e32 v62, 18, v10
	v_cndmask_b32_e64 v11, 0, -1, s[34:35]
	v_bfe_i32 v54, v61, 5, 1
	v_bfe_i32 v62, v62, 0, 1
	v_lshlrev_b16_e32 v11, 8, v11
	v_lshlrev_b16_e32 v56, 8, v56
	v_or_b32_sdwa v63, v62, v11 dst_sel:WORD_1 dst_unused:UNUSED_PAD src0_sel:BYTE_0 src1_sel:DWORD
	v_or_b32_sdwa v64, v54, v56 dst_sel:DWORD dst_unused:UNUSED_PAD src0_sel:BYTE_0 src1_sel:DWORD
	v_or_b32_sdwa v63, v64, v63 dst_sel:DWORD dst_unused:UNUSED_PAD src0_sel:WORD_0 src1_sel:DWORD
	v_xor_b32_e32 v8, v8, v63
	v_and_b32_e32 v63, 0xffffff00, v8
	v_sub_i16 v56, v63, v56 clamp
	v_lshlrev_b16_e32 v63, 8, v8
	v_lshlrev_b16_e32 v54, 8, v54
	v_and_b32_e32 v56, 0xffffff00, v56
	v_sub_i16 v54, v63, v54 clamp
	v_or_b32_sdwa v54, v54, v56 dst_sel:DWORD dst_unused:UNUSED_PAD src0_sel:BYTE_1 src1_sel:DWORD
	v_and_b32_sdwa v56, v8, s30 dst_sel:DWORD dst_unused:UNUSED_PAD src0_sel:WORD_1 src1_sel:DWORD
	v_sub_i16 v11, v56, v11 clamp
	v_lshlrev_b16_sdwa v8, v45, v8 dst_sel:DWORD dst_unused:UNUSED_PAD src0_sel:DWORD src1_sel:WORD_1
	v_lshlrev_b16_e32 v56, 8, v62
	v_and_b32_e32 v11, 0xffffff00, v11
	v_sub_i16 v8, v8, v56 clamp
	v_or_b32_sdwa v8, v8, v11 dst_sel:WORD_1 dst_unused:UNUSED_PAD src0_sel:BYTE_1 src1_sel:DWORD
	v_bfe_i32 v11, v61, 9, 1
	v_or_b32_sdwa v8, v54, v8 dst_sel:DWORD dst_unused:UNUSED_PAD src0_sel:WORD_0 src1_sel:DWORD
	v_dot4c_i32_i8_e32 v43, v8, v3
	v_and_b32_e32 v8, 0x80000000, v10
	v_lshrrev_b16_e32 v54, 5, v55
	v_cmp_ne_u16_sdwa s[34:35], v8, v15 src0_sel:BYTE_3 src1_sel:DWORD
	v_bfe_i32 v54, v54, 0, 1
	v_lshrrev_b32_e32 v10, 22, v10
	v_cndmask_b32_e64 v8, 0, -1, s[34:35]
	v_bfe_i32 v10, v10, 0, 1
	v_lshlrev_b16_e32 v8, 8, v8
	v_lshlrev_b16_e32 v54, 8, v54
	v_or_b32_sdwa v55, v10, v8 dst_sel:WORD_1 dst_unused:UNUSED_PAD src0_sel:BYTE_0 src1_sel:DWORD
	v_or_b32_sdwa v56, v11, v54 dst_sel:DWORD dst_unused:UNUSED_PAD src0_sel:BYTE_0 src1_sel:DWORD
	v_or_b32_sdwa v55, v56, v55 dst_sel:DWORD dst_unused:UNUSED_PAD src0_sel:WORD_0 src1_sel:DWORD
	v_xor_b32_e32 v9, v9, v55
	v_and_b32_e32 v55, 0xffffff00, v9
	v_sub_i16 v54, v55, v54 clamp
	v_lshlrev_b16_e32 v55, 8, v9
	v_lshlrev_b16_e32 v11, 8, v11
	v_and_b32_e32 v54, 0xffffff00, v54
	v_sub_i16 v11, v55, v11 clamp
	v_or_b32_sdwa v11, v11, v54 dst_sel:DWORD dst_unused:UNUSED_PAD src0_sel:BYTE_1 src1_sel:DWORD
	v_and_b32_sdwa v54, v9, s30 dst_sel:DWORD dst_unused:UNUSED_PAD src0_sel:WORD_1 src1_sel:DWORD
	v_sub_i16 v8, v54, v8 clamp
	v_lshlrev_b16_sdwa v9, v45, v9 dst_sel:DWORD dst_unused:UNUSED_PAD src0_sel:DWORD src1_sel:WORD_1
	v_lshlrev_b16_e32 v10, 8, v10
	v_and_b32_e32 v8, 0xffffff00, v8
	v_sub_i16 v9, v9, v10 clamp
	v_or_b32_sdwa v8, v9, v8 dst_sel:WORD_1 dst_unused:UNUSED_PAD src0_sel:BYTE_1 src1_sel:DWORD
	v_bfe_u32 v9, v51, 23, 8
	v_bcnt_u32_b32 v10, v9, 0
	v_and_b32_e32 v10, 1, v10
	v_lshlrev_b32_e32 v10, 7, v10
	v_lshlrev_b32_sdwa v59, v46, v52 dst_sel:DWORD dst_unused:UNUSED_PAD src0_sel:DWORD src1_sel:BYTE_3
	v_xor_b32_e32 v9, v10, v9
	global_load_dwordx2 v[38:39], v59, s[20:21]
	global_load_ushort v60, v[24:25], off
	v_mul_lo_u32 v9, v9, s29
	v_or_b32_sdwa v8, v11, v8 dst_sel:DWORD dst_unused:UNUSED_PAD src0_sel:WORD_0 src1_sel:DWORD
	v_and_b32_e32 v10, 0x8000000, v9
	v_lshrrev_b32_e32 v11, 8, v9
	v_lshrrev_b16_e32 v54, 1, v11
	v_cmp_ne_u16_sdwa s[34:35], v10, v15 src0_sel:BYTE_3 src1_sel:DWORD
	v_bfe_i32 v54, v54, 0, 1
	v_lshrrev_b32_e32 v55, 18, v9
	v_cndmask_b32_e64 v10, 0, -1, s[34:35]
	v_bfe_i32 v5, v57, 7, 1
	v_bfe_i32 v55, v55, 0, 1
	v_lshlrev_b16_e32 v10, 8, v10
	v_lshlrev_b16_e32 v54, 8, v54
	v_or_b32_sdwa v56, v55, v10 dst_sel:WORD_1 dst_unused:UNUSED_PAD src0_sel:BYTE_0 src1_sel:DWORD
	v_or_b32_sdwa v61, v5, v54 dst_sel:DWORD dst_unused:UNUSED_PAD src0_sel:BYTE_0 src1_sel:DWORD
	v_or_b32_sdwa v56, v61, v56 dst_sel:DWORD dst_unused:UNUSED_PAD src0_sel:WORD_0 src1_sel:DWORD
	s_waitcnt vmcnt(3)
	v_xor_b32_e32 v56, v32, v56
	v_and_b32_e32 v61, 0xffffff00, v56
	v_sub_i16 v54, v61, v54 clamp
	v_lshlrev_b16_e32 v61, 8, v56
	v_lshlrev_b16_e32 v5, 8, v5
	v_and_b32_e32 v54, 0xffffff00, v54
	v_sub_i16 v5, v61, v5 clamp
	v_or_b32_sdwa v5, v5, v54 dst_sel:DWORD dst_unused:UNUSED_PAD src0_sel:BYTE_1 src1_sel:DWORD
	v_and_b32_sdwa v54, v56, s30 dst_sel:DWORD dst_unused:UNUSED_PAD src0_sel:WORD_1 src1_sel:DWORD
	v_sub_i16 v10, v54, v10 clamp
	v_lshlrev_b16_sdwa v54, v45, v56 dst_sel:DWORD dst_unused:UNUSED_PAD src0_sel:DWORD src1_sel:WORD_1
	v_lshlrev_b16_e32 v55, 8, v55
	v_and_b32_e32 v10, 0xffffff00, v10
	v_sub_i16 v54, v54, v55 clamp
	v_or_b32_sdwa v10, v54, v10 dst_sel:WORD_1 dst_unused:UNUSED_PAD src0_sel:BYTE_1 src1_sel:DWORD
	v_dot4c_i32_i8_e32 v43, v8, v42
	v_or_b32_sdwa v5, v5, v10 dst_sel:DWORD dst_unused:UNUSED_PAD src0_sel:WORD_0 src1_sel:DWORD
	v_dot4c_i32_i8_e32 v58, v5, v7
	v_and_b32_e32 v5, 0x80000000, v9
	v_lshrrev_b16_e32 v10, 5, v11
	v_cmp_ne_u16_sdwa s[34:35], v5, v15 src0_sel:BYTE_3 src1_sel:DWORD
	v_bfe_i32 v10, v10, 0, 1
	v_lshrrev_b32_e32 v9, 22, v9
	v_cndmask_b32_e64 v5, 0, -1, s[34:35]
	v_bfe_i32 v7, v57, 11, 1
	v_bfe_i32 v9, v9, 0, 1
	v_lshlrev_b16_e32 v5, 8, v5
	v_lshlrev_b16_e32 v10, 8, v10
	v_or_b32_sdwa v11, v9, v5 dst_sel:WORD_1 dst_unused:UNUSED_PAD src0_sel:BYTE_0 src1_sel:DWORD
	v_or_b32_sdwa v54, v7, v10 dst_sel:DWORD dst_unused:UNUSED_PAD src0_sel:BYTE_0 src1_sel:DWORD
	v_or_b32_sdwa v11, v54, v11 dst_sel:DWORD dst_unused:UNUSED_PAD src0_sel:WORD_0 src1_sel:DWORD
	v_xor_b32_e32 v11, v33, v11
	v_and_b32_e32 v54, 0xffffff00, v11
	v_sub_i16 v10, v54, v10 clamp
	v_lshlrev_b16_e32 v54, 8, v11
	v_lshlrev_b16_e32 v7, 8, v7
	v_and_b32_e32 v10, 0xffffff00, v10
	v_sub_i16 v7, v54, v7 clamp
	v_or_b32_sdwa v7, v7, v10 dst_sel:DWORD dst_unused:UNUSED_PAD src0_sel:BYTE_1 src1_sel:DWORD
	v_and_b32_sdwa v10, v11, s30 dst_sel:DWORD dst_unused:UNUSED_PAD src0_sel:WORD_1 src1_sel:DWORD
	v_sub_i16 v5, v10, v5 clamp
	v_lshlrev_b16_sdwa v10, v45, v11 dst_sel:DWORD dst_unused:UNUSED_PAD src0_sel:DWORD src1_sel:WORD_1
	v_lshlrev_b16_e32 v9, 8, v9
	v_and_b32_e32 v5, 0xffffff00, v5
	v_sub_i16 v9, v10, v9 clamp
	v_and_b32_e32 v8, 0xffff0000, v47
	v_or_b32_sdwa v5, v9, v5 dst_sel:WORD_1 dst_unused:UNUSED_PAD src0_sel:BYTE_1 src1_sel:DWORD
	v_or_b32_e32 v8, v8, v57
	v_or_b32_sdwa v5, v7, v5 dst_sel:DWORD dst_unused:UNUSED_PAD src0_sel:WORD_0 src1_sel:DWORD
	v_dot4c_i32_i8_e32 v58, v5, v0
	v_bfe_u32 v0, v8, 14, 8
	v_bcnt_u32_b32 v5, v0, 0
	v_and_b32_e32 v5, 1, v5
	v_lshlrev_b32_e32 v5, 7, v5
	v_xor_b32_e32 v0, v5, v0
	v_mul_lo_u32 v0, v0, s29
	v_and_b32_e32 v5, 0x8000000, v0
	v_lshrrev_b32_e32 v7, 8, v0
	v_lshrrev_b16_e32 v8, 1, v7
	v_cmp_ne_u16_sdwa s[34:35], v5, v15 src0_sel:BYTE_3 src1_sel:DWORD
	v_bfe_i32 v8, v8, 0, 1
	v_lshrrev_b32_e32 v9, 18, v0
	v_cndmask_b32_e64 v5, 0, -1, s[34:35]
	v_bfe_i32 v6, v57, 14, 1
	v_bfe_i32 v9, v9, 0, 1
	v_lshlrev_b16_e32 v5, 8, v5
	v_lshlrev_b16_e32 v8, 8, v8
	v_or_b32_sdwa v10, v9, v5 dst_sel:WORD_1 dst_unused:UNUSED_PAD src0_sel:BYTE_0 src1_sel:DWORD
	v_or_b32_sdwa v11, v6, v8 dst_sel:DWORD dst_unused:UNUSED_PAD src0_sel:BYTE_0 src1_sel:DWORD
	v_or_b32_sdwa v10, v11, v10 dst_sel:DWORD dst_unused:UNUSED_PAD src0_sel:WORD_0 src1_sel:DWORD
	s_waitcnt vmcnt(2)
	v_xor_b32_e32 v10, v40, v10
	v_and_b32_e32 v11, 0xffffff00, v10
	v_sub_i16 v8, v11, v8 clamp
	v_lshlrev_b16_e32 v11, 8, v10
	v_lshlrev_b16_e32 v6, 8, v6
	v_and_b32_e32 v8, 0xffffff00, v8
	v_sub_i16 v6, v11, v6 clamp
	v_or_b32_sdwa v6, v6, v8 dst_sel:DWORD dst_unused:UNUSED_PAD src0_sel:BYTE_1 src1_sel:DWORD
	v_and_b32_sdwa v8, v10, s30 dst_sel:DWORD dst_unused:UNUSED_PAD src0_sel:WORD_1 src1_sel:DWORD
	v_sub_i16 v5, v8, v5 clamp
	v_lshlrev_b16_sdwa v8, v45, v10 dst_sel:DWORD dst_unused:UNUSED_PAD src0_sel:DWORD src1_sel:WORD_1
	v_lshlrev_b16_e32 v9, 8, v9
	v_and_b32_e32 v5, 0xffffff00, v5
	v_sub_i16 v8, v8, v9 clamp
	v_or_b32_sdwa v5, v8, v5 dst_sel:WORD_1 dst_unused:UNUSED_PAD src0_sel:BYTE_1 src1_sel:DWORD
	v_lshrrev_b32_e32 v59, 16, v47
	v_or_b32_sdwa v5, v6, v5 dst_sel:DWORD dst_unused:UNUSED_PAD src0_sel:WORD_0 src1_sel:DWORD
	v_dot4c_i32_i8_e32 v58, v5, v1
	v_and_b32_e32 v1, 0x80000000, v0
	v_lshrrev_b16_e32 v6, 5, v7
	v_cmp_ne_u16_sdwa s[34:35], v1, v15 src0_sel:BYTE_3 src1_sel:DWORD
	v_bfe_i32 v6, v6, 0, 1
	v_lshrrev_b32_e32 v0, 22, v0
	v_cndmask_b32_e64 v1, 0, -1, s[34:35]
	v_bfe_i32 v5, v59, 2, 1
	v_bfe_i32 v0, v0, 0, 1
	v_lshlrev_b16_e32 v1, 8, v1
	v_lshlrev_b16_e32 v6, 8, v6
	v_or_b32_sdwa v7, v0, v1 dst_sel:WORD_1 dst_unused:UNUSED_PAD src0_sel:BYTE_0 src1_sel:DWORD
	v_or_b32_sdwa v8, v5, v6 dst_sel:DWORD dst_unused:UNUSED_PAD src0_sel:BYTE_0 src1_sel:DWORD
	v_or_b32_sdwa v7, v8, v7 dst_sel:DWORD dst_unused:UNUSED_PAD src0_sel:WORD_0 src1_sel:DWORD
	v_xor_b32_e32 v7, v41, v7
	v_and_b32_e32 v8, 0xffffff00, v7
	v_sub_i16 v6, v8, v6 clamp
	v_lshlrev_b16_e32 v8, 8, v7
	v_lshlrev_b16_e32 v5, 8, v5
	v_and_b32_e32 v6, 0xffffff00, v6
	v_sub_i16 v5, v8, v5 clamp
	v_or_b32_sdwa v5, v5, v6 dst_sel:DWORD dst_unused:UNUSED_PAD src0_sel:BYTE_1 src1_sel:DWORD
	v_and_b32_sdwa v6, v7, s30 dst_sel:DWORD dst_unused:UNUSED_PAD src0_sel:WORD_1 src1_sel:DWORD
	v_sub_i16 v1, v6, v1 clamp
	v_lshlrev_b16_sdwa v6, v45, v7 dst_sel:DWORD dst_unused:UNUSED_PAD src0_sel:DWORD src1_sel:WORD_1
	v_lshlrev_b16_e32 v0, 8, v0
	v_and_b32_e32 v1, 0xffffff00, v1
	v_sub_i16 v0, v6, v0 clamp
	v_or_b32_sdwa v0, v0, v1 dst_sel:WORD_1 dst_unused:UNUSED_PAD src0_sel:BYTE_1 src1_sel:DWORD
	s_nop 0
	v_or_b32_sdwa v0, v5, v0 dst_sel:DWORD dst_unused:UNUSED_PAD src0_sel:WORD_0 src1_sel:DWORD
	v_dot4c_i32_i8_e32 v58, v0, v2
	v_bfe_u32 v0, v47, 21, 8
	v_bcnt_u32_b32 v1, v0, 0
	v_and_b32_e32 v1, 1, v1
	v_lshlrev_b32_e32 v1, 7, v1
	v_xor_b32_e32 v0, v1, v0
	v_mul_lo_u32 v0, v0, s29
	v_and_b32_e32 v1, 0x8000000, v0
	v_lshrrev_b32_e32 v5, 8, v0
	v_lshrrev_b16_e32 v6, 1, v5
	v_cmp_ne_u16_sdwa s[34:35], v1, v15 src0_sel:BYTE_3 src1_sel:DWORD
	v_bfe_i32 v6, v6, 0, 1
	v_lshrrev_b32_e32 v7, 18, v0
	v_cndmask_b32_e64 v1, 0, -1, s[34:35]
	v_bfe_i32 v2, v59, 5, 1
	v_bfe_i32 v7, v7, 0, 1
	v_lshlrev_b16_e32 v1, 8, v1
	v_lshlrev_b16_e32 v6, 8, v6
	v_or_b32_sdwa v8, v7, v1 dst_sel:WORD_1 dst_unused:UNUSED_PAD src0_sel:BYTE_0 src1_sel:DWORD
	v_or_b32_sdwa v9, v2, v6 dst_sel:DWORD dst_unused:UNUSED_PAD src0_sel:BYTE_0 src1_sel:DWORD
	v_or_b32_sdwa v8, v9, v8 dst_sel:DWORD dst_unused:UNUSED_PAD src0_sel:WORD_0 src1_sel:DWORD
	s_waitcnt vmcnt(1)
	v_xor_b32_e32 v8, v38, v8
	v_and_b32_e32 v9, 0xffffff00, v8
	v_sub_i16 v6, v9, v6 clamp
	v_lshlrev_b16_e32 v9, 8, v8
	v_lshlrev_b16_e32 v2, 8, v2
	v_and_b32_e32 v6, 0xffffff00, v6
	v_sub_i16 v2, v9, v2 clamp
	v_or_b32_sdwa v2, v2, v6 dst_sel:DWORD dst_unused:UNUSED_PAD src0_sel:BYTE_1 src1_sel:DWORD
	v_and_b32_sdwa v6, v8, s30 dst_sel:DWORD dst_unused:UNUSED_PAD src0_sel:WORD_1 src1_sel:DWORD
	v_sub_i16 v1, v6, v1 clamp
	v_lshlrev_b16_sdwa v6, v45, v8 dst_sel:DWORD dst_unused:UNUSED_PAD src0_sel:DWORD src1_sel:WORD_1
	v_lshlrev_b16_e32 v7, 8, v7
	v_and_b32_e32 v1, 0xffffff00, v1
	v_sub_i16 v6, v6, v7 clamp
	v_or_b32_sdwa v1, v6, v1 dst_sel:WORD_1 dst_unused:UNUSED_PAD src0_sel:BYTE_1 src1_sel:DWORD
	v_cvt_f32_f16_e32 v38, v53
	v_or_b32_sdwa v1, v2, v1 dst_sel:DWORD dst_unused:UNUSED_PAD src0_sel:WORD_0 src1_sel:DWORD
	v_dot4c_i32_i8_e32 v58, v1, v3
	v_and_b32_e32 v1, 0x80000000, v0
	v_lshrrev_b16_e32 v3, 5, v5
	v_cmp_ne_u16_sdwa s[34:35], v1, v15 src0_sel:BYTE_3 src1_sel:DWORD
	v_bfe_i32 v3, v3, 0, 1
	v_lshrrev_b32_e32 v0, 22, v0
	v_cndmask_b32_e64 v1, 0, -1, s[34:35]
	v_bfe_i32 v2, v59, 9, 1
	v_bfe_i32 v0, v0, 0, 1
	v_lshlrev_b16_e32 v1, 8, v1
	v_lshlrev_b16_e32 v3, 8, v3
	v_or_b32_sdwa v5, v0, v1 dst_sel:WORD_1 dst_unused:UNUSED_PAD src0_sel:BYTE_0 src1_sel:DWORD
	v_or_b32_sdwa v6, v2, v3 dst_sel:DWORD dst_unused:UNUSED_PAD src0_sel:BYTE_0 src1_sel:DWORD
	v_or_b32_sdwa v5, v6, v5 dst_sel:DWORD dst_unused:UNUSED_PAD src0_sel:WORD_0 src1_sel:DWORD
	v_xor_b32_e32 v5, v39, v5
	v_and_b32_e32 v6, 0xffffff00, v5
	v_sub_i16 v3, v6, v3 clamp
	v_lshlrev_b16_e32 v6, 8, v5
	v_lshlrev_b16_e32 v2, 8, v2
	v_and_b32_e32 v3, 0xffffff00, v3
	v_sub_i16 v2, v6, v2 clamp
	v_or_b32_sdwa v2, v2, v3 dst_sel:DWORD dst_unused:UNUSED_PAD src0_sel:BYTE_1 src1_sel:DWORD
	v_and_b32_sdwa v3, v5, s30 dst_sel:DWORD dst_unused:UNUSED_PAD src0_sel:WORD_1 src1_sel:DWORD
	v_sub_i16 v1, v3, v1 clamp
	v_lshlrev_b16_sdwa v3, v45, v5 dst_sel:DWORD dst_unused:UNUSED_PAD src0_sel:DWORD src1_sel:WORD_1
	v_lshlrev_b16_e32 v0, 8, v0
	v_and_b32_e32 v1, 0xffffff00, v1
	v_sub_i16 v0, v3, v0 clamp
	v_or_b32_sdwa v0, v0, v1 dst_sel:WORD_1 dst_unused:UNUSED_PAD src0_sel:BYTE_1 src1_sel:DWORD
	v_lshrrev_b32_e32 v1, 27, v48
	v_or_b32_sdwa v0, v2, v0 dst_sel:DWORD dst_unused:UNUSED_PAD src0_sel:WORD_0 src1_sel:DWORD
	v_or_b32_e32 v1, 1, v1
	v_dot4c_i32_i8_e32 v58, v0, v42
	v_lshrrev_b32_e32 v0, 27, v47
	v_mul_lo_u32 v1, v43, v1
	v_or_b32_e32 v0, 1, v0
	v_ashrrev_i32_e32 v2, 31, v1
	v_mul_lo_u32 v0, v58, v0
	v_lshrrev_b32_e32 v2, 29, v2
	v_add_u32_e32 v1, v1, v2
	v_ashrrev_i32_e32 v2, 31, v0
	v_lshrrev_b32_e32 v2, 29, v2
	v_add_u32_e32 v0, v0, v2
	v_ashrrev_i32_e32 v1, 3, v1
	v_ashrrev_i32_e32 v0, 3, v0
	v_cvt_f32_i32_e32 v7, v0
	v_cvt_f32_i32_e32 v6, v1
	scratch_load_dwordx4 v[0:3], off, off
	s_waitcnt vmcnt(1)
	v_cvt_f32_f16_e32 v39, v60
	v_pk_mul_f32 v[4:5], v[4:5], v[38:39] op_sel_hi:[0,1]
	s_waitcnt vmcnt(0)
	v_pk_fma_f32 v[0:1], v[4:5], v[6:7], v[0:1]
	v_add_u32_e32 v4, s9, v44
	v_mad_u64_u32 v[4:5], s[34:35], v4, 36, s[24:25]
	v_mad_u64_u32 v[40:41], s[34:35], v16, 36, v[4:5]
	global_load_dword v53, v[40:41], off offset:32
	global_load_dwordx4 v[4:7], v[40:41], off offset:16
	global_load_dwordx4 v[8:11], v[40:41], off
	s_nop 0
	global_load_ushort v40, v[28:29], off offset:4
	global_load_ushort v41, v[28:29], off offset:6
	;; [unrolled: 1-line block ×3, first 2 shown]
	s_waitcnt vmcnt(3)
	v_cvt_f32_f16_e32 v8, v8
	s_waitcnt vmcnt(1)
	v_and_b32_e32 v56, 0xffff, v41
	v_and_b32_e32 v42, 0xff, v56
	v_bcnt_u32_b32 v43, v42, 0
	v_and_b32_e32 v43, 1, v43
	v_lshlrev_b32_e32 v43, 7, v43
	v_xor_b32_e32 v42, v43, v42
	v_mul_lo_u32 v42, v42, s29
	v_and_b32_e32 v43, 0x8000000, v42
	v_lshrrev_b32_e32 v57, 8, v42
	v_lshrrev_b16_e32 v55, 1, v57
	v_cmp_ne_u16_sdwa s[34:35], v43, v15 src0_sel:BYTE_3 src1_sel:DWORD
	v_and_b32_e32 v41, 1, v41
	v_bfe_i32 v55, v55, 0, 1
	v_lshrrev_b32_e32 v58, 18, v42
	v_cndmask_b32_e64 v43, 0, -1, s[34:35]
	v_sub_u16_e32 v41, 0, v41
	v_bfe_i32 v58, v58, 0, 1
	v_lshlrev_b16_e32 v43, 8, v43
	v_lshlrev_b16_e32 v55, 8, v55
	v_or_b32_sdwa v59, v58, v43 dst_sel:WORD_1 dst_unused:UNUSED_PAD src0_sel:BYTE_0 src1_sel:DWORD
	v_or_b32_sdwa v60, v41, v55 dst_sel:DWORD dst_unused:UNUSED_PAD src0_sel:BYTE_0 src1_sel:DWORD
	v_or_b32_sdwa v59, v60, v59 dst_sel:DWORD dst_unused:UNUSED_PAD src0_sel:WORD_0 src1_sel:DWORD
	v_xor_b32_e32 v34, v34, v59
	v_and_b32_e32 v59, 0xffffff00, v34
	v_sub_i16 v55, v59, v55 clamp
	v_lshlrev_b16_e32 v59, 8, v34
	v_lshlrev_b16_e32 v41, 8, v41
	v_and_b32_e32 v55, 0xffffff00, v55
	v_sub_i16 v41, v59, v41 clamp
	v_or_b32_sdwa v41, v41, v55 dst_sel:DWORD dst_unused:UNUSED_PAD src0_sel:BYTE_1 src1_sel:DWORD
	v_and_b32_sdwa v55, v34, s30 dst_sel:DWORD dst_unused:UNUSED_PAD src0_sel:WORD_1 src1_sel:DWORD
	v_sub_i16 v43, v55, v43 clamp
	v_lshlrev_b16_sdwa v34, v45, v34 dst_sel:DWORD dst_unused:UNUSED_PAD src0_sel:DWORD src1_sel:WORD_1
	v_lshlrev_b16_e32 v55, 8, v58
	v_and_b32_e32 v43, 0xffffff00, v43
	v_sub_i16 v34, v34, v55 clamp
	v_or_b32_sdwa v34, v34, v43 dst_sel:WORD_1 dst_unused:UNUSED_PAD src0_sel:BYTE_1 src1_sel:DWORD
	v_mov_b32_e32 v55, 0
	v_or_b32_sdwa v34, v41, v34 dst_sel:DWORD dst_unused:UNUSED_PAD src0_sel:WORD_0 src1_sel:DWORD
	v_dot4c_i32_i8_e32 v55, v34, v9
	v_and_b32_e32 v34, 0x80000000, v42
	v_lshrrev_b16_e32 v43, 5, v57
	v_cmp_ne_u16_sdwa s[34:35], v34, v15 src0_sel:BYTE_3 src1_sel:DWORD
	v_bfe_i32 v43, v43, 0, 1
	v_lshrrev_b32_e32 v42, 22, v42
	v_cndmask_b32_e64 v34, 0, -1, s[34:35]
	v_bfe_i32 v41, v56, 4, 1
	v_bfe_i32 v42, v42, 0, 1
	v_lshlrev_b16_e32 v34, 8, v34
	v_lshlrev_b16_e32 v43, 8, v43
	v_or_b32_sdwa v57, v42, v34 dst_sel:WORD_1 dst_unused:UNUSED_PAD src0_sel:BYTE_0 src1_sel:DWORD
	v_or_b32_sdwa v58, v41, v43 dst_sel:DWORD dst_unused:UNUSED_PAD src0_sel:BYTE_0 src1_sel:DWORD
	v_or_b32_sdwa v57, v58, v57 dst_sel:DWORD dst_unused:UNUSED_PAD src0_sel:WORD_0 src1_sel:DWORD
	v_xor_b32_e32 v35, v35, v57
	v_and_b32_e32 v57, 0xffffff00, v35
	v_sub_i16 v43, v57, v43 clamp
	v_lshlrev_b16_e32 v57, 8, v35
	v_lshlrev_b16_e32 v41, 8, v41
	v_and_b32_e32 v43, 0xffffff00, v43
	v_sub_i16 v41, v57, v41 clamp
	v_or_b32_sdwa v41, v41, v43 dst_sel:DWORD dst_unused:UNUSED_PAD src0_sel:BYTE_1 src1_sel:DWORD
	v_and_b32_sdwa v43, v35, s30 dst_sel:DWORD dst_unused:UNUSED_PAD src0_sel:WORD_1 src1_sel:DWORD
	v_sub_i16 v34, v43, v34 clamp
	v_lshlrev_b16_sdwa v35, v45, v35 dst_sel:DWORD dst_unused:UNUSED_PAD src0_sel:DWORD src1_sel:WORD_1
	v_lshlrev_b16_e32 v42, 8, v42
	v_and_b32_e32 v34, 0xffffff00, v34
	v_sub_i16 v35, v35, v42 clamp
	v_or_b32_sdwa v34, v35, v34 dst_sel:WORD_1 dst_unused:UNUSED_PAD src0_sel:BYTE_1 src1_sel:DWORD
	v_bfe_i32 v57, v56, 7, 1
	v_or_b32_sdwa v34, v41, v34 dst_sel:DWORD dst_unused:UNUSED_PAD src0_sel:WORD_0 src1_sel:DWORD
	v_dot4c_i32_i8_e32 v55, v34, v10
	v_and_b32_sdwa v34, s28, v40 dst_sel:DWORD dst_unused:UNUSED_PAD src0_sel:DWORD src1_sel:BYTE_0
	v_lshlrev_b32_e32 v34, 3, v34
	global_load_dwordx2 v[42:43], v34, s[20:21]
	v_lshlrev_b32_sdwa v34, v46, v40 dst_sel:DWORD dst_unused:UNUSED_PAD src0_sel:DWORD src1_sel:BYTE_1
	global_load_dwordx2 v[40:41], v34, s[20:21]
	global_load_ushort v35, v[26:27], off offset:4
	global_load_ushort v59, v[26:27], off offset:6
	v_bfe_i32 v58, v56, 14, 1
	global_load_ushort v61, v[26:27], off offset:8
	s_waitcnt vmcnt(1)
	v_and_b32_e32 v60, 0xffff, v59
	v_and_b32_e32 v34, 0xff, v60
	v_bcnt_u32_b32 v62, v34, 0
	v_and_b32_e32 v62, 1, v62
	v_lshlrev_b32_e32 v62, 7, v62
	v_xor_b32_e32 v34, v62, v34
	v_mul_lo_u32 v34, v34, s29
	v_and_b32_e32 v62, 0x8000000, v34
	v_lshrrev_b32_e32 v63, 8, v34
	v_lshrrev_b16_e32 v64, 1, v63
	v_cmp_ne_u16_sdwa s[34:35], v62, v15 src0_sel:BYTE_3 src1_sel:DWORD
	v_and_b32_e32 v59, 1, v59
	v_bfe_i32 v64, v64, 0, 1
	v_lshrrev_b32_e32 v65, 18, v34
	v_cndmask_b32_e64 v62, 0, -1, s[34:35]
	v_sub_u16_e32 v59, 0, v59
	v_bfe_i32 v65, v65, 0, 1
	v_lshlrev_b16_e32 v62, 8, v62
	v_lshlrev_b16_e32 v64, 8, v64
	v_or_b32_sdwa v66, v65, v62 dst_sel:WORD_1 dst_unused:UNUSED_PAD src0_sel:BYTE_0 src1_sel:DWORD
	v_or_b32_sdwa v67, v59, v64 dst_sel:DWORD dst_unused:UNUSED_PAD src0_sel:BYTE_0 src1_sel:DWORD
	v_or_b32_sdwa v66, v67, v66 dst_sel:DWORD dst_unused:UNUSED_PAD src0_sel:WORD_0 src1_sel:DWORD
	v_xor_b32_e32 v36, v36, v66
	v_and_b32_e32 v66, 0xffffff00, v36
	v_sub_i16 v64, v66, v64 clamp
	v_lshlrev_b16_e32 v66, 8, v36
	v_lshlrev_b16_e32 v59, 8, v59
	v_and_b32_e32 v64, 0xffffff00, v64
	v_sub_i16 v59, v66, v59 clamp
	v_or_b32_sdwa v59, v59, v64 dst_sel:DWORD dst_unused:UNUSED_PAD src0_sel:BYTE_1 src1_sel:DWORD
	v_and_b32_sdwa v64, v36, s30 dst_sel:DWORD dst_unused:UNUSED_PAD src0_sel:WORD_1 src1_sel:DWORD
	v_sub_i16 v62, v64, v62 clamp
	v_lshlrev_b16_sdwa v36, v45, v36 dst_sel:DWORD dst_unused:UNUSED_PAD src0_sel:DWORD src1_sel:WORD_1
	v_lshlrev_b16_e32 v64, 8, v65
	v_and_b32_e32 v62, 0xffffff00, v62
	v_sub_i16 v36, v36, v64 clamp
	v_or_b32_sdwa v36, v36, v62 dst_sel:WORD_1 dst_unused:UNUSED_PAD src0_sel:BYTE_1 src1_sel:DWORD
	v_lshrrev_b16_e32 v62, 5, v63
	v_or_b32_sdwa v36, v59, v36 dst_sel:DWORD dst_unused:UNUSED_PAD src0_sel:WORD_0 src1_sel:DWORD
	v_mov_b32_e32 v59, 0
	v_dot4c_i32_i8_e32 v59, v36, v9
	v_and_b32_e32 v9, 0x80000000, v34
	v_cmp_ne_u16_sdwa s[34:35], v9, v15 src0_sel:BYTE_3 src1_sel:DWORD
	v_bfe_i32 v62, v62, 0, 1
	v_lshrrev_b32_e32 v34, 22, v34
	v_cndmask_b32_e64 v9, 0, -1, s[34:35]
	v_bfe_i32 v36, v60, 4, 1
	v_bfe_i32 v34, v34, 0, 1
	v_lshlrev_b16_e32 v9, 8, v9
	v_lshlrev_b16_e32 v62, 8, v62
	v_or_b32_sdwa v63, v34, v9 dst_sel:WORD_1 dst_unused:UNUSED_PAD src0_sel:BYTE_0 src1_sel:DWORD
	v_or_b32_sdwa v64, v36, v62 dst_sel:DWORD dst_unused:UNUSED_PAD src0_sel:BYTE_0 src1_sel:DWORD
	v_or_b32_sdwa v63, v64, v63 dst_sel:DWORD dst_unused:UNUSED_PAD src0_sel:WORD_0 src1_sel:DWORD
	v_xor_b32_e32 v37, v37, v63
	v_and_b32_e32 v63, 0xffffff00, v37
	v_sub_i16 v62, v63, v62 clamp
	v_lshlrev_b16_e32 v63, 8, v37
	v_lshlrev_b16_e32 v36, 8, v36
	v_sub_i16 v36, v63, v36 clamp
	v_bfe_u32 v63, v56, 7, 8
	v_bcnt_u32_b32 v64, v63, 0
	v_and_b32_e32 v64, 1, v64
	v_lshlrev_b32_e32 v64, 7, v64
	v_xor_b32_e32 v63, v64, v63
	v_mul_lo_u32 v63, v63, s29
	v_and_b32_e32 v64, 0x8000000, v63
	v_lshrrev_b32_e32 v65, 8, v63
	v_lshrrev_b16_e32 v66, 1, v65
	v_cmp_ne_u16_sdwa s[34:35], v64, v15 src0_sel:BYTE_3 src1_sel:DWORD
	v_bfe_i32 v66, v66, 0, 1
	v_lshrrev_b32_e32 v67, 18, v63
	v_cndmask_b32_e64 v64, 0, -1, s[34:35]
	v_bfe_i32 v67, v67, 0, 1
	v_lshlrev_b16_e32 v64, 8, v64
	v_lshlrev_b16_e32 v66, 8, v66
	v_or_b32_sdwa v68, v67, v64 dst_sel:WORD_1 dst_unused:UNUSED_PAD src0_sel:BYTE_0 src1_sel:DWORD
	v_or_b32_sdwa v69, v57, v66 dst_sel:DWORD dst_unused:UNUSED_PAD src0_sel:BYTE_0 src1_sel:DWORD
	v_or_b32_sdwa v68, v69, v68 dst_sel:DWORD dst_unused:UNUSED_PAD src0_sel:WORD_0 src1_sel:DWORD
	v_xor_b32_e32 v30, v30, v68
	v_and_b32_e32 v68, 0xffffff00, v30
	v_sub_i16 v66, v68, v66 clamp
	v_lshlrev_b16_e32 v68, 8, v30
	v_lshlrev_b16_e32 v57, 8, v57
	v_and_b32_e32 v66, 0xffffff00, v66
	v_sub_i16 v57, v68, v57 clamp
	v_or_b32_sdwa v57, v57, v66 dst_sel:DWORD dst_unused:UNUSED_PAD src0_sel:BYTE_1 src1_sel:DWORD
	v_and_b32_sdwa v66, v30, s30 dst_sel:DWORD dst_unused:UNUSED_PAD src0_sel:WORD_1 src1_sel:DWORD
	v_sub_i16 v64, v66, v64 clamp
	v_lshlrev_b16_sdwa v30, v45, v30 dst_sel:DWORD dst_unused:UNUSED_PAD src0_sel:DWORD src1_sel:WORD_1
	v_lshlrev_b16_e32 v66, 8, v67
	v_and_b32_e32 v64, 0xffffff00, v64
	v_sub_i16 v30, v30, v66 clamp
	v_or_b32_sdwa v30, v30, v64 dst_sel:WORD_1 dst_unused:UNUSED_PAD src0_sel:BYTE_1 src1_sel:DWORD
	v_and_b32_e32 v62, 0xffffff00, v62
	v_or_b32_sdwa v30, v57, v30 dst_sel:DWORD dst_unused:UNUSED_PAD src0_sel:WORD_0 src1_sel:DWORD
	v_dot4c_i32_i8_e32 v55, v30, v11
	v_and_b32_e32 v30, 0x80000000, v63
	v_lshrrev_b16_e32 v57, 5, v65
	v_cmp_ne_u16_sdwa s[34:35], v30, v15 src0_sel:BYTE_3 src1_sel:DWORD
	v_or_b32_sdwa v36, v36, v62 dst_sel:DWORD dst_unused:UNUSED_PAD src0_sel:BYTE_1 src1_sel:DWORD
	v_and_b32_sdwa v62, v37, s30 dst_sel:DWORD dst_unused:UNUSED_PAD src0_sel:WORD_1 src1_sel:DWORD
	v_bfe_i32 v57, v57, 0, 1
	v_lshrrev_b32_e32 v63, 22, v63
	v_cndmask_b32_e64 v30, 0, -1, s[34:35]
	v_sub_i16 v9, v62, v9 clamp
	v_lshl_or_b32 v62, v54, 16, v56
	v_bfe_i32 v56, v56, 11, 1
	v_bfe_i32 v63, v63, 0, 1
	v_lshlrev_b16_e32 v30, 8, v30
	v_lshlrev_b16_e32 v57, 8, v57
	v_or_b32_sdwa v64, v63, v30 dst_sel:WORD_1 dst_unused:UNUSED_PAD src0_sel:BYTE_0 src1_sel:DWORD
	v_or_b32_sdwa v65, v56, v57 dst_sel:DWORD dst_unused:UNUSED_PAD src0_sel:BYTE_0 src1_sel:DWORD
	v_or_b32_sdwa v64, v65, v64 dst_sel:DWORD dst_unused:UNUSED_PAD src0_sel:WORD_0 src1_sel:DWORD
	v_xor_b32_e32 v31, v31, v64
	v_and_b32_e32 v64, 0xffffff00, v31
	v_sub_i16 v57, v64, v57 clamp
	v_lshlrev_b16_e32 v64, 8, v31
	v_lshlrev_b16_e32 v56, 8, v56
	v_and_b32_e32 v57, 0xffffff00, v57
	v_sub_i16 v56, v64, v56 clamp
	v_or_b32_sdwa v56, v56, v57 dst_sel:DWORD dst_unused:UNUSED_PAD src0_sel:BYTE_1 src1_sel:DWORD
	v_and_b32_sdwa v57, v31, s30 dst_sel:DWORD dst_unused:UNUSED_PAD src0_sel:WORD_1 src1_sel:DWORD
	v_sub_i16 v30, v57, v30 clamp
	v_lshlrev_b16_sdwa v31, v45, v31 dst_sel:DWORD dst_unused:UNUSED_PAD src0_sel:DWORD src1_sel:WORD_1
	v_lshlrev_b16_e32 v57, 8, v63
	v_and_b32_e32 v30, 0xffffff00, v30
	v_sub_i16 v31, v31, v57 clamp
	v_or_b32_sdwa v30, v31, v30 dst_sel:WORD_1 dst_unused:UNUSED_PAD src0_sel:BYTE_1 src1_sel:DWORD
	v_lshlrev_b16_sdwa v37, v45, v37 dst_sel:DWORD dst_unused:UNUSED_PAD src0_sel:DWORD src1_sel:WORD_1
	v_or_b32_sdwa v30, v56, v30 dst_sel:DWORD dst_unused:UNUSED_PAD src0_sel:WORD_0 src1_sel:DWORD
	v_dot4c_i32_i8_e32 v55, v30, v4
	v_bfe_u32 v30, v62, 14, 8
	v_bcnt_u32_b32 v31, v30, 0
	v_and_b32_e32 v31, 1, v31
	v_lshlrev_b32_e32 v31, 7, v31
	v_xor_b32_e32 v30, v31, v30
	v_mul_lo_u32 v30, v30, s29
	v_and_b32_e32 v31, 0x8000000, v30
	v_lshrrev_b32_e32 v56, 8, v30
	v_lshrrev_b16_e32 v57, 1, v56
	v_cmp_ne_u16_sdwa s[34:35], v31, v15 src0_sel:BYTE_3 src1_sel:DWORD
	v_bfe_i32 v57, v57, 0, 1
	v_lshrrev_b32_e32 v62, 18, v30
	v_cndmask_b32_e64 v31, 0, -1, s[34:35]
	v_bfe_i32 v62, v62, 0, 1
	v_lshlrev_b16_e32 v31, 8, v31
	v_lshlrev_b16_e32 v57, 8, v57
	v_or_b32_sdwa v63, v62, v31 dst_sel:WORD_1 dst_unused:UNUSED_PAD src0_sel:BYTE_0 src1_sel:DWORD
	v_or_b32_sdwa v64, v58, v57 dst_sel:DWORD dst_unused:UNUSED_PAD src0_sel:BYTE_0 src1_sel:DWORD
	v_or_b32_sdwa v63, v64, v63 dst_sel:DWORD dst_unused:UNUSED_PAD src0_sel:WORD_0 src1_sel:DWORD
	v_xor_b32_e32 v42, v42, v63
	v_and_b32_e32 v63, 0xffffff00, v42
	v_sub_i16 v57, v63, v57 clamp
	v_lshlrev_b16_e32 v63, 8, v42
	v_lshlrev_b16_e32 v58, 8, v58
	v_and_b32_e32 v57, 0xffffff00, v57
	v_sub_i16 v58, v63, v58 clamp
	v_or_b32_sdwa v57, v58, v57 dst_sel:DWORD dst_unused:UNUSED_PAD src0_sel:BYTE_1 src1_sel:DWORD
	v_and_b32_sdwa v58, v42, s30 dst_sel:DWORD dst_unused:UNUSED_PAD src0_sel:WORD_1 src1_sel:DWORD
	v_sub_i16 v31, v58, v31 clamp
	v_lshlrev_b16_sdwa v42, v45, v42 dst_sel:DWORD dst_unused:UNUSED_PAD src0_sel:DWORD src1_sel:WORD_1
	v_lshlrev_b16_e32 v58, 8, v62
	v_and_b32_e32 v31, 0xffffff00, v31
	v_sub_i16 v42, v42, v58 clamp
	v_or_b32_sdwa v31, v42, v31 dst_sel:WORD_1 dst_unused:UNUSED_PAD src0_sel:BYTE_1 src1_sel:DWORD
	v_lshrrev_b16_e32 v56, 5, v56
	v_or_b32_sdwa v31, v57, v31 dst_sel:DWORD dst_unused:UNUSED_PAD src0_sel:WORD_0 src1_sel:DWORD
	v_dot4c_i32_i8_e32 v55, v31, v5
	v_and_b32_e32 v31, 0x80000000, v30
	v_cmp_ne_u16_sdwa s[34:35], v31, v15 src0_sel:BYTE_3 src1_sel:DWORD
	v_bfe_i32 v56, v56, 0, 1
	v_lshrrev_b32_e32 v30, 22, v30
	v_cndmask_b32_e64 v31, 0, -1, s[34:35]
	v_bfe_i32 v42, v54, 2, 1
	v_bfe_i32 v30, v30, 0, 1
	v_lshlrev_b16_e32 v31, 8, v31
	v_lshlrev_b16_e32 v56, 8, v56
	v_or_b32_sdwa v57, v30, v31 dst_sel:WORD_1 dst_unused:UNUSED_PAD src0_sel:BYTE_0 src1_sel:DWORD
	v_or_b32_sdwa v58, v42, v56 dst_sel:DWORD dst_unused:UNUSED_PAD src0_sel:BYTE_0 src1_sel:DWORD
	v_or_b32_sdwa v57, v58, v57 dst_sel:DWORD dst_unused:UNUSED_PAD src0_sel:WORD_0 src1_sel:DWORD
	v_xor_b32_e32 v43, v43, v57
	v_and_b32_e32 v57, 0xffffff00, v43
	v_sub_i16 v56, v57, v56 clamp
	v_lshlrev_b16_e32 v57, 8, v43
	v_lshlrev_b16_e32 v42, 8, v42
	v_and_b32_e32 v56, 0xffffff00, v56
	v_sub_i16 v42, v57, v42 clamp
	v_or_b32_sdwa v42, v42, v56 dst_sel:DWORD dst_unused:UNUSED_PAD src0_sel:BYTE_1 src1_sel:DWORD
	v_and_b32_sdwa v56, v43, s30 dst_sel:DWORD dst_unused:UNUSED_PAD src0_sel:WORD_1 src1_sel:DWORD
	v_lshlrev_b16_e32 v34, 8, v34
	v_sub_i16 v31, v56, v31 clamp
	v_lshlrev_b16_sdwa v43, v45, v43 dst_sel:DWORD dst_unused:UNUSED_PAD src0_sel:DWORD src1_sel:WORD_1
	v_lshlrev_b16_e32 v30, 8, v30
	v_and_b32_e32 v9, 0xffffff00, v9
	v_sub_i16 v34, v37, v34 clamp
	v_and_b32_e32 v31, 0xffffff00, v31
	v_sub_i16 v30, v43, v30 clamp
	v_or_b32_sdwa v9, v34, v9 dst_sel:WORD_1 dst_unused:UNUSED_PAD src0_sel:BYTE_1 src1_sel:DWORD
	v_or_b32_sdwa v30, v30, v31 dst_sel:WORD_1 dst_unused:UNUSED_PAD src0_sel:BYTE_1 src1_sel:DWORD
	v_or_b32_sdwa v9, v36, v9 dst_sel:DWORD dst_unused:UNUSED_PAD src0_sel:WORD_0 src1_sel:DWORD
	v_or_b32_sdwa v30, v42, v30 dst_sel:DWORD dst_unused:UNUSED_PAD src0_sel:WORD_0 src1_sel:DWORD
	v_dot4c_i32_i8_e32 v59, v9, v10
	v_and_b32_sdwa v10, s28, v35 dst_sel:DWORD dst_unused:UNUSED_PAD src0_sel:DWORD src1_sel:BYTE_0
	v_dot4c_i32_i8_e32 v55, v30, v6
	v_bfe_u32 v30, v54, 5, 8
	v_lshlrev_b32_e32 v10, 3, v10
	v_bcnt_u32_b32 v31, v30, 0
	global_load_dwordx2 v[36:37], v10, s[20:21]
	v_and_b32_e32 v31, 1, v31
	v_lshlrev_b32_e32 v31, 7, v31
	v_xor_b32_e32 v30, v31, v30
	v_mul_lo_u32 v30, v30, s29
	v_and_b32_e32 v31, 0x8000000, v30
	v_lshrrev_b32_e32 v43, 8, v30
	v_lshrrev_b16_e32 v56, 1, v43
	v_cmp_ne_u16_sdwa s[34:35], v31, v15 src0_sel:BYTE_3 src1_sel:DWORD
	v_bfe_i32 v56, v56, 0, 1
	v_lshrrev_b32_e32 v57, 18, v30
	v_cndmask_b32_e64 v31, 0, -1, s[34:35]
	v_bfe_i32 v42, v54, 5, 1
	v_bfe_i32 v57, v57, 0, 1
	v_lshlrev_b16_e32 v31, 8, v31
	v_lshlrev_b16_e32 v56, 8, v56
	v_or_b32_sdwa v58, v57, v31 dst_sel:WORD_1 dst_unused:UNUSED_PAD src0_sel:BYTE_0 src1_sel:DWORD
	v_or_b32_sdwa v62, v42, v56 dst_sel:DWORD dst_unused:UNUSED_PAD src0_sel:BYTE_0 src1_sel:DWORD
	v_or_b32_sdwa v58, v62, v58 dst_sel:DWORD dst_unused:UNUSED_PAD src0_sel:WORD_0 src1_sel:DWORD
	v_xor_b32_e32 v40, v40, v58
	v_and_b32_e32 v58, 0xffffff00, v40
	v_sub_i16 v56, v58, v56 clamp
	v_lshlrev_b16_e32 v58, 8, v40
	v_lshlrev_b16_e32 v42, 8, v42
	v_and_b32_e32 v56, 0xffffff00, v56
	v_sub_i16 v42, v58, v42 clamp
	v_or_b32_sdwa v42, v42, v56 dst_sel:DWORD dst_unused:UNUSED_PAD src0_sel:BYTE_1 src1_sel:DWORD
	v_and_b32_sdwa v56, v40, s30 dst_sel:DWORD dst_unused:UNUSED_PAD src0_sel:WORD_1 src1_sel:DWORD
	v_sub_i16 v31, v56, v31 clamp
	v_lshlrev_b16_sdwa v40, v45, v40 dst_sel:DWORD dst_unused:UNUSED_PAD src0_sel:DWORD src1_sel:WORD_1
	v_lshlrev_b16_e32 v56, 8, v57
	v_and_b32_e32 v31, 0xffffff00, v31
	v_sub_i16 v40, v40, v56 clamp
	v_or_b32_sdwa v31, v40, v31 dst_sel:WORD_1 dst_unused:UNUSED_PAD src0_sel:BYTE_1 src1_sel:DWORD
	v_bfe_i32 v40, v54, 9, 1
	v_or_b32_sdwa v31, v42, v31 dst_sel:DWORD dst_unused:UNUSED_PAD src0_sel:WORD_0 src1_sel:DWORD
	v_dot4c_i32_i8_e32 v55, v31, v7
	v_and_b32_e32 v31, 0x80000000, v30
	v_lshrrev_b16_e32 v42, 5, v43
	v_cmp_ne_u16_sdwa s[34:35], v31, v15 src0_sel:BYTE_3 src1_sel:DWORD
	v_bfe_i32 v42, v42, 0, 1
	v_lshrrev_b32_e32 v30, 22, v30
	v_cndmask_b32_e64 v31, 0, -1, s[34:35]
	v_bfe_i32 v30, v30, 0, 1
	v_lshlrev_b16_e32 v31, 8, v31
	v_lshlrev_b16_e32 v42, 8, v42
	v_or_b32_sdwa v43, v30, v31 dst_sel:WORD_1 dst_unused:UNUSED_PAD src0_sel:BYTE_0 src1_sel:DWORD
	v_or_b32_sdwa v56, v40, v42 dst_sel:DWORD dst_unused:UNUSED_PAD src0_sel:BYTE_0 src1_sel:DWORD
	v_or_b32_sdwa v43, v56, v43 dst_sel:DWORD dst_unused:UNUSED_PAD src0_sel:WORD_0 src1_sel:DWORD
	v_xor_b32_e32 v41, v41, v43
	v_and_b32_e32 v43, 0xffffff00, v41
	v_sub_i16 v42, v43, v42 clamp
	v_lshlrev_b16_e32 v43, 8, v41
	v_lshlrev_b16_e32 v40, 8, v40
	v_and_b32_e32 v42, 0xffffff00, v42
	v_sub_i16 v40, v43, v40 clamp
	v_or_b32_sdwa v40, v40, v42 dst_sel:DWORD dst_unused:UNUSED_PAD src0_sel:BYTE_1 src1_sel:DWORD
	v_and_b32_sdwa v42, v41, s30 dst_sel:DWORD dst_unused:UNUSED_PAD src0_sel:WORD_1 src1_sel:DWORD
	v_sub_i16 v31, v42, v31 clamp
	v_lshlrev_b16_sdwa v41, v45, v41 dst_sel:DWORD dst_unused:UNUSED_PAD src0_sel:DWORD src1_sel:WORD_1
	v_lshlrev_b16_e32 v30, 8, v30
	v_and_b32_e32 v31, 0xffffff00, v31
	v_sub_i16 v30, v41, v30 clamp
	v_or_b32_sdwa v30, v30, v31 dst_sel:WORD_1 dst_unused:UNUSED_PAD src0_sel:BYTE_1 src1_sel:DWORD
	v_bfe_u32 v31, v60, 7, 8
	v_or_b32_sdwa v30, v40, v30 dst_sel:DWORD dst_unused:UNUSED_PAD src0_sel:WORD_0 src1_sel:DWORD
	v_bcnt_u32_b32 v40, v31, 0
	v_and_b32_e32 v40, 1, v40
	v_lshlrev_b32_sdwa v34, v46, v35 dst_sel:DWORD dst_unused:UNUSED_PAD src0_sel:DWORD src1_sel:BYTE_1
	global_load_dwordx2 v[34:35], v34, s[20:21]
	v_lshlrev_b32_e32 v40, 7, v40
	v_xor_b32_e32 v31, v40, v31
	v_mul_lo_u32 v31, v31, s29
	v_and_b32_e32 v40, 0x8000000, v31
	v_lshrrev_b32_e32 v41, 8, v31
	v_lshrrev_b16_e32 v42, 1, v41
	v_cmp_ne_u16_sdwa s[34:35], v40, v15 src0_sel:BYTE_3 src1_sel:DWORD
	v_bfe_i32 v42, v42, 0, 1
	v_lshrrev_b32_e32 v43, 18, v31
	v_cndmask_b32_e64 v40, 0, -1, s[34:35]
	v_bfe_i32 v9, v60, 7, 1
	v_bfe_i32 v43, v43, 0, 1
	v_lshlrev_b16_e32 v40, 8, v40
	v_lshlrev_b16_e32 v42, 8, v42
	v_or_b32_sdwa v56, v43, v40 dst_sel:WORD_1 dst_unused:UNUSED_PAD src0_sel:BYTE_0 src1_sel:DWORD
	v_or_b32_sdwa v57, v9, v42 dst_sel:DWORD dst_unused:UNUSED_PAD src0_sel:BYTE_0 src1_sel:DWORD
	v_or_b32_sdwa v56, v57, v56 dst_sel:DWORD dst_unused:UNUSED_PAD src0_sel:WORD_0 src1_sel:DWORD
	v_xor_b32_e32 v32, v32, v56
	v_and_b32_e32 v56, 0xffffff00, v32
	v_sub_i16 v42, v56, v42 clamp
	v_lshlrev_b16_e32 v56, 8, v32
	v_lshlrev_b16_e32 v9, 8, v9
	v_and_b32_e32 v42, 0xffffff00, v42
	v_sub_i16 v9, v56, v9 clamp
	v_or_b32_sdwa v9, v9, v42 dst_sel:DWORD dst_unused:UNUSED_PAD src0_sel:BYTE_1 src1_sel:DWORD
	v_and_b32_sdwa v42, v32, s30 dst_sel:DWORD dst_unused:UNUSED_PAD src0_sel:WORD_1 src1_sel:DWORD
	v_sub_i16 v40, v42, v40 clamp
	v_lshlrev_b16_sdwa v32, v45, v32 dst_sel:DWORD dst_unused:UNUSED_PAD src0_sel:DWORD src1_sel:WORD_1
	v_lshlrev_b16_e32 v42, 8, v43
	v_and_b32_e32 v40, 0xffffff00, v40
	v_sub_i16 v32, v32, v42 clamp
	v_or_b32_sdwa v32, v32, v40 dst_sel:WORD_1 dst_unused:UNUSED_PAD src0_sel:BYTE_1 src1_sel:DWORD
	v_dot4c_i32_i8_e32 v55, v30, v53
	v_or_b32_sdwa v9, v9, v32 dst_sel:DWORD dst_unused:UNUSED_PAD src0_sel:WORD_0 src1_sel:DWORD
	v_dot4c_i32_i8_e32 v59, v9, v11
	v_and_b32_e32 v9, 0x80000000, v31
	v_lshrrev_b16_e32 v32, 5, v41
	v_cmp_ne_u16_sdwa s[34:35], v9, v15 src0_sel:BYTE_3 src1_sel:DWORD
	v_bfe_i32 v32, v32, 0, 1
	v_lshrrev_b32_e32 v31, 22, v31
	v_cndmask_b32_e64 v9, 0, -1, s[34:35]
	v_bfe_i32 v11, v60, 11, 1
	v_bfe_i32 v31, v31, 0, 1
	v_lshlrev_b16_e32 v9, 8, v9
	v_lshlrev_b16_e32 v32, 8, v32
	v_or_b32_sdwa v40, v31, v9 dst_sel:WORD_1 dst_unused:UNUSED_PAD src0_sel:BYTE_0 src1_sel:DWORD
	v_or_b32_sdwa v41, v11, v32 dst_sel:DWORD dst_unused:UNUSED_PAD src0_sel:BYTE_0 src1_sel:DWORD
	v_or_b32_sdwa v40, v41, v40 dst_sel:DWORD dst_unused:UNUSED_PAD src0_sel:WORD_0 src1_sel:DWORD
	v_xor_b32_e32 v33, v33, v40
	v_and_b32_e32 v40, 0xffffff00, v33
	v_sub_i16 v32, v40, v32 clamp
	v_lshlrev_b16_e32 v40, 8, v33
	v_lshlrev_b16_e32 v11, 8, v11
	v_and_b32_e32 v32, 0xffffff00, v32
	v_sub_i16 v11, v40, v11 clamp
	v_or_b32_sdwa v11, v11, v32 dst_sel:DWORD dst_unused:UNUSED_PAD src0_sel:BYTE_1 src1_sel:DWORD
	v_and_b32_sdwa v32, v33, s30 dst_sel:DWORD dst_unused:UNUSED_PAD src0_sel:WORD_1 src1_sel:DWORD
	v_sub_i16 v9, v32, v9 clamp
	v_lshlrev_b16_sdwa v32, v45, v33 dst_sel:DWORD dst_unused:UNUSED_PAD src0_sel:DWORD src1_sel:WORD_1
	v_lshlrev_b16_e32 v31, 8, v31
	v_and_b32_e32 v9, 0xffffff00, v9
	v_sub_i16 v31, v32, v31 clamp
	v_or_b32_sdwa v9, v31, v9 dst_sel:WORD_1 dst_unused:UNUSED_PAD src0_sel:BYTE_1 src1_sel:DWORD
	s_waitcnt vmcnt(2)
	v_lshl_or_b32 v30, v61, 16, v60
	v_or_b32_sdwa v9, v11, v9 dst_sel:DWORD dst_unused:UNUSED_PAD src0_sel:WORD_0 src1_sel:DWORD
	v_dot4c_i32_i8_e32 v59, v9, v4
	v_bfe_u32 v4, v30, 14, 8
	v_bcnt_u32_b32 v9, v4, 0
	v_and_b32_e32 v9, 1, v9
	v_lshlrev_b32_e32 v9, 7, v9
	v_xor_b32_e32 v4, v9, v4
	v_mul_lo_u32 v4, v4, s29
	v_and_b32_e32 v9, 0x8000000, v4
	v_lshrrev_b32_e32 v11, 8, v4
	v_lshrrev_b16_e32 v30, 1, v11
	v_cmp_ne_u16_sdwa s[34:35], v9, v15 src0_sel:BYTE_3 src1_sel:DWORD
	v_bfe_i32 v30, v30, 0, 1
	v_lshrrev_b32_e32 v31, 18, v4
	v_cndmask_b32_e64 v9, 0, -1, s[34:35]
	v_bfe_i32 v10, v60, 14, 1
	v_bfe_i32 v31, v31, 0, 1
	v_lshlrev_b16_e32 v9, 8, v9
	v_lshlrev_b16_e32 v30, 8, v30
	v_or_b32_sdwa v32, v31, v9 dst_sel:WORD_1 dst_unused:UNUSED_PAD src0_sel:BYTE_0 src1_sel:DWORD
	v_or_b32_sdwa v33, v10, v30 dst_sel:DWORD dst_unused:UNUSED_PAD src0_sel:BYTE_0 src1_sel:DWORD
	v_or_b32_sdwa v32, v33, v32 dst_sel:DWORD dst_unused:UNUSED_PAD src0_sel:WORD_0 src1_sel:DWORD
	s_waitcnt vmcnt(1)
	v_xor_b32_e32 v32, v36, v32
	v_and_b32_e32 v33, 0xffffff00, v32
	v_sub_i16 v30, v33, v30 clamp
	v_lshlrev_b16_e32 v33, 8, v32
	v_lshlrev_b16_e32 v10, 8, v10
	v_and_b32_e32 v30, 0xffffff00, v30
	v_sub_i16 v10, v33, v10 clamp
	v_or_b32_sdwa v10, v10, v30 dst_sel:DWORD dst_unused:UNUSED_PAD src0_sel:BYTE_1 src1_sel:DWORD
	v_and_b32_sdwa v30, v32, s30 dst_sel:DWORD dst_unused:UNUSED_PAD src0_sel:WORD_1 src1_sel:DWORD
	v_sub_i16 v9, v30, v9 clamp
	v_lshlrev_b16_sdwa v30, v45, v32 dst_sel:DWORD dst_unused:UNUSED_PAD src0_sel:DWORD src1_sel:WORD_1
	v_lshlrev_b16_e32 v31, 8, v31
	v_and_b32_e32 v9, 0xffffff00, v9
	v_sub_i16 v30, v30, v31 clamp
	v_or_b32_sdwa v9, v30, v9 dst_sel:WORD_1 dst_unused:UNUSED_PAD src0_sel:BYTE_1 src1_sel:DWORD
	s_nop 0
	v_or_b32_sdwa v9, v10, v9 dst_sel:DWORD dst_unused:UNUSED_PAD src0_sel:WORD_0 src1_sel:DWORD
	v_dot4c_i32_i8_e32 v59, v9, v5
	v_and_b32_e32 v5, 0x80000000, v4
	v_lshrrev_b16_e32 v10, 5, v11
	v_cmp_ne_u16_sdwa s[34:35], v5, v15 src0_sel:BYTE_3 src1_sel:DWORD
	v_bfe_i32 v10, v10, 0, 1
	v_lshrrev_b32_e32 v4, 22, v4
	v_cndmask_b32_e64 v5, 0, -1, s[34:35]
	v_bfe_i32 v9, v61, 2, 1
	v_bfe_i32 v4, v4, 0, 1
	v_lshlrev_b16_e32 v5, 8, v5
	v_lshlrev_b16_e32 v10, 8, v10
	v_or_b32_sdwa v11, v4, v5 dst_sel:WORD_1 dst_unused:UNUSED_PAD src0_sel:BYTE_0 src1_sel:DWORD
	v_or_b32_sdwa v30, v9, v10 dst_sel:DWORD dst_unused:UNUSED_PAD src0_sel:BYTE_0 src1_sel:DWORD
	v_or_b32_sdwa v11, v30, v11 dst_sel:DWORD dst_unused:UNUSED_PAD src0_sel:WORD_0 src1_sel:DWORD
	v_xor_b32_e32 v11, v37, v11
	v_and_b32_e32 v30, 0xffffff00, v11
	v_sub_i16 v10, v30, v10 clamp
	v_lshlrev_b16_e32 v30, 8, v11
	v_lshlrev_b16_e32 v9, 8, v9
	v_and_b32_e32 v10, 0xffffff00, v10
	v_sub_i16 v9, v30, v9 clamp
	v_or_b32_sdwa v9, v9, v10 dst_sel:DWORD dst_unused:UNUSED_PAD src0_sel:BYTE_1 src1_sel:DWORD
	v_and_b32_sdwa v10, v11, s30 dst_sel:DWORD dst_unused:UNUSED_PAD src0_sel:WORD_1 src1_sel:DWORD
	v_sub_i16 v5, v10, v5 clamp
	v_lshlrev_b16_sdwa v10, v45, v11 dst_sel:DWORD dst_unused:UNUSED_PAD src0_sel:DWORD src1_sel:WORD_1
	v_lshlrev_b16_e32 v4, 8, v4
	v_and_b32_e32 v5, 0xffffff00, v5
	v_sub_i16 v4, v10, v4 clamp
	v_or_b32_sdwa v4, v4, v5 dst_sel:WORD_1 dst_unused:UNUSED_PAD src0_sel:BYTE_1 src1_sel:DWORD
	s_nop 0
	v_or_b32_sdwa v4, v9, v4 dst_sel:DWORD dst_unused:UNUSED_PAD src0_sel:WORD_0 src1_sel:DWORD
	v_dot4c_i32_i8_e32 v59, v4, v6
	v_bfe_u32 v4, v61, 5, 8
	v_bcnt_u32_b32 v5, v4, 0
	v_and_b32_e32 v5, 1, v5
	v_lshlrev_b32_e32 v5, 7, v5
	v_xor_b32_e32 v4, v5, v4
	v_mul_lo_u32 v4, v4, s29
	v_and_b32_e32 v5, 0x8000000, v4
	v_lshrrev_b32_e32 v9, 8, v4
	v_lshrrev_b16_e32 v10, 1, v9
	v_cmp_ne_u16_sdwa s[34:35], v5, v15 src0_sel:BYTE_3 src1_sel:DWORD
	v_bfe_i32 v10, v10, 0, 1
	v_lshrrev_b32_e32 v11, 18, v4
	v_cndmask_b32_e64 v5, 0, -1, s[34:35]
	v_bfe_i32 v6, v61, 5, 1
	v_bfe_i32 v11, v11, 0, 1
	v_lshlrev_b16_e32 v5, 8, v5
	v_lshlrev_b16_e32 v10, 8, v10
	v_or_b32_sdwa v30, v11, v5 dst_sel:WORD_1 dst_unused:UNUSED_PAD src0_sel:BYTE_0 src1_sel:DWORD
	v_or_b32_sdwa v31, v6, v10 dst_sel:DWORD dst_unused:UNUSED_PAD src0_sel:BYTE_0 src1_sel:DWORD
	v_or_b32_sdwa v30, v31, v30 dst_sel:DWORD dst_unused:UNUSED_PAD src0_sel:WORD_0 src1_sel:DWORD
	s_waitcnt vmcnt(0)
	v_xor_b32_e32 v30, v34, v30
	v_and_b32_e32 v31, 0xffffff00, v30
	v_sub_i16 v10, v31, v10 clamp
	v_lshlrev_b16_e32 v31, 8, v30
	v_lshlrev_b16_e32 v6, 8, v6
	v_and_b32_e32 v10, 0xffffff00, v10
	v_sub_i16 v6, v31, v6 clamp
	v_or_b32_sdwa v6, v6, v10 dst_sel:DWORD dst_unused:UNUSED_PAD src0_sel:BYTE_1 src1_sel:DWORD
	v_and_b32_sdwa v10, v30, s30 dst_sel:DWORD dst_unused:UNUSED_PAD src0_sel:WORD_1 src1_sel:DWORD
	v_sub_i16 v5, v10, v5 clamp
	v_lshlrev_b16_sdwa v10, v45, v30 dst_sel:DWORD dst_unused:UNUSED_PAD src0_sel:DWORD src1_sel:WORD_1
	v_lshlrev_b16_e32 v11, 8, v11
	v_and_b32_e32 v5, 0xffffff00, v5
	v_sub_i16 v10, v10, v11 clamp
	v_or_b32_sdwa v5, v10, v5 dst_sel:WORD_1 dst_unused:UNUSED_PAD src0_sel:BYTE_1 src1_sel:DWORD
	s_nop 0
	v_or_b32_sdwa v5, v6, v5 dst_sel:DWORD dst_unused:UNUSED_PAD src0_sel:WORD_0 src1_sel:DWORD
	v_dot4c_i32_i8_e32 v59, v5, v7
	v_and_b32_e32 v5, 0x80000000, v4
	v_lshrrev_b16_e32 v7, 5, v9
	v_cmp_ne_u16_sdwa s[34:35], v5, v15 src0_sel:BYTE_3 src1_sel:DWORD
	v_bfe_i32 v7, v7, 0, 1
	v_lshrrev_b32_e32 v4, 22, v4
	v_cndmask_b32_e64 v5, 0, -1, s[34:35]
	v_bfe_i32 v6, v61, 9, 1
	v_bfe_i32 v4, v4, 0, 1
	v_lshlrev_b16_e32 v5, 8, v5
	v_lshlrev_b16_e32 v7, 8, v7
	v_or_b32_sdwa v9, v4, v5 dst_sel:WORD_1 dst_unused:UNUSED_PAD src0_sel:BYTE_0 src1_sel:DWORD
	v_or_b32_sdwa v10, v6, v7 dst_sel:DWORD dst_unused:UNUSED_PAD src0_sel:BYTE_0 src1_sel:DWORD
	v_or_b32_sdwa v9, v10, v9 dst_sel:DWORD dst_unused:UNUSED_PAD src0_sel:WORD_0 src1_sel:DWORD
	v_xor_b32_e32 v9, v35, v9
	v_and_b32_e32 v10, 0xffffff00, v9
	v_sub_i16 v7, v10, v7 clamp
	v_lshlrev_b16_e32 v10, 8, v9
	v_lshlrev_b16_e32 v6, 8, v6
	v_and_b32_e32 v7, 0xffffff00, v7
	v_sub_i16 v6, v10, v6 clamp
	v_or_b32_sdwa v6, v6, v7 dst_sel:DWORD dst_unused:UNUSED_PAD src0_sel:BYTE_1 src1_sel:DWORD
	v_and_b32_sdwa v7, v9, s30 dst_sel:DWORD dst_unused:UNUSED_PAD src0_sel:WORD_1 src1_sel:DWORD
	v_sub_i16 v5, v7, v5 clamp
	v_lshlrev_b16_sdwa v7, v45, v9 dst_sel:DWORD dst_unused:UNUSED_PAD src0_sel:DWORD src1_sel:WORD_1
	v_lshlrev_b16_e32 v4, 8, v4
	v_and_b32_e32 v5, 0xffffff00, v5
	v_sub_i16 v4, v7, v4 clamp
	v_or_b32_sdwa v4, v4, v5 dst_sel:WORD_1 dst_unused:UNUSED_PAD src0_sel:BYTE_1 src1_sel:DWORD
	v_lshrrev_b32_e32 v5, 11, v54
	v_or_b32_e32 v5, 1, v5
	v_or_b32_sdwa v4, v6, v4 dst_sel:DWORD dst_unused:UNUSED_PAD src0_sel:WORD_0 src1_sel:DWORD
	v_mul_lo_u32 v5, v55, v5
	v_dot4c_i32_i8_e32 v59, v4, v53
	v_lshrrev_b32_e32 v4, 11, v61
	v_ashrrev_i32_e32 v6, 31, v5
	v_or_b32_e32 v4, 1, v4
	v_lshrrev_b32_e32 v6, 29, v6
	v_mul_lo_u32 v4, v59, v4
	v_add_u32_e32 v5, v5, v6
	v_ashrrev_i32_e32 v6, 3, v5
	v_ashrrev_i32_e32 v5, 31, v4
	v_lshrrev_b32_e32 v5, 29, v5
	v_add_u32_e32 v4, v4, v5
	v_ashrrev_i32_e32 v7, 3, v4
	v_cvt_f32_i32_e32 v7, v7
	v_cvt_f32_i32_e32 v6, v6
	v_pk_mul_f32 v[4:5], v[8:9], v[38:39] op_sel_hi:[0,1]
	v_mov_b32_e32 v53, 0
	v_pk_fma_f32 v[2:3], v[4:5], v[6:7], v[2:3]
	scratch_store_dwordx4 off, v[0:3], off
	s_nop 1
	v_add_u32_e32 v0, s22, v44
	v_mad_u64_u32 v[0:1], s[34:35], v0, 36, s[24:25]
	v_mad_u64_u32 v[8:9], s[34:35], v16, 36, v[0:1]
	global_load_dword v30, v[8:9], off offset:32
	global_load_dwordx4 v[0:3], v[8:9], off offset:16
	global_load_dwordx4 v[4:7], v[8:9], off
	global_load_ushort v35, v[28:29], off offset:2
	global_load_ushort v10, v[28:29], off offset:6
	s_waitcnt vmcnt(1)
	v_and_b32_sdwa v8, s28, v35 dst_sel:DWORD dst_unused:UNUSED_PAD src0_sel:DWORD src1_sel:BYTE_0
	v_lshlrev_b32_e32 v8, 3, v8
	global_load_dwordx2 v[8:9], v8, s[20:21]
	s_waitcnt vmcnt(1)
	v_and_b32_e32 v34, 0xffff, v10
	v_and_b32_e32 v11, 0xff, v34
	v_bcnt_u32_b32 v31, v11, 0
	v_and_b32_e32 v31, 1, v31
	v_lshlrev_b32_e32 v31, 7, v31
	v_xor_b32_e32 v11, v31, v11
	v_mul_lo_u32 v11, v11, s29
	v_and_b32_e32 v31, 0x8000000, v11
	v_lshrrev_b32_e32 v32, 8, v11
	v_lshrrev_b16_e32 v33, 1, v32
	v_cmp_ne_u16_sdwa s[34:35], v31, v15 src0_sel:BYTE_3 src1_sel:DWORD
	v_and_b32_e32 v10, 1, v10
	v_bfe_i32 v33, v33, 0, 1
	v_lshrrev_b32_e32 v36, 18, v11
	v_cndmask_b32_e64 v31, 0, -1, s[34:35]
	v_sub_u16_e32 v10, 0, v10
	v_bfe_i32 v36, v36, 0, 1
	v_lshlrev_b16_e32 v31, 8, v31
	v_lshlrev_b16_e32 v33, 8, v33
	v_or_b32_sdwa v37, v36, v31 dst_sel:WORD_1 dst_unused:UNUSED_PAD src0_sel:BYTE_0 src1_sel:DWORD
	v_or_b32_sdwa v38, v10, v33 dst_sel:DWORD dst_unused:UNUSED_PAD src0_sel:BYTE_0 src1_sel:DWORD
	v_or_b32_sdwa v37, v38, v37 dst_sel:DWORD dst_unused:UNUSED_PAD src0_sel:WORD_0 src1_sel:DWORD
	v_lshlrev_b16_e32 v10, 8, v10
	v_lshrrev_b16_e32 v32, 5, v32
	v_bfe_i32 v32, v32, 0, 1
	v_lshlrev_b16_e32 v32, 8, v32
	v_cvt_f32_f16_e32 v4, v4
	s_waitcnt vmcnt(0)
	v_xor_b32_e32 v8, v8, v37
	v_and_b32_e32 v37, 0xffffff00, v8
	v_sub_i16 v33, v37, v33 clamp
	v_lshlrev_b16_e32 v37, 8, v8
	v_and_b32_e32 v33, 0xffffff00, v33
	v_sub_i16 v10, v37, v10 clamp
	v_or_b32_sdwa v10, v10, v33 dst_sel:DWORD dst_unused:UNUSED_PAD src0_sel:BYTE_1 src1_sel:DWORD
	v_and_b32_sdwa v33, v8, s30 dst_sel:DWORD dst_unused:UNUSED_PAD src0_sel:WORD_1 src1_sel:DWORD
	v_sub_i16 v31, v33, v31 clamp
	v_lshlrev_b16_sdwa v8, v45, v8 dst_sel:DWORD dst_unused:UNUSED_PAD src0_sel:DWORD src1_sel:WORD_1
	v_lshlrev_b16_e32 v33, 8, v36
	v_and_b32_e32 v31, 0xffffff00, v31
	v_sub_i16 v8, v8, v33 clamp
	v_or_b32_sdwa v8, v8, v31 dst_sel:WORD_1 dst_unused:UNUSED_PAD src0_sel:BYTE_1 src1_sel:DWORD
	v_bfe_i32 v31, v34, 4, 1
	v_or_b32_sdwa v10, v10, v8 dst_sel:DWORD dst_unused:UNUSED_PAD src0_sel:WORD_0 src1_sel:DWORD
	v_and_b32_e32 v8, 0x80000000, v11
	v_cmp_ne_u16_sdwa s[34:35], v8, v15 src0_sel:BYTE_3 src1_sel:DWORD
	v_lshrrev_b32_e32 v11, 22, v11
	v_bfe_i32 v11, v11, 0, 1
	v_cndmask_b32_e64 v8, 0, -1, s[34:35]
	v_lshlrev_b16_e32 v8, 8, v8
	v_or_b32_sdwa v33, v11, v8 dst_sel:WORD_1 dst_unused:UNUSED_PAD src0_sel:BYTE_0 src1_sel:DWORD
	v_or_b32_sdwa v36, v31, v32 dst_sel:DWORD dst_unused:UNUSED_PAD src0_sel:BYTE_0 src1_sel:DWORD
	v_or_b32_sdwa v33, v36, v33 dst_sel:DWORD dst_unused:UNUSED_PAD src0_sel:WORD_0 src1_sel:DWORD
	v_xor_b32_e32 v9, v9, v33
	v_and_b32_e32 v33, 0xffffff00, v9
	v_sub_i16 v32, v33, v32 clamp
	v_lshlrev_b16_e32 v33, 8, v9
	v_lshlrev_b16_e32 v31, 8, v31
	v_and_b32_e32 v32, 0xffffff00, v32
	v_sub_i16 v31, v33, v31 clamp
	v_or_b32_sdwa v31, v31, v32 dst_sel:DWORD dst_unused:UNUSED_PAD src0_sel:BYTE_1 src1_sel:DWORD
	v_and_b32_sdwa v32, v9, s30 dst_sel:DWORD dst_unused:UNUSED_PAD src0_sel:WORD_1 src1_sel:DWORD
	v_sub_i16 v8, v32, v8 clamp
	v_lshlrev_b16_sdwa v9, v45, v9 dst_sel:DWORD dst_unused:UNUSED_PAD src0_sel:DWORD src1_sel:WORD_1
	v_lshlrev_b16_e32 v11, 8, v11
	v_and_b32_e32 v8, 0xffffff00, v8
	v_sub_i16 v9, v9, v11 clamp
	v_or_b32_sdwa v8, v9, v8 dst_sel:WORD_1 dst_unused:UNUSED_PAD src0_sel:BYTE_1 src1_sel:DWORD
	v_dot4c_i32_i8_e32 v53, v10, v5
	v_or_b32_sdwa v11, v31, v8 dst_sel:DWORD dst_unused:UNUSED_PAD src0_sel:WORD_0 src1_sel:DWORD
	global_load_ushort v33, v[26:27], off offset:2
	global_load_ushort v31, v[26:27], off offset:6
	v_dot4c_i32_i8_e32 v53, v11, v6
	global_load_ushort v72, v[28:29], off offset:8
	s_waitcnt vmcnt(2)
	v_and_b32_sdwa v8, s28, v33 dst_sel:DWORD dst_unused:UNUSED_PAD src0_sel:DWORD src1_sel:BYTE_0
	v_lshlrev_b32_e32 v8, 3, v8
	global_load_dwordx2 v[8:9], v8, s[20:21]
	s_waitcnt vmcnt(2)
	v_and_b32_e32 v32, 0xffff, v31
	v_and_b32_e32 v36, 0xff, v32
	v_bcnt_u32_b32 v37, v36, 0
	v_and_b32_e32 v37, 1, v37
	v_lshlrev_b32_e32 v37, 7, v37
	v_xor_b32_e32 v36, v37, v36
	v_mul_lo_u32 v36, v36, s29
	v_and_b32_e32 v37, 0x8000000, v36
	v_lshrrev_b32_e32 v39, 8, v36
	v_lshrrev_b16_e32 v38, 1, v39
	v_cmp_ne_u16_sdwa s[34:35], v37, v15 src0_sel:BYTE_3 src1_sel:DWORD
	v_and_b32_e32 v31, 1, v31
	v_bfe_i32 v38, v38, 0, 1
	v_lshrrev_b32_e32 v40, 18, v36
	v_cndmask_b32_e64 v37, 0, -1, s[34:35]
	v_sub_u16_e32 v31, 0, v31
	v_bfe_i32 v40, v40, 0, 1
	v_lshlrev_b16_e32 v37, 8, v37
	v_lshlrev_b16_e32 v38, 8, v38
	v_or_b32_sdwa v41, v40, v37 dst_sel:WORD_1 dst_unused:UNUSED_PAD src0_sel:BYTE_0 src1_sel:DWORD
	v_or_b32_sdwa v42, v31, v38 dst_sel:DWORD dst_unused:UNUSED_PAD src0_sel:BYTE_0 src1_sel:DWORD
	v_or_b32_sdwa v41, v42, v41 dst_sel:DWORD dst_unused:UNUSED_PAD src0_sel:WORD_0 src1_sel:DWORD
	v_lshlrev_b16_e32 v31, 8, v31
	s_waitcnt vmcnt(1)
	v_lshlrev_b32_e32 v70, 16, v72
	v_bfe_i32 v58, v72, 2, 1
	v_lshlrev_b16_e32 v57, 8, v58
	s_waitcnt vmcnt(0)
	v_xor_b32_e32 v8, v8, v41
	v_and_b32_e32 v41, 0xffffff00, v8
	v_sub_i16 v38, v41, v38 clamp
	v_lshlrev_b16_e32 v41, 8, v8
	v_and_b32_e32 v38, 0xffffff00, v38
	v_sub_i16 v31, v41, v31 clamp
	v_or_b32_sdwa v31, v31, v38 dst_sel:DWORD dst_unused:UNUSED_PAD src0_sel:BYTE_1 src1_sel:DWORD
	v_and_b32_sdwa v38, v8, s30 dst_sel:DWORD dst_unused:UNUSED_PAD src0_sel:WORD_1 src1_sel:DWORD
	v_sub_i16 v37, v38, v37 clamp
	v_lshlrev_b16_sdwa v8, v45, v8 dst_sel:DWORD dst_unused:UNUSED_PAD src0_sel:DWORD src1_sel:WORD_1
	v_lshlrev_b16_e32 v38, 8, v40
	v_and_b32_e32 v37, 0xffffff00, v37
	v_sub_i16 v8, v8, v38 clamp
	v_or_b32_sdwa v8, v8, v37 dst_sel:WORD_1 dst_unused:UNUSED_PAD src0_sel:BYTE_1 src1_sel:DWORD
	v_mov_b32_e32 v38, 0
	v_or_b32_sdwa v31, v31, v8 dst_sel:DWORD dst_unused:UNUSED_PAD src0_sel:WORD_0 src1_sel:DWORD
	v_dot4c_i32_i8_e32 v38, v31, v5
	v_and_b32_e32 v5, 0x80000000, v36
	v_lshrrev_b16_e32 v37, 5, v39
	v_cmp_ne_u16_sdwa s[34:35], v5, v15 src0_sel:BYTE_3 src1_sel:DWORD
	v_bfe_i32 v37, v37, 0, 1
	v_lshrrev_b32_e32 v36, 22, v36
	v_cndmask_b32_e64 v5, 0, -1, s[34:35]
	v_bfe_i32 v8, v32, 4, 1
	v_bfe_i32 v36, v36, 0, 1
	v_lshlrev_b16_e32 v5, 8, v5
	v_lshlrev_b16_e32 v37, 8, v37
	v_or_b32_sdwa v39, v36, v5 dst_sel:WORD_1 dst_unused:UNUSED_PAD src0_sel:BYTE_0 src1_sel:DWORD
	v_or_b32_sdwa v40, v8, v37 dst_sel:DWORD dst_unused:UNUSED_PAD src0_sel:BYTE_0 src1_sel:DWORD
	v_or_b32_sdwa v39, v40, v39 dst_sel:DWORD dst_unused:UNUSED_PAD src0_sel:WORD_0 src1_sel:DWORD
	v_xor_b32_e32 v9, v9, v39
	v_and_b32_e32 v39, 0xffffff00, v9
	v_sub_i16 v37, v39, v37 clamp
	v_lshlrev_b16_e32 v39, 8, v9
	v_lshlrev_b16_e32 v8, 8, v8
	v_and_b32_e32 v37, 0xffffff00, v37
	v_sub_i16 v8, v39, v8 clamp
	v_or_b32_sdwa v8, v8, v37 dst_sel:DWORD dst_unused:UNUSED_PAD src0_sel:BYTE_1 src1_sel:DWORD
	v_and_b32_sdwa v37, v9, s30 dst_sel:DWORD dst_unused:UNUSED_PAD src0_sel:WORD_1 src1_sel:DWORD
	v_sub_i16 v5, v37, v5 clamp
	v_lshlrev_b16_sdwa v9, v45, v9 dst_sel:DWORD dst_unused:UNUSED_PAD src0_sel:DWORD src1_sel:WORD_1
	v_lshlrev_b16_e32 v36, 8, v36
	v_and_b32_e32 v5, 0xffffff00, v5
	v_sub_i16 v9, v9, v36 clamp
	v_or_b32_sdwa v5, v9, v5 dst_sel:WORD_1 dst_unused:UNUSED_PAD src0_sel:BYTE_1 src1_sel:DWORD
	s_nop 0
	v_or_b32_sdwa v5, v8, v5 dst_sel:DWORD dst_unused:UNUSED_PAD src0_sel:WORD_0 src1_sel:DWORD
	v_dot4c_i32_i8_e32 v38, v5, v6
	v_lshlrev_b32_sdwa v6, v46, v35 dst_sel:DWORD dst_unused:UNUSED_PAD src0_sel:DWORD src1_sel:BYTE_1
	global_load_dwordx2 v[8:9], v6, s[20:21]
	v_bfe_u32 v35, v34, 7, 8
	v_bcnt_u32_b32 v36, v35, 0
	v_and_b32_e32 v36, 1, v36
	v_lshlrev_b32_e32 v36, 7, v36
	v_xor_b32_e32 v35, v36, v35
	v_mul_lo_u32 v35, v35, s29
	v_and_b32_e32 v36, 0x8000000, v35
	v_lshrrev_b32_e32 v37, 8, v35
	v_lshrrev_b16_e32 v39, 1, v37
	v_cmp_ne_u16_sdwa s[34:35], v36, v15 src0_sel:BYTE_3 src1_sel:DWORD
	v_bfe_i32 v39, v39, 0, 1
	v_lshrrev_b32_e32 v40, 18, v35
	v_cndmask_b32_e64 v36, 0, -1, s[34:35]
	v_bfe_i32 v6, v34, 7, 1
	v_bfe_i32 v40, v40, 0, 1
	v_lshlrev_b16_e32 v36, 8, v36
	v_lshlrev_b16_e32 v39, 8, v39
	v_or_b32_sdwa v41, v40, v36 dst_sel:WORD_1 dst_unused:UNUSED_PAD src0_sel:BYTE_0 src1_sel:DWORD
	v_or_b32_sdwa v42, v6, v39 dst_sel:DWORD dst_unused:UNUSED_PAD src0_sel:BYTE_0 src1_sel:DWORD
	v_or_b32_sdwa v41, v42, v41 dst_sel:DWORD dst_unused:UNUSED_PAD src0_sel:WORD_0 src1_sel:DWORD
	v_lshlrev_b16_e32 v6, 8, v6
	v_lshrrev_b16_e32 v37, 5, v37
	v_bfe_i32 v37, v37, 0, 1
	v_lshlrev_b16_e32 v37, 8, v37
	s_waitcnt vmcnt(0)
	v_xor_b32_e32 v8, v8, v41
	v_and_b32_e32 v41, 0xffffff00, v8
	v_sub_i16 v39, v41, v39 clamp
	v_lshlrev_b16_e32 v41, 8, v8
	v_and_b32_e32 v39, 0xffffff00, v39
	v_sub_i16 v6, v41, v6 clamp
	v_or_b32_sdwa v6, v6, v39 dst_sel:DWORD dst_unused:UNUSED_PAD src0_sel:BYTE_1 src1_sel:DWORD
	v_and_b32_sdwa v39, v8, s30 dst_sel:DWORD dst_unused:UNUSED_PAD src0_sel:WORD_1 src1_sel:DWORD
	v_sub_i16 v36, v39, v36 clamp
	v_lshlrev_b16_sdwa v8, v45, v8 dst_sel:DWORD dst_unused:UNUSED_PAD src0_sel:DWORD src1_sel:WORD_1
	v_lshlrev_b16_e32 v39, 8, v40
	v_and_b32_e32 v36, 0xffffff00, v36
	v_sub_i16 v8, v8, v39 clamp
	v_or_b32_sdwa v8, v8, v36 dst_sel:WORD_1 dst_unused:UNUSED_PAD src0_sel:BYTE_1 src1_sel:DWORD
	v_bfe_i32 v36, v34, 11, 1
	v_or_b32_sdwa v6, v6, v8 dst_sel:DWORD dst_unused:UNUSED_PAD src0_sel:WORD_0 src1_sel:DWORD
	v_and_b32_e32 v8, 0x80000000, v35
	v_cmp_ne_u16_sdwa s[34:35], v8, v15 src0_sel:BYTE_3 src1_sel:DWORD
	v_lshrrev_b32_e32 v35, 22, v35
	v_bfe_i32 v35, v35, 0, 1
	v_cndmask_b32_e64 v8, 0, -1, s[34:35]
	v_lshlrev_b16_e32 v8, 8, v8
	v_or_b32_sdwa v39, v35, v8 dst_sel:WORD_1 dst_unused:UNUSED_PAD src0_sel:BYTE_0 src1_sel:DWORD
	v_or_b32_sdwa v40, v36, v37 dst_sel:DWORD dst_unused:UNUSED_PAD src0_sel:BYTE_0 src1_sel:DWORD
	v_or_b32_sdwa v39, v40, v39 dst_sel:DWORD dst_unused:UNUSED_PAD src0_sel:WORD_0 src1_sel:DWORD
	v_xor_b32_e32 v9, v9, v39
	v_and_b32_e32 v39, 0xffffff00, v9
	v_sub_i16 v37, v39, v37 clamp
	v_lshlrev_b16_e32 v39, 8, v9
	v_lshlrev_b16_e32 v36, 8, v36
	v_and_b32_e32 v37, 0xffffff00, v37
	v_sub_i16 v36, v39, v36 clamp
	v_or_b32_sdwa v36, v36, v37 dst_sel:DWORD dst_unused:UNUSED_PAD src0_sel:BYTE_1 src1_sel:DWORD
	v_and_b32_sdwa v37, v9, s30 dst_sel:DWORD dst_unused:UNUSED_PAD src0_sel:WORD_1 src1_sel:DWORD
	v_lshlrev_b16_sdwa v9, v45, v9 dst_sel:DWORD dst_unused:UNUSED_PAD src0_sel:DWORD src1_sel:WORD_1
	v_lshlrev_b16_e32 v35, 8, v35
	v_sub_i16 v9, v9, v35 clamp
	global_load_ushort v35, v[28:29], off offset:4
	v_sub_i16 v8, v37, v8 clamp
	v_and_b32_e32 v8, 0xffffff00, v8
	v_or_b32_sdwa v8, v9, v8 dst_sel:WORD_1 dst_unused:UNUSED_PAD src0_sel:BYTE_1 src1_sel:DWORD
	v_or_b32_e32 v28, v70, v34
	v_or_b32_sdwa v54, v36, v8 dst_sel:DWORD dst_unused:UNUSED_PAD src0_sel:WORD_0 src1_sel:DWORD
	v_bfe_u32 v28, v28, 14, 8
	v_bcnt_u32_b32 v29, v28, 0
	v_and_b32_e32 v29, 1, v29
	v_lshlrev_b32_e32 v29, 7, v29
	v_xor_b32_e32 v28, v29, v28
	v_mul_lo_u32 v29, v28, s29
	v_bfe_i32 v36, v34, 14, 1
	v_and_b32_e32 v28, 0x8000000, v29
	v_lshrrev_b32_e32 v34, 8, v29
	v_lshrrev_b16_e32 v37, 1, v34
	v_cmp_ne_u16_sdwa s[34:35], v28, v15 src0_sel:BYTE_3 src1_sel:DWORD
	v_bfe_i32 v37, v37, 0, 1
	v_lshrrev_b32_e32 v39, 18, v29
	v_cndmask_b32_e64 v28, 0, -1, s[34:35]
	v_bfe_i32 v39, v39, 0, 1
	v_lshlrev_b16_e32 v28, 8, v28
	v_lshlrev_b16_e32 v37, 8, v37
	v_or_b32_sdwa v40, v39, v28 dst_sel:WORD_1 dst_unused:UNUSED_PAD src0_sel:BYTE_0 src1_sel:DWORD
	v_or_b32_sdwa v41, v36, v37 dst_sel:DWORD dst_unused:UNUSED_PAD src0_sel:BYTE_0 src1_sel:DWORD
	v_or_b32_sdwa v40, v41, v40 dst_sel:DWORD dst_unused:UNUSED_PAD src0_sel:WORD_0 src1_sel:DWORD
	v_lshlrev_b16_e32 v36, 8, v36
	v_lshrrev_b16_e32 v34, 5, v34
	v_bfe_i32 v34, v34, 0, 1
	v_lshlrev_b16_e32 v34, 8, v34
	v_dot4c_i32_i8_e32 v53, v6, v7
	v_dot4c_i32_i8_e32 v53, v54, v0
	s_waitcnt vmcnt(0)
	v_and_b32_sdwa v8, s28, v35 dst_sel:DWORD dst_unused:UNUSED_PAD src0_sel:DWORD src1_sel:BYTE_0
	v_lshlrev_b32_e32 v8, 3, v8
	global_load_dwordx2 v[8:9], v8, s[20:21]
	s_waitcnt vmcnt(0)
	v_xor_b32_e32 v8, v8, v40
	v_and_b32_e32 v40, 0xffffff00, v8
	v_sub_i16 v37, v40, v37 clamp
	v_lshlrev_b16_e32 v40, 8, v8
	v_and_b32_e32 v37, 0xffffff00, v37
	v_sub_i16 v36, v40, v36 clamp
	v_or_b32_sdwa v36, v36, v37 dst_sel:DWORD dst_unused:UNUSED_PAD src0_sel:BYTE_1 src1_sel:DWORD
	v_and_b32_sdwa v37, v8, s30 dst_sel:DWORD dst_unused:UNUSED_PAD src0_sel:WORD_1 src1_sel:DWORD
	v_sub_i16 v28, v37, v28 clamp
	v_lshlrev_b16_sdwa v8, v45, v8 dst_sel:DWORD dst_unused:UNUSED_PAD src0_sel:DWORD src1_sel:WORD_1
	v_lshlrev_b16_e32 v37, 8, v39
	v_and_b32_e32 v28, 0xffffff00, v28
	v_sub_i16 v8, v8, v37 clamp
	v_or_b32_sdwa v8, v8, v28 dst_sel:WORD_1 dst_unused:UNUSED_PAD src0_sel:BYTE_1 src1_sel:DWORD
	v_or_b32_sdwa v37, v58, v34 dst_sel:DWORD dst_unused:UNUSED_PAD src0_sel:BYTE_0 src1_sel:DWORD
	v_or_b32_sdwa v28, v36, v8 dst_sel:DWORD dst_unused:UNUSED_PAD src0_sel:WORD_0 src1_sel:DWORD
	v_and_b32_e32 v8, 0x80000000, v29
	v_cmp_ne_u16_sdwa s[34:35], v8, v15 src0_sel:BYTE_3 src1_sel:DWORD
	v_lshrrev_b32_e32 v29, 22, v29
	v_bfe_i32 v29, v29, 0, 1
	v_cndmask_b32_e64 v8, 0, -1, s[34:35]
	v_lshlrev_b16_e32 v8, 8, v8
	v_or_b32_sdwa v36, v29, v8 dst_sel:WORD_1 dst_unused:UNUSED_PAD src0_sel:BYTE_0 src1_sel:DWORD
	v_lshlrev_b16_e32 v29, 8, v29
	v_or_b32_sdwa v36, v37, v36 dst_sel:DWORD dst_unused:UNUSED_PAD src0_sel:WORD_0 src1_sel:DWORD
	v_xor_b32_e32 v9, v9, v36
	v_and_b32_e32 v36, 0xffffff00, v9
	v_sub_i16 v34, v36, v34 clamp
	v_lshlrev_b16_e32 v36, 8, v9
	v_and_b32_e32 v34, 0xffffff00, v34
	v_sub_i16 v36, v36, v57 clamp
	v_or_b32_sdwa v34, v36, v34 dst_sel:DWORD dst_unused:UNUSED_PAD src0_sel:BYTE_1 src1_sel:DWORD
	v_and_b32_sdwa v36, v9, s30 dst_sel:DWORD dst_unused:UNUSED_PAD src0_sel:WORD_1 src1_sel:DWORD
	v_sub_i16 v8, v36, v8 clamp
	v_lshlrev_b16_sdwa v9, v45, v9 dst_sel:DWORD dst_unused:UNUSED_PAD src0_sel:DWORD src1_sel:WORD_1
	v_and_b32_e32 v8, 0xffffff00, v8
	v_sub_i16 v9, v9, v29 clamp
	v_or_b32_sdwa v8, v9, v8 dst_sel:WORD_1 dst_unused:UNUSED_PAD src0_sel:BYTE_1 src1_sel:DWORD
	v_bfe_i32 v36, v72, 5, 1
	v_or_b32_sdwa v29, v34, v8 dst_sel:DWORD dst_unused:UNUSED_PAD src0_sel:WORD_0 src1_sel:DWORD
	v_lshlrev_b32_sdwa v8, v46, v35 dst_sel:DWORD dst_unused:UNUSED_PAD src0_sel:DWORD src1_sel:BYTE_1
	global_load_dwordx2 v[8:9], v8, s[20:21]
	v_bfe_u32 v34, v72, 5, 8
	v_bcnt_u32_b32 v35, v34, 0
	v_and_b32_e32 v35, 1, v35
	v_lshlrev_b32_e32 v35, 7, v35
	v_xor_b32_e32 v34, v35, v34
	v_mul_lo_u32 v34, v34, s29
	v_and_b32_e32 v35, 0x8000000, v34
	v_lshrrev_b32_e32 v37, 8, v34
	v_lshrrev_b16_e32 v39, 1, v37
	v_cmp_ne_u16_sdwa s[34:35], v35, v15 src0_sel:BYTE_3 src1_sel:DWORD
	v_bfe_i32 v39, v39, 0, 1
	v_lshrrev_b32_e32 v40, 18, v34
	v_cndmask_b32_e64 v35, 0, -1, s[34:35]
	v_bfe_i32 v40, v40, 0, 1
	v_lshlrev_b16_e32 v59, 8, v35
	v_lshlrev_b16_e32 v60, 8, v39
	v_or_b32_sdwa v35, v40, v59 dst_sel:WORD_1 dst_unused:UNUSED_PAD src0_sel:BYTE_0 src1_sel:DWORD
	v_or_b32_sdwa v39, v36, v60 dst_sel:DWORD dst_unused:UNUSED_PAD src0_sel:BYTE_0 src1_sel:DWORD
	v_or_b32_sdwa v61, v39, v35 dst_sel:DWORD dst_unused:UNUSED_PAD src0_sel:WORD_0 src1_sel:DWORD
	v_lshlrev_b16_e32 v62, 8, v36
	v_lshlrev_b16_e32 v63, 8, v40
	v_dot4c_i32_i8_e32 v53, v28, v1
	v_dot4c_i32_i8_e32 v53, v29, v2
	s_waitcnt vmcnt(0)
	v_xor_b32_e32 v8, v8, v61
	v_and_b32_e32 v35, 0xffffff00, v8
	v_sub_i16 v35, v35, v60 clamp
	v_lshlrev_b16_e32 v39, 8, v8
	v_and_b32_e32 v35, 0xffffff00, v35
	v_sub_i16 v36, v39, v62 clamp
	v_or_b32_sdwa v35, v36, v35 dst_sel:DWORD dst_unused:UNUSED_PAD src0_sel:BYTE_1 src1_sel:DWORD
	v_and_b32_sdwa v36, v8, s30 dst_sel:DWORD dst_unused:UNUSED_PAD src0_sel:WORD_1 src1_sel:DWORD
	v_sub_i16 v36, v36, v59 clamp
	v_lshlrev_b16_sdwa v8, v45, v8 dst_sel:DWORD dst_unused:UNUSED_PAD src0_sel:DWORD src1_sel:WORD_1
	v_and_b32_e32 v36, 0xffffff00, v36
	v_sub_i16 v8, v8, v63 clamp
	v_or_b32_sdwa v8, v8, v36 dst_sel:WORD_1 dst_unused:UNUSED_PAD src0_sel:BYTE_1 src1_sel:DWORD
	v_lshrrev_b16_e32 v36, 5, v37
	v_or_b32_sdwa v71, v35, v8 dst_sel:DWORD dst_unused:UNUSED_PAD src0_sel:WORD_0 src1_sel:DWORD
	v_and_b32_e32 v8, 0x80000000, v34
	v_cmp_ne_u16_sdwa s[34:35], v8, v15 src0_sel:BYTE_3 src1_sel:DWORD
	v_bfe_i32 v36, v36, 0, 1
	v_lshrrev_b32_e32 v34, 22, v34
	v_cndmask_b32_e64 v8, 0, -1, s[34:35]
	v_bfe_i32 v35, v72, 9, 1
	v_bfe_i32 v34, v34, 0, 1
	v_lshlrev_b16_e32 v64, 8, v8
	v_lshlrev_b16_e32 v65, 8, v36
	v_or_b32_sdwa v8, v34, v64 dst_sel:WORD_1 dst_unused:UNUSED_PAD src0_sel:BYTE_0 src1_sel:DWORD
	v_or_b32_sdwa v36, v35, v65 dst_sel:DWORD dst_unused:UNUSED_PAD src0_sel:BYTE_0 src1_sel:DWORD
	v_or_b32_sdwa v66, v36, v8 dst_sel:DWORD dst_unused:UNUSED_PAD src0_sel:WORD_0 src1_sel:DWORD
	v_xor_b32_e32 v8, v9, v66
	v_and_b32_e32 v9, 0xffffff00, v8
	v_sub_i16 v9, v9, v65 clamp
	v_lshlrev_b16_e32 v36, 8, v8
	v_lshlrev_b16_e32 v67, 8, v35
	v_and_b32_e32 v9, 0xffffff00, v9
	v_sub_i16 v35, v36, v67 clamp
	v_or_b32_sdwa v9, v35, v9 dst_sel:DWORD dst_unused:UNUSED_PAD src0_sel:BYTE_1 src1_sel:DWORD
	v_and_b32_sdwa v35, v8, s30 dst_sel:DWORD dst_unused:UNUSED_PAD src0_sel:WORD_1 src1_sel:DWORD
	v_sub_i16 v35, v35, v64 clamp
	v_lshlrev_b16_sdwa v8, v45, v8 dst_sel:DWORD dst_unused:UNUSED_PAD src0_sel:DWORD src1_sel:WORD_1
	v_lshlrev_b16_e32 v68, 8, v34
	v_and_b32_e32 v35, 0xffffff00, v35
	v_sub_i16 v8, v8, v68 clamp
	v_or_b32_sdwa v8, v8, v35 dst_sel:WORD_1 dst_unused:UNUSED_PAD src0_sel:BYTE_1 src1_sel:DWORD
	v_bfe_u32 v34, v32, 7, 8
	v_or_b32_sdwa v73, v9, v8 dst_sel:DWORD dst_unused:UNUSED_PAD src0_sel:WORD_0 src1_sel:DWORD
	v_lshlrev_b32_sdwa v8, v46, v33 dst_sel:DWORD dst_unused:UNUSED_PAD src0_sel:DWORD src1_sel:BYTE_1
	global_load_dwordx2 v[8:9], v8, s[20:21]
	v_bcnt_u32_b32 v35, v34, 0
	v_and_b32_e32 v35, 1, v35
	v_lshlrev_b32_e32 v35, 7, v35
	v_xor_b32_e32 v34, v35, v34
	v_mul_lo_u32 v34, v34, s29
	v_and_b32_e32 v35, 0x8000000, v34
	v_lshrrev_b32_e32 v36, 8, v34
	v_lshrrev_b16_e32 v37, 1, v36
	v_cmp_ne_u16_sdwa s[34:35], v35, v15 src0_sel:BYTE_3 src1_sel:DWORD
	v_bfe_i32 v37, v37, 0, 1
	v_lshrrev_b32_e32 v39, 18, v34
	v_cndmask_b32_e64 v35, 0, -1, s[34:35]
	v_bfe_i32 v33, v32, 7, 1
	v_bfe_i32 v39, v39, 0, 1
	v_lshlrev_b16_e32 v35, 8, v35
	v_lshlrev_b16_e32 v37, 8, v37
	v_or_b32_sdwa v40, v39, v35 dst_sel:WORD_1 dst_unused:UNUSED_PAD src0_sel:BYTE_0 src1_sel:DWORD
	v_or_b32_sdwa v41, v33, v37 dst_sel:DWORD dst_unused:UNUSED_PAD src0_sel:BYTE_0 src1_sel:DWORD
	v_or_b32_sdwa v40, v41, v40 dst_sel:DWORD dst_unused:UNUSED_PAD src0_sel:WORD_0 src1_sel:DWORD
	v_lshlrev_b16_e32 v33, 8, v33
	v_dot4c_i32_i8_e32 v53, v71, v3
	v_dot4c_i32_i8_e32 v53, v73, v30
	s_waitcnt vmcnt(0)
	v_xor_b32_e32 v8, v8, v40
	v_and_b32_e32 v40, 0xffffff00, v8
	v_sub_i16 v37, v40, v37 clamp
	v_lshlrev_b16_e32 v40, 8, v8
	v_and_b32_e32 v37, 0xffffff00, v37
	v_sub_i16 v33, v40, v33 clamp
	v_or_b32_sdwa v33, v33, v37 dst_sel:DWORD dst_unused:UNUSED_PAD src0_sel:BYTE_1 src1_sel:DWORD
	v_and_b32_sdwa v37, v8, s30 dst_sel:DWORD dst_unused:UNUSED_PAD src0_sel:WORD_1 src1_sel:DWORD
	v_sub_i16 v35, v37, v35 clamp
	v_lshlrev_b16_sdwa v8, v45, v8 dst_sel:DWORD dst_unused:UNUSED_PAD src0_sel:DWORD src1_sel:WORD_1
	v_lshlrev_b16_e32 v37, 8, v39
	v_and_b32_e32 v35, 0xffffff00, v35
	v_sub_i16 v8, v8, v37 clamp
	v_or_b32_sdwa v8, v8, v35 dst_sel:WORD_1 dst_unused:UNUSED_PAD src0_sel:BYTE_1 src1_sel:DWORD
	s_nop 0
	v_or_b32_sdwa v74, v33, v8 dst_sel:DWORD dst_unused:UNUSED_PAD src0_sel:WORD_0 src1_sel:DWORD
	v_dot4c_i32_i8_e32 v38, v74, v7
	v_and_b32_e32 v7, 0x80000000, v34
	v_lshrrev_b16_e32 v33, 5, v36
	v_cmp_ne_u16_sdwa s[34:35], v7, v15 src0_sel:BYTE_3 src1_sel:DWORD
	v_bfe_i32 v33, v33, 0, 1
	v_lshrrev_b32_e32 v34, 22, v34
	v_cndmask_b32_e64 v7, 0, -1, s[34:35]
	v_bfe_i32 v8, v32, 11, 1
	v_bfe_i32 v34, v34, 0, 1
	v_lshlrev_b16_e32 v7, 8, v7
	v_lshlrev_b16_e32 v33, 8, v33
	v_or_b32_sdwa v35, v34, v7 dst_sel:WORD_1 dst_unused:UNUSED_PAD src0_sel:BYTE_0 src1_sel:DWORD
	v_or_b32_sdwa v36, v8, v33 dst_sel:DWORD dst_unused:UNUSED_PAD src0_sel:BYTE_0 src1_sel:DWORD
	v_or_b32_sdwa v35, v36, v35 dst_sel:DWORD dst_unused:UNUSED_PAD src0_sel:WORD_0 src1_sel:DWORD
	v_xor_b32_e32 v9, v9, v35
	v_and_b32_e32 v35, 0xffffff00, v9
	v_sub_i16 v33, v35, v33 clamp
	v_lshlrev_b16_e32 v35, 8, v9
	v_lshlrev_b16_e32 v8, 8, v8
	v_and_b32_e32 v33, 0xffffff00, v33
	v_sub_i16 v8, v35, v8 clamp
	v_or_b32_sdwa v8, v8, v33 dst_sel:DWORD dst_unused:UNUSED_PAD src0_sel:BYTE_1 src1_sel:DWORD
	v_and_b32_sdwa v33, v9, s30 dst_sel:DWORD dst_unused:UNUSED_PAD src0_sel:WORD_1 src1_sel:DWORD
	v_sub_i16 v7, v33, v7 clamp
	v_lshlrev_b16_sdwa v9, v45, v9 dst_sel:DWORD dst_unused:UNUSED_PAD src0_sel:DWORD src1_sel:WORD_1
	v_lshlrev_b16_e32 v33, 8, v34
	v_and_b32_e32 v7, 0xffffff00, v7
	v_sub_i16 v9, v9, v33 clamp
	v_or_b32_sdwa v7, v9, v7 dst_sel:WORD_1 dst_unused:UNUSED_PAD src0_sel:BYTE_1 src1_sel:DWORD
	v_bfe_i32 v33, v32, 14, 1
	v_or_b32_sdwa v7, v8, v7 dst_sel:DWORD dst_unused:UNUSED_PAD src0_sel:WORD_0 src1_sel:DWORD
	v_dot4c_i32_i8_e32 v38, v7, v0
	global_load_ushort v0, v[26:27], off offset:4
	s_waitcnt vmcnt(0)
	v_and_b32_sdwa v8, s28, v0 dst_sel:DWORD dst_unused:UNUSED_PAD src0_sel:DWORD src1_sel:BYTE_0
	global_load_ushort v26, v[26:27], off offset:8
	v_lshlrev_b32_e32 v8, 3, v8
	global_load_dwordx2 v[8:9], v8, s[20:21]
	v_lshlrev_b32_sdwa v0, v46, v0 dst_sel:DWORD dst_unused:UNUSED_PAD src0_sel:DWORD src1_sel:BYTE_1
	s_waitcnt vmcnt(1)
	v_lshlrev_b32_e32 v69, 16, v26
	v_or_b32_e32 v27, v69, v32
	v_bfe_u32 v27, v27, 14, 8
	v_bcnt_u32_b32 v32, v27, 0
	v_and_b32_e32 v32, 1, v32
	v_lshlrev_b32_e32 v32, 7, v32
	v_xor_b32_e32 v27, v32, v27
	v_mul_lo_u32 v27, v27, s29
	v_and_b32_e32 v32, 0x8000000, v27
	v_lshrrev_b32_e32 v34, 8, v27
	v_lshrrev_b16_e32 v35, 1, v34
	v_cmp_ne_u16_sdwa s[34:35], v32, v15 src0_sel:BYTE_3 src1_sel:DWORD
	v_bfe_i32 v35, v35, 0, 1
	v_lshrrev_b32_e32 v36, 18, v27
	v_cndmask_b32_e64 v32, 0, -1, s[34:35]
	v_bfe_i32 v36, v36, 0, 1
	v_lshlrev_b16_e32 v32, 8, v32
	v_lshlrev_b16_e32 v35, 8, v35
	v_or_b32_sdwa v37, v36, v32 dst_sel:WORD_1 dst_unused:UNUSED_PAD src0_sel:BYTE_0 src1_sel:DWORD
	v_or_b32_sdwa v39, v33, v35 dst_sel:DWORD dst_unused:UNUSED_PAD src0_sel:BYTE_0 src1_sel:DWORD
	v_or_b32_sdwa v37, v39, v37 dst_sel:DWORD dst_unused:UNUSED_PAD src0_sel:WORD_0 src1_sel:DWORD
	s_waitcnt vmcnt(0)
	v_xor_b32_e32 v8, v8, v37
	v_and_b32_e32 v37, 0xffffff00, v8
	v_sub_i16 v35, v37, v35 clamp
	v_lshlrev_b16_e32 v37, 8, v8
	v_lshlrev_b16_e32 v33, 8, v33
	v_and_b32_e32 v35, 0xffffff00, v35
	v_sub_i16 v33, v37, v33 clamp
	v_or_b32_sdwa v33, v33, v35 dst_sel:DWORD dst_unused:UNUSED_PAD src0_sel:BYTE_1 src1_sel:DWORD
	v_and_b32_sdwa v35, v8, s30 dst_sel:DWORD dst_unused:UNUSED_PAD src0_sel:WORD_1 src1_sel:DWORD
	v_sub_i16 v32, v35, v32 clamp
	v_lshlrev_b16_sdwa v8, v45, v8 dst_sel:DWORD dst_unused:UNUSED_PAD src0_sel:DWORD src1_sel:WORD_1
	v_lshlrev_b16_e32 v35, 8, v36
	v_and_b32_e32 v32, 0xffffff00, v32
	v_sub_i16 v8, v8, v35 clamp
	v_or_b32_sdwa v8, v8, v32 dst_sel:WORD_1 dst_unused:UNUSED_PAD src0_sel:BYTE_1 src1_sel:DWORD
	v_bfe_i32 v56, v26, 2, 1
	v_or_b32_sdwa v75, v33, v8 dst_sel:DWORD dst_unused:UNUSED_PAD src0_sel:WORD_0 src1_sel:DWORD
	v_dot4c_i32_i8_e32 v38, v75, v1
	v_and_b32_e32 v1, 0x80000000, v27
	v_lshrrev_b16_e32 v8, 5, v34
	v_cmp_ne_u16_sdwa s[34:35], v1, v15 src0_sel:BYTE_3 src1_sel:DWORD
	v_bfe_i32 v8, v8, 0, 1
	v_lshrrev_b32_e32 v27, 22, v27
	v_cndmask_b32_e64 v1, 0, -1, s[34:35]
	v_bfe_i32 v27, v27, 0, 1
	v_lshlrev_b16_e32 v1, 8, v1
	v_lshlrev_b16_e32 v8, 8, v8
	v_or_b32_sdwa v32, v27, v1 dst_sel:WORD_1 dst_unused:UNUSED_PAD src0_sel:BYTE_0 src1_sel:DWORD
	v_or_b32_sdwa v33, v56, v8 dst_sel:DWORD dst_unused:UNUSED_PAD src0_sel:BYTE_0 src1_sel:DWORD
	v_or_b32_sdwa v32, v33, v32 dst_sel:DWORD dst_unused:UNUSED_PAD src0_sel:WORD_0 src1_sel:DWORD
	v_xor_b32_e32 v9, v9, v32
	v_and_b32_e32 v32, 0xffffff00, v9
	v_sub_i16 v8, v32, v8 clamp
	v_lshlrev_b16_e32 v32, 8, v9
	v_lshlrev_b16_e32 v55, 8, v56
	v_and_b32_e32 v8, 0xffffff00, v8
	v_sub_i16 v32, v32, v55 clamp
	v_or_b32_sdwa v8, v32, v8 dst_sel:DWORD dst_unused:UNUSED_PAD src0_sel:BYTE_1 src1_sel:DWORD
	v_and_b32_sdwa v32, v9, s30 dst_sel:DWORD dst_unused:UNUSED_PAD src0_sel:WORD_1 src1_sel:DWORD
	v_sub_i16 v1, v32, v1 clamp
	v_lshlrev_b16_sdwa v9, v45, v9 dst_sel:DWORD dst_unused:UNUSED_PAD src0_sel:DWORD src1_sel:WORD_1
	v_lshlrev_b16_e32 v27, 8, v27
	v_and_b32_e32 v1, 0xffffff00, v1
	v_sub_i16 v9, v9, v27 clamp
	v_or_b32_sdwa v1, v9, v1 dst_sel:WORD_1 dst_unused:UNUSED_PAD src0_sel:BYTE_1 src1_sel:DWORD
	v_bfe_i32 v9, v26, 5, 1
	v_or_b32_sdwa v80, v8, v1 dst_sel:DWORD dst_unused:UNUSED_PAD src0_sel:WORD_0 src1_sel:DWORD
	global_load_dwordx2 v[0:1], v0, s[20:21]
	v_dot4c_i32_i8_e32 v38, v80, v2
	v_bfe_u32 v2, v26, 5, 8
	v_bcnt_u32_b32 v8, v2, 0
	v_and_b32_e32 v8, 1, v8
	v_lshlrev_b32_e32 v8, 7, v8
	v_xor_b32_e32 v2, v8, v2
	v_mul_lo_u32 v2, v2, s29
	v_and_b32_e32 v8, 0x8000000, v2
	v_lshrrev_b32_e32 v27, 8, v2
	v_lshrrev_b16_e32 v32, 1, v27
	v_cmp_ne_u16_sdwa s[34:35], v8, v15 src0_sel:BYTE_3 src1_sel:DWORD
	v_bfe_i32 v32, v32, 0, 1
	v_lshrrev_b32_e32 v33, 18, v2
	v_cndmask_b32_e64 v8, 0, -1, s[34:35]
	v_bfe_i32 v33, v33, 0, 1
	v_lshlrev_b16_e32 v39, 8, v8
	v_lshlrev_b16_e32 v41, 8, v32
	v_or_b32_sdwa v8, v33, v39 dst_sel:WORD_1 dst_unused:UNUSED_PAD src0_sel:BYTE_0 src1_sel:DWORD
	v_or_b32_sdwa v32, v9, v41 dst_sel:DWORD dst_unused:UNUSED_PAD src0_sel:BYTE_0 src1_sel:DWORD
	v_or_b32_sdwa v43, v32, v8 dst_sel:DWORD dst_unused:UNUSED_PAD src0_sel:WORD_0 src1_sel:DWORD
	v_lshlrev_b16_e32 v42, 8, v9
	v_lshlrev_b16_e32 v40, 8, v33
	s_waitcnt vmcnt(0)
	v_xor_b32_e32 v0, v0, v43
	v_and_b32_e32 v8, 0xffffff00, v0
	v_sub_i16 v8, v8, v41 clamp
	v_lshlrev_b16_e32 v32, 8, v0
	v_and_b32_e32 v8, 0xffffff00, v8
	v_sub_i16 v9, v32, v42 clamp
	v_or_b32_sdwa v8, v9, v8 dst_sel:DWORD dst_unused:UNUSED_PAD src0_sel:BYTE_1 src1_sel:DWORD
	v_and_b32_sdwa v9, v0, s30 dst_sel:DWORD dst_unused:UNUSED_PAD src0_sel:WORD_1 src1_sel:DWORD
	v_sub_i16 v9, v9, v39 clamp
	v_lshlrev_b16_sdwa v0, v45, v0 dst_sel:DWORD dst_unused:UNUSED_PAD src0_sel:DWORD src1_sel:WORD_1
	v_and_b32_e32 v9, 0xffffff00, v9
	v_sub_i16 v0, v0, v40 clamp
	v_or_b32_sdwa v0, v0, v9 dst_sel:WORD_1 dst_unused:UNUSED_PAD src0_sel:BYTE_1 src1_sel:DWORD
	s_nop 0
	v_or_b32_sdwa v81, v8, v0 dst_sel:DWORD dst_unused:UNUSED_PAD src0_sel:WORD_0 src1_sel:DWORD
	v_and_b32_e32 v0, 0x80000000, v2
	v_lshrrev_b16_e32 v8, 5, v27
	v_cmp_ne_u16_sdwa s[34:35], v0, v15 src0_sel:BYTE_3 src1_sel:DWORD
	v_bfe_i32 v8, v8, 0, 1
	v_lshrrev_b32_e32 v2, 22, v2
	v_cndmask_b32_e64 v0, 0, -1, s[34:35]
	v_dot4c_i32_i8_e32 v38, v81, v3
	v_bfe_i32 v3, v26, 9, 1
	v_bfe_i32 v2, v2, 0, 1
	v_lshlrev_b16_e32 v32, 8, v0
	v_lshlrev_b16_e32 v33, 8, v8
	v_or_b32_sdwa v0, v2, v32 dst_sel:WORD_1 dst_unused:UNUSED_PAD src0_sel:BYTE_0 src1_sel:DWORD
	v_or_b32_sdwa v8, v3, v33 dst_sel:DWORD dst_unused:UNUSED_PAD src0_sel:BYTE_0 src1_sel:DWORD
	v_or_b32_sdwa v34, v8, v0 dst_sel:DWORD dst_unused:UNUSED_PAD src0_sel:WORD_0 src1_sel:DWORD
	v_xor_b32_e32 v0, v1, v34
	v_and_b32_e32 v1, 0xffffff00, v0
	v_sub_i16 v1, v1, v33 clamp
	v_lshlrev_b16_e32 v8, 8, v0
	v_lshlrev_b16_e32 v35, 8, v3
	v_and_b32_e32 v1, 0xffffff00, v1
	v_sub_i16 v3, v8, v35 clamp
	v_or_b32_sdwa v1, v3, v1 dst_sel:DWORD dst_unused:UNUSED_PAD src0_sel:BYTE_1 src1_sel:DWORD
	v_and_b32_sdwa v3, v0, s30 dst_sel:DWORD dst_unused:UNUSED_PAD src0_sel:WORD_1 src1_sel:DWORD
	v_sub_i16 v3, v3, v32 clamp
	v_lshlrev_b16_sdwa v0, v45, v0 dst_sel:DWORD dst_unused:UNUSED_PAD src0_sel:DWORD src1_sel:WORD_1
	v_lshlrev_b16_e32 v36, 8, v2
	v_and_b32_e32 v3, 0xffffff00, v3
	v_sub_i16 v0, v0, v36 clamp
	v_or_b32_sdwa v0, v0, v3 dst_sel:WORD_1 dst_unused:UNUSED_PAD src0_sel:BYTE_1 src1_sel:DWORD
	s_nop 0
	v_or_b32_sdwa v82, v1, v0 dst_sel:DWORD dst_unused:UNUSED_PAD src0_sel:WORD_0 src1_sel:DWORD
	v_lshrrev_b32_e32 v0, 11, v26
	v_dot4c_i32_i8_e32 v38, v82, v30
	v_or_b32_e32 v37, 1, v0
	v_lshrrev_b32_e32 v1, 11, v72
	s_nop 0
	v_mul_lo_u32 v0, v38, v37
	v_or_b32_e32 v38, 1, v1
	v_mul_lo_u32 v1, v53, v38
	v_ashrrev_i32_e32 v2, 31, v1
	v_lshrrev_b32_e32 v2, 29, v2
	v_add_u32_e32 v1, v1, v2
	v_ashrrev_i32_e32 v2, 31, v0
	v_lshrrev_b32_e32 v2, 29, v2
	v_add_u32_e32 v0, v0, v2
	global_load_ushort v2, v[22:23], off
	global_load_ushort v3, v[24:25], off
	v_ashrrev_i32_e32 v1, 3, v1
	v_ashrrev_i32_e32 v0, 3, v0
	v_cvt_f32_i32_e32 v25, v0
	v_cvt_f32_i32_e32 v24, v1
	s_waitcnt vmcnt(1)
	v_cvt_f32_f16_e32 v8, v2
	s_waitcnt vmcnt(0)
	v_cvt_f32_f16_e32 v9, v3
	scratch_load_dwordx4 v[0:3], off, off offset:16
	v_pk_mul_f32 v[22:23], v[4:5], v[8:9] op_sel_hi:[0,1]
	v_add_u32_e32 v4, s27, v44
	s_waitcnt vmcnt(0)
	v_pk_fma_f32 v[0:1], v[22:23], v[24:25], v[0:1]
	v_mad_u64_u32 v[22:23], s[34:35], v4, 36, s[24:25]
	v_mad_u64_u32 v[26:27], s[34:35], v16, 36, v[22:23]
	global_load_dword v30, v[26:27], off offset:32
	global_load_dwordx4 v[22:25], v[26:27], off offset:16
	global_load_dwordx4 v[76:79], v[26:27], off
	v_mov_b32_e32 v26, 0
	v_mov_b32_e32 v27, 0
	s_waitcnt vmcnt(0)
	v_dot4c_i32_i8_e32 v26, v10, v77
	v_dot4c_i32_i8_e32 v26, v11, v78
	;; [unrolled: 1-line block ×15, first 2 shown]
	v_mul_lo_u32 v23, v26, v38
	v_ashrrev_i32_e32 v24, 31, v23
	v_dot4c_i32_i8_e32 v27, v82, v30
	v_lshrrev_b32_e32 v24, 29, v24
	v_add_u32_e32 v23, v23, v24
	v_ashrrev_i32_e32 v24, 3, v23
	v_mul_lo_u32 v22, v27, v37
	v_ashrrev_i32_e32 v23, 31, v22
	v_lshrrev_b32_e32 v23, 29, v23
	v_add_u32_e32 v22, v22, v23
	v_cvt_f32_f16_e32 v4, v76
	v_ashrrev_i32_e32 v25, 3, v22
	v_cvt_f32_i32_e32 v25, v25
	v_cvt_f32_i32_e32 v24, v24
	v_pk_mul_f32 v[22:23], v[4:5], v[8:9] op_sel_hi:[0,1]
	v_pk_fma_f32 v[2:3], v[22:23], v[24:25], v[2:3]
	scratch_store_dwordx4 off, v[0:3], off offset:16
	s_nop 1
	v_add_u32_e32 v0, s26, v44
	v_mad_u64_u32 v[0:1], s[34:35], v0, 36, s[24:25]
	v_mad_u64_u32 v[26:27], s[34:35], v16, 36, v[0:1]
	global_load_dword v30, v[26:27], off offset:32
	global_load_dwordx4 v[0:3], v[26:27], off offset:16
	global_load_dwordx4 v[22:25], v[26:27], off
	v_mov_b32_e32 v26, 0
	s_waitcnt vmcnt(0)
	v_cvt_f32_f16_e32 v4, v22
	v_mov_b32_e32 v22, 0
	v_dot4c_i32_i8_e32 v22, v10, v23
	v_dot4c_i32_i8_e32 v22, v11, v24
	;; [unrolled: 1-line block ×16, first 2 shown]
	v_mul_lo_u32 v1, v22, v38
	v_ashrrev_i32_e32 v2, 31, v1
	v_lshrrev_b32_e32 v2, 29, v2
	v_mul_lo_u32 v0, v26, v37
	v_add_u32_e32 v1, v1, v2
	v_ashrrev_i32_e32 v2, 31, v0
	v_lshrrev_b32_e32 v2, 29, v2
	v_add_u32_e32 v0, v0, v2
	v_ashrrev_i32_e32 v1, 3, v1
	v_ashrrev_i32_e32 v0, 3, v0
	v_cvt_f32_i32_e32 v25, v0
	v_cvt_f32_i32_e32 v24, v1
	scratch_load_dwordx4 v[0:3], off, off offset:32
	v_pk_mul_f32 v[22:23], v[4:5], v[8:9] op_sel_hi:[0,1]
	v_add_u32_e32 v4, s19, v44
	s_waitcnt vmcnt(0)
	v_pk_fma_f32 v[0:1], v[22:23], v[24:25], v[0:1]
	v_mad_u64_u32 v[22:23], s[34:35], v4, 36, s[24:25]
	v_mad_u64_u32 v[26:27], s[34:35], v16, 36, v[22:23]
	global_load_dword v30, v[26:27], off offset:32
	global_load_dwordx4 v[22:25], v[26:27], off offset:16
	global_load_dwordx4 v[76:79], v[26:27], off
	v_mov_b32_e32 v26, 0
	s_waitcnt vmcnt(0)
	v_dot4c_i32_i8_e32 v26, v10, v77
	v_dot4c_i32_i8_e32 v26, v11, v78
	v_mov_b32_e32 v10, 0
	v_dot4c_i32_i8_e32 v10, v31, v77
	v_dot4c_i32_i8_e32 v26, v6, v79
	;; [unrolled: 1-line block ×14, first 2 shown]
	v_mul_lo_u32 v6, v26, v38
	v_ashrrev_i32_e32 v7, 31, v6
	v_lshrrev_b32_e32 v7, 29, v7
	v_mul_lo_u32 v5, v10, v37
	v_add_u32_e32 v6, v6, v7
	v_ashrrev_i32_e32 v7, 31, v5
	v_lshrrev_b32_e32 v7, 29, v7
	v_add_u32_e32 v5, v5, v7
	v_cvt_f32_f16_e32 v4, v76
	v_ashrrev_i32_e32 v6, 3, v6
	v_ashrrev_i32_e32 v7, 3, v5
	v_cvt_f32_i32_e32 v7, v7
	v_cvt_f32_i32_e32 v6, v6
	v_pk_mul_f32 v[4:5], v[4:5], v[8:9] op_sel_hi:[0,1]
	v_and_b32_e32 v22, 0xff, v48
	v_bcnt_u32_b32 v23, v22, 0
	v_pk_fma_f32 v[2:3], v[4:5], v[6:7], v[2:3]
	scratch_store_dwordx4 off, v[0:3], off offset:32
	v_and_b32_e32 v23, 1, v23
	v_lshlrev_b32_e32 v23, 7, v23
	v_add_u32_e32 v0, s15, v44
	v_mad_u64_u32 v[0:1], s[34:35], v0, 36, s[24:25]
	v_mad_u64_u32 v[10:11], s[34:35], v16, 36, v[0:1]
	global_load_dword v53, v[10:11], off offset:32
	global_load_dwordx4 v[0:3], v[10:11], off offset:16
	global_load_dwordx4 v[4:7], v[10:11], off
	v_lshlrev_b32_sdwa v10, v46, v50 dst_sel:DWORD dst_unused:UNUSED_PAD src0_sel:DWORD src1_sel:BYTE_0
	global_load_dwordx2 v[10:11], v10, s[20:21]
	v_xor_b32_e32 v22, v23, v22
	v_mul_lo_u32 v22, v22, s29
	v_and_b32_e32 v23, 0x8000000, v22
	v_lshrrev_b32_e32 v25, 8, v22
	v_lshrrev_b16_e32 v26, 1, v25
	v_cmp_ne_u16_sdwa s[34:35], v23, v15 src0_sel:BYTE_3 src1_sel:DWORD
	v_and_b32_e32 v24, 1, v48
	v_bfe_i32 v26, v26, 0, 1
	v_lshrrev_b32_e32 v27, 18, v22
	v_cndmask_b32_e64 v23, 0, -1, s[34:35]
	v_sub_u16_e32 v24, 0, v24
	v_bfe_i32 v27, v27, 0, 1
	v_lshlrev_b16_e32 v23, 8, v23
	v_lshlrev_b16_e32 v26, 8, v26
	v_or_b32_sdwa v28, v27, v23 dst_sel:WORD_1 dst_unused:UNUSED_PAD src0_sel:BYTE_0 src1_sel:DWORD
	v_or_b32_sdwa v29, v24, v26 dst_sel:DWORD dst_unused:UNUSED_PAD src0_sel:BYTE_0 src1_sel:DWORD
	v_or_b32_sdwa v28, v29, v28 dst_sel:DWORD dst_unused:UNUSED_PAD src0_sel:WORD_0 src1_sel:DWORD
	v_lshlrev_b16_e32 v24, 8, v24
	v_mov_b32_e32 v54, 0
	v_bfe_i32 v71, v48, 7, 1
	v_add_u32_e32 v44, 64, v44
	s_waitcnt vmcnt(1)
	v_cvt_f32_f16_e32 v4, v4
	s_waitcnt vmcnt(0)
	v_xor_b32_e32 v10, v10, v28
	v_and_b32_e32 v28, 0xffffff00, v10
	v_sub_i16 v26, v28, v26 clamp
	v_lshlrev_b16_e32 v28, 8, v10
	v_and_b32_e32 v26, 0xffffff00, v26
	v_sub_i16 v24, v28, v24 clamp
	v_or_b32_sdwa v24, v24, v26 dst_sel:DWORD dst_unused:UNUSED_PAD src0_sel:BYTE_1 src1_sel:DWORD
	v_and_b32_sdwa v26, v10, s30 dst_sel:DWORD dst_unused:UNUSED_PAD src0_sel:WORD_1 src1_sel:DWORD
	v_sub_i16 v23, v26, v23 clamp
	v_lshlrev_b16_sdwa v10, v45, v10 dst_sel:DWORD dst_unused:UNUSED_PAD src0_sel:DWORD src1_sel:WORD_1
	v_lshlrev_b16_e32 v26, 8, v27
	v_and_b32_e32 v23, 0xffffff00, v23
	v_sub_i16 v10, v10, v26 clamp
	v_or_b32_sdwa v10, v10, v23 dst_sel:WORD_1 dst_unused:UNUSED_PAD src0_sel:BYTE_1 src1_sel:DWORD
	v_bfe_i32 v23, v48, 4, 1
	v_or_b32_sdwa v10, v24, v10 dst_sel:DWORD dst_unused:UNUSED_PAD src0_sel:WORD_0 src1_sel:DWORD
	v_dot4c_i32_i8_e32 v54, v10, v5
	v_and_b32_e32 v10, 0x80000000, v22
	v_lshrrev_b16_e32 v24, 5, v25
	v_cmp_ne_u16_sdwa s[34:35], v10, v15 src0_sel:BYTE_3 src1_sel:DWORD
	v_bfe_i32 v24, v24, 0, 1
	v_lshrrev_b32_e32 v22, 22, v22
	v_cndmask_b32_e64 v10, 0, -1, s[34:35]
	v_bfe_i32 v22, v22, 0, 1
	v_lshlrev_b16_e32 v10, 8, v10
	v_lshlrev_b16_e32 v24, 8, v24
	v_or_b32_sdwa v25, v22, v10 dst_sel:WORD_1 dst_unused:UNUSED_PAD src0_sel:BYTE_0 src1_sel:DWORD
	v_or_b32_sdwa v26, v23, v24 dst_sel:DWORD dst_unused:UNUSED_PAD src0_sel:BYTE_0 src1_sel:DWORD
	v_or_b32_sdwa v25, v26, v25 dst_sel:DWORD dst_unused:UNUSED_PAD src0_sel:WORD_0 src1_sel:DWORD
	v_xor_b32_e32 v11, v11, v25
	v_and_b32_e32 v25, 0xffffff00, v11
	v_sub_i16 v24, v25, v24 clamp
	v_lshlrev_b16_e32 v25, 8, v11
	v_lshlrev_b16_e32 v23, 8, v23
	v_and_b32_e32 v24, 0xffffff00, v24
	v_sub_i16 v23, v25, v23 clamp
	v_or_b32_sdwa v23, v23, v24 dst_sel:DWORD dst_unused:UNUSED_PAD src0_sel:BYTE_1 src1_sel:DWORD
	v_and_b32_sdwa v24, v11, s30 dst_sel:DWORD dst_unused:UNUSED_PAD src0_sel:WORD_1 src1_sel:DWORD
	v_sub_i16 v10, v24, v10 clamp
	v_lshlrev_b16_sdwa v11, v45, v11 dst_sel:DWORD dst_unused:UNUSED_PAD src0_sel:DWORD src1_sel:WORD_1
	v_lshlrev_b16_e32 v22, 8, v22
	v_and_b32_e32 v10, 0xffffff00, v10
	v_sub_i16 v11, v11, v22 clamp
	v_or_b32_sdwa v10, v11, v10 dst_sel:WORD_1 dst_unused:UNUSED_PAD src0_sel:BYTE_1 src1_sel:DWORD
	v_and_b32_e32 v22, 0xff, v47
	v_or_b32_sdwa v10, v23, v10 dst_sel:DWORD dst_unused:UNUSED_PAD src0_sel:WORD_0 src1_sel:DWORD
	v_dot4c_i32_i8_e32 v54, v10, v6
	v_lshlrev_b32_sdwa v10, v46, v50 dst_sel:DWORD dst_unused:UNUSED_PAD src0_sel:DWORD src1_sel:BYTE_1
	global_load_dwordx2 v[30:31], v10, s[20:21]
	v_lshlrev_b32_sdwa v10, v46, v49 dst_sel:DWORD dst_unused:UNUSED_PAD src0_sel:DWORD src1_sel:BYTE_0
	global_load_dwordx2 v[28:29], v10, s[20:21]
	v_lshlrev_b32_sdwa v10, v46, v49 dst_sel:DWORD dst_unused:UNUSED_PAD src0_sel:DWORD src1_sel:BYTE_1
	global_load_dwordx2 v[26:27], v10, s[20:21]
	v_lshlrev_b32_sdwa v10, v46, v52 dst_sel:DWORD dst_unused:UNUSED_PAD src0_sel:DWORD src1_sel:BYTE_0
	global_load_dwordx2 v[10:11], v10, s[20:21]
	v_bcnt_u32_b32 v23, v22, 0
	v_and_b32_e32 v23, 1, v23
	v_lshlrev_b32_e32 v23, 7, v23
	v_xor_b32_e32 v22, v23, v22
	v_mul_lo_u32 v22, v22, s29
	v_and_b32_e32 v23, 0x8000000, v22
	v_lshrrev_b32_e32 v25, 8, v22
	v_lshrrev_b16_e32 v49, 1, v25
	v_cmp_ne_u16_sdwa s[34:35], v23, v15 src0_sel:BYTE_3 src1_sel:DWORD
	v_and_b32_e32 v24, 1, v47
	v_bfe_i32 v49, v49, 0, 1
	v_lshrrev_b32_e32 v72, 18, v22
	v_cndmask_b32_e64 v23, 0, -1, s[34:35]
	v_sub_u16_e32 v24, 0, v24
	v_bfe_i32 v72, v72, 0, 1
	v_lshlrev_b16_e32 v23, 8, v23
	v_lshlrev_b16_e32 v49, 8, v49
	v_or_b32_sdwa v73, v72, v23 dst_sel:WORD_1 dst_unused:UNUSED_PAD src0_sel:BYTE_0 src1_sel:DWORD
	v_or_b32_sdwa v74, v24, v49 dst_sel:DWORD dst_unused:UNUSED_PAD src0_sel:BYTE_0 src1_sel:DWORD
	v_or_b32_sdwa v73, v74, v73 dst_sel:DWORD dst_unused:UNUSED_PAD src0_sel:WORD_0 src1_sel:DWORD
	v_lshlrev_b16_e32 v24, 8, v24
	v_bfe_i32 v50, v48, 14, 1
	s_waitcnt vmcnt(1)
	v_xor_b32_e32 v26, v26, v61
	s_waitcnt vmcnt(0)
	v_xor_b32_e32 v10, v10, v73
	v_and_b32_e32 v73, 0xffffff00, v10
	v_sub_i16 v49, v73, v49 clamp
	v_lshlrev_b16_e32 v73, 8, v10
	v_and_b32_e32 v49, 0xffffff00, v49
	v_sub_i16 v24, v73, v24 clamp
	v_or_b32_sdwa v24, v24, v49 dst_sel:DWORD dst_unused:UNUSED_PAD src0_sel:BYTE_1 src1_sel:DWORD
	v_and_b32_sdwa v49, v10, s30 dst_sel:DWORD dst_unused:UNUSED_PAD src0_sel:WORD_1 src1_sel:DWORD
	v_sub_i16 v23, v49, v23 clamp
	v_lshlrev_b16_sdwa v10, v45, v10 dst_sel:DWORD dst_unused:UNUSED_PAD src0_sel:DWORD src1_sel:WORD_1
	v_lshlrev_b16_e32 v49, 8, v72
	v_and_b32_e32 v23, 0xffffff00, v23
	v_sub_i16 v10, v10, v49 clamp
	v_or_b32_sdwa v10, v10, v23 dst_sel:WORD_1 dst_unused:UNUSED_PAD src0_sel:BYTE_1 src1_sel:DWORD
	v_mov_b32_e32 v49, 0
	v_or_b32_sdwa v10, v24, v10 dst_sel:DWORD dst_unused:UNUSED_PAD src0_sel:WORD_0 src1_sel:DWORD
	v_dot4c_i32_i8_e32 v49, v10, v5
	v_and_b32_e32 v5, 0x80000000, v22
	v_lshrrev_b16_e32 v23, 5, v25
	v_cmp_ne_u16_sdwa s[34:35], v5, v15 src0_sel:BYTE_3 src1_sel:DWORD
	v_bfe_i32 v23, v23, 0, 1
	v_lshrrev_b32_e32 v22, 22, v22
	v_cndmask_b32_e64 v5, 0, -1, s[34:35]
	v_bfe_i32 v10, v47, 4, 1
	v_bfe_i32 v22, v22, 0, 1
	v_lshlrev_b16_e32 v5, 8, v5
	v_lshlrev_b16_e32 v23, 8, v23
	v_or_b32_sdwa v24, v22, v5 dst_sel:WORD_1 dst_unused:UNUSED_PAD src0_sel:BYTE_0 src1_sel:DWORD
	v_or_b32_sdwa v25, v10, v23 dst_sel:DWORD dst_unused:UNUSED_PAD src0_sel:BYTE_0 src1_sel:DWORD
	v_or_b32_sdwa v24, v25, v24 dst_sel:DWORD dst_unused:UNUSED_PAD src0_sel:WORD_0 src1_sel:DWORD
	v_xor_b32_e32 v11, v11, v24
	v_and_b32_e32 v24, 0xffffff00, v11
	v_sub_i16 v23, v24, v23 clamp
	v_lshlrev_b16_e32 v24, 8, v11
	v_lshlrev_b16_e32 v10, 8, v10
	v_and_b32_e32 v23, 0xffffff00, v23
	v_sub_i16 v10, v24, v10 clamp
	v_or_b32_sdwa v10, v10, v23 dst_sel:DWORD dst_unused:UNUSED_PAD src0_sel:BYTE_1 src1_sel:DWORD
	v_and_b32_sdwa v23, v11, s30 dst_sel:DWORD dst_unused:UNUSED_PAD src0_sel:WORD_1 src1_sel:DWORD
	v_sub_i16 v5, v23, v5 clamp
	v_lshlrev_b16_sdwa v11, v45, v11 dst_sel:DWORD dst_unused:UNUSED_PAD src0_sel:DWORD src1_sel:WORD_1
	v_lshlrev_b16_e32 v22, 8, v22
	v_and_b32_e32 v5, 0xffffff00, v5
	v_sub_i16 v11, v11, v22 clamp
	v_or_b32_sdwa v5, v11, v5 dst_sel:WORD_1 dst_unused:UNUSED_PAD src0_sel:BYTE_1 src1_sel:DWORD
	s_nop 0
	v_or_b32_sdwa v5, v10, v5 dst_sel:DWORD dst_unused:UNUSED_PAD src0_sel:WORD_0 src1_sel:DWORD
	v_dot4c_i32_i8_e32 v49, v5, v6
	v_lshlrev_b32_sdwa v5, v46, v52 dst_sel:DWORD dst_unused:UNUSED_PAD src0_sel:DWORD src1_sel:BYTE_1
	v_lshlrev_b32_sdwa v10, v46, v51 dst_sel:DWORD dst_unused:UNUSED_PAD src0_sel:DWORD src1_sel:BYTE_1
	v_bfe_u32 v52, v48, 7, 8
	global_load_dwordx2 v[24:25], v5, s[20:21]
	v_bfe_i32 v6, v47, 7, 1
	global_load_dwordx2 v[10:11], v10, s[20:21]
	v_lshlrev_b32_sdwa v5, v46, v51 dst_sel:DWORD dst_unused:UNUSED_PAD src0_sel:DWORD src1_sel:BYTE_0
	v_and_or_b32 v51, v48, s28, v70
	v_bcnt_u32_b32 v70, v52, 0
	v_and_b32_e32 v70, 1, v70
	v_lshlrev_b32_e32 v70, 7, v70
	v_xor_b32_e32 v52, v70, v52
	v_mul_lo_u32 v52, v52, s29
	v_and_b32_e32 v70, 0x8000000, v52
	v_lshrrev_b32_e32 v72, 8, v52
	global_load_dwordx2 v[22:23], v5, s[20:21]
	v_lshrrev_b16_e32 v73, 1, v72
	v_cmp_ne_u16_sdwa s[20:21], v70, v15 src0_sel:BYTE_3 src1_sel:DWORD
	v_bfe_i32 v73, v73, 0, 1
	v_lshrrev_b32_e32 v74, 18, v52
	v_cndmask_b32_e64 v70, 0, -1, s[20:21]
	v_bfe_i32 v74, v74, 0, 1
	v_lshlrev_b16_e32 v70, 8, v70
	v_lshlrev_b16_e32 v73, 8, v73
	v_or_b32_sdwa v75, v74, v70 dst_sel:WORD_1 dst_unused:UNUSED_PAD src0_sel:BYTE_0 src1_sel:DWORD
	v_or_b32_sdwa v76, v71, v73 dst_sel:DWORD dst_unused:UNUSED_PAD src0_sel:BYTE_0 src1_sel:DWORD
	v_or_b32_sdwa v75, v76, v75 dst_sel:DWORD dst_unused:UNUSED_PAD src0_sel:WORD_0 src1_sel:DWORD
	v_xor_b32_e32 v30, v30, v75
	v_and_b32_e32 v75, 0xffffff00, v30
	v_sub_i16 v73, v75, v73 clamp
	v_lshlrev_b16_e32 v75, 8, v30
	v_lshlrev_b16_e32 v71, 8, v71
	v_and_b32_e32 v73, 0xffffff00, v73
	v_sub_i16 v71, v75, v71 clamp
	v_or_b32_sdwa v71, v71, v73 dst_sel:DWORD dst_unused:UNUSED_PAD src0_sel:BYTE_1 src1_sel:DWORD
	v_and_b32_sdwa v73, v30, s30 dst_sel:DWORD dst_unused:UNUSED_PAD src0_sel:WORD_1 src1_sel:DWORD
	v_sub_i16 v70, v73, v70 clamp
	v_lshlrev_b16_sdwa v30, v45, v30 dst_sel:DWORD dst_unused:UNUSED_PAD src0_sel:DWORD src1_sel:WORD_1
	v_lshlrev_b16_e32 v73, 8, v74
	v_and_b32_e32 v70, 0xffffff00, v70
	v_sub_i16 v30, v30, v73 clamp
	v_or_b32_sdwa v30, v30, v70 dst_sel:WORD_1 dst_unused:UNUSED_PAD src0_sel:BYTE_1 src1_sel:DWORD
	v_lshrrev_b16_e32 v70, 5, v72
	v_or_b32_sdwa v30, v71, v30 dst_sel:DWORD dst_unused:UNUSED_PAD src0_sel:WORD_0 src1_sel:DWORD
	v_dot4c_i32_i8_e32 v54, v30, v7
	v_and_b32_e32 v30, 0x80000000, v52
	v_cmp_ne_u16_sdwa s[20:21], v30, v15 src0_sel:BYTE_3 src1_sel:DWORD
	v_bfe_i32 v70, v70, 0, 1
	v_lshrrev_b32_e32 v52, 22, v52
	v_cndmask_b32_e64 v30, 0, -1, s[20:21]
	v_bfe_i32 v48, v48, 11, 1
	v_bfe_i32 v52, v52, 0, 1
	v_lshlrev_b16_e32 v30, 8, v30
	v_lshlrev_b16_e32 v70, 8, v70
	v_or_b32_sdwa v71, v52, v30 dst_sel:WORD_1 dst_unused:UNUSED_PAD src0_sel:BYTE_0 src1_sel:DWORD
	v_or_b32_sdwa v72, v48, v70 dst_sel:DWORD dst_unused:UNUSED_PAD src0_sel:BYTE_0 src1_sel:DWORD
	v_or_b32_sdwa v71, v72, v71 dst_sel:DWORD dst_unused:UNUSED_PAD src0_sel:WORD_0 src1_sel:DWORD
	v_xor_b32_e32 v31, v31, v71
	v_and_b32_e32 v71, 0xffffff00, v31
	v_sub_i16 v70, v71, v70 clamp
	v_lshlrev_b16_e32 v71, 8, v31
	v_lshlrev_b16_e32 v48, 8, v48
	v_and_b32_e32 v70, 0xffffff00, v70
	v_sub_i16 v48, v71, v48 clamp
	v_or_b32_sdwa v48, v48, v70 dst_sel:DWORD dst_unused:UNUSED_PAD src0_sel:BYTE_1 src1_sel:DWORD
	v_and_b32_sdwa v70, v31, s30 dst_sel:DWORD dst_unused:UNUSED_PAD src0_sel:WORD_1 src1_sel:DWORD
	v_sub_i16 v30, v70, v30 clamp
	v_lshlrev_b16_sdwa v31, v45, v31 dst_sel:DWORD dst_unused:UNUSED_PAD src0_sel:DWORD src1_sel:WORD_1
	v_lshlrev_b16_e32 v52, 8, v52
	v_and_b32_e32 v30, 0xffffff00, v30
	v_sub_i16 v31, v31, v52 clamp
	v_or_b32_sdwa v30, v31, v30 dst_sel:WORD_1 dst_unused:UNUSED_PAD src0_sel:BYTE_1 src1_sel:DWORD
	v_bfe_i32 v5, v47, 14, 1
	v_or_b32_sdwa v30, v48, v30 dst_sel:DWORD dst_unused:UNUSED_PAD src0_sel:WORD_0 src1_sel:DWORD
	v_dot4c_i32_i8_e32 v54, v30, v0
	v_bfe_u32 v30, v51, 14, 8
	v_bcnt_u32_b32 v31, v30, 0
	v_and_b32_e32 v31, 1, v31
	v_lshlrev_b32_e32 v31, 7, v31
	v_xor_b32_e32 v30, v31, v30
	v_mul_lo_u32 v30, v30, s29
	v_and_b32_e32 v31, 0x8000000, v30
	v_lshrrev_b32_e32 v48, 8, v30
	v_lshrrev_b16_e32 v51, 1, v48
	v_cmp_ne_u16_sdwa s[20:21], v31, v15 src0_sel:BYTE_3 src1_sel:DWORD
	v_bfe_i32 v51, v51, 0, 1
	v_lshrrev_b32_e32 v52, 18, v30
	v_cndmask_b32_e64 v31, 0, -1, s[20:21]
	v_bfe_i32 v52, v52, 0, 1
	v_lshlrev_b16_e32 v31, 8, v31
	v_lshlrev_b16_e32 v51, 8, v51
	v_or_b32_sdwa v70, v52, v31 dst_sel:WORD_1 dst_unused:UNUSED_PAD src0_sel:BYTE_0 src1_sel:DWORD
	v_or_b32_sdwa v71, v50, v51 dst_sel:DWORD dst_unused:UNUSED_PAD src0_sel:BYTE_0 src1_sel:DWORD
	v_or_b32_sdwa v70, v71, v70 dst_sel:DWORD dst_unused:UNUSED_PAD src0_sel:WORD_0 src1_sel:DWORD
	v_xor_b32_e32 v28, v28, v70
	v_and_b32_e32 v70, 0xffffff00, v28
	v_sub_i16 v51, v70, v51 clamp
	v_lshlrev_b16_e32 v70, 8, v28
	v_lshlrev_b16_e32 v50, 8, v50
	v_and_b32_e32 v51, 0xffffff00, v51
	v_sub_i16 v50, v70, v50 clamp
	v_or_b32_sdwa v50, v50, v51 dst_sel:DWORD dst_unused:UNUSED_PAD src0_sel:BYTE_1 src1_sel:DWORD
	v_and_b32_sdwa v51, v28, s30 dst_sel:DWORD dst_unused:UNUSED_PAD src0_sel:WORD_1 src1_sel:DWORD
	v_sub_i16 v31, v51, v31 clamp
	v_lshlrev_b16_sdwa v28, v45, v28 dst_sel:DWORD dst_unused:UNUSED_PAD src0_sel:DWORD src1_sel:WORD_1
	v_lshlrev_b16_e32 v51, 8, v52
	v_and_b32_e32 v31, 0xffffff00, v31
	v_sub_i16 v28, v28, v51 clamp
	v_or_b32_sdwa v28, v28, v31 dst_sel:WORD_1 dst_unused:UNUSED_PAD src0_sel:BYTE_1 src1_sel:DWORD
	v_lshrrev_b16_e32 v31, 5, v48
	v_or_b32_sdwa v28, v50, v28 dst_sel:DWORD dst_unused:UNUSED_PAD src0_sel:WORD_0 src1_sel:DWORD
	v_dot4c_i32_i8_e32 v54, v28, v1
	v_and_b32_e32 v28, 0x80000000, v30
	v_cmp_ne_u16_sdwa s[20:21], v28, v15 src0_sel:BYTE_3 src1_sel:DWORD
	v_bfe_i32 v31, v31, 0, 1
	v_lshrrev_b32_e32 v30, 22, v30
	v_cndmask_b32_e64 v28, 0, -1, s[20:21]
	v_bfe_i32 v30, v30, 0, 1
	v_lshlrev_b16_e32 v28, 8, v28
	v_lshlrev_b16_e32 v31, 8, v31
	v_or_b32_sdwa v48, v30, v28 dst_sel:WORD_1 dst_unused:UNUSED_PAD src0_sel:BYTE_0 src1_sel:DWORD
	v_or_b32_sdwa v50, v58, v31 dst_sel:DWORD dst_unused:UNUSED_PAD src0_sel:BYTE_0 src1_sel:DWORD
	v_or_b32_sdwa v48, v50, v48 dst_sel:DWORD dst_unused:UNUSED_PAD src0_sel:WORD_0 src1_sel:DWORD
	v_xor_b32_e32 v29, v29, v48
	v_and_b32_e32 v48, 0xffffff00, v29
	v_sub_i16 v31, v48, v31 clamp
	v_lshlrev_b16_e32 v48, 8, v29
	v_and_b32_e32 v31, 0xffffff00, v31
	v_sub_i16 v48, v48, v57 clamp
	v_or_b32_sdwa v31, v48, v31 dst_sel:DWORD dst_unused:UNUSED_PAD src0_sel:BYTE_1 src1_sel:DWORD
	v_and_b32_sdwa v48, v29, s30 dst_sel:DWORD dst_unused:UNUSED_PAD src0_sel:WORD_1 src1_sel:DWORD
	v_sub_i16 v28, v48, v28 clamp
	v_lshlrev_b16_sdwa v29, v45, v29 dst_sel:DWORD dst_unused:UNUSED_PAD src0_sel:DWORD src1_sel:WORD_1
	v_lshlrev_b16_e32 v30, 8, v30
	v_and_b32_e32 v28, 0xffffff00, v28
	v_sub_i16 v29, v29, v30 clamp
	v_or_b32_sdwa v28, v29, v28 dst_sel:WORD_1 dst_unused:UNUSED_PAD src0_sel:BYTE_1 src1_sel:DWORD
	v_lshlrev_b16_e32 v29, 8, v26
	v_or_b32_sdwa v28, v31, v28 dst_sel:DWORD dst_unused:UNUSED_PAD src0_sel:WORD_0 src1_sel:DWORD
	v_dot4c_i32_i8_e32 v54, v28, v2
	v_and_b32_e32 v28, 0xffffff00, v26
	v_sub_i16 v28, v28, v60 clamp
	v_and_b32_e32 v28, 0xffffff00, v28
	v_sub_i16 v29, v29, v62 clamp
	v_or_b32_sdwa v28, v29, v28 dst_sel:DWORD dst_unused:UNUSED_PAD src0_sel:BYTE_1 src1_sel:DWORD
	v_and_b32_sdwa v29, v26, s30 dst_sel:DWORD dst_unused:UNUSED_PAD src0_sel:WORD_1 src1_sel:DWORD
	v_sub_i16 v29, v29, v59 clamp
	v_lshlrev_b16_sdwa v26, v45, v26 dst_sel:DWORD dst_unused:UNUSED_PAD src0_sel:DWORD src1_sel:WORD_1
	v_and_b32_e32 v29, 0xffffff00, v29
	v_sub_i16 v26, v26, v63 clamp
	v_or_b32_sdwa v26, v26, v29 dst_sel:WORD_1 dst_unused:UNUSED_PAD src0_sel:BYTE_1 src1_sel:DWORD
	s_nop 0
	v_or_b32_sdwa v26, v28, v26 dst_sel:DWORD dst_unused:UNUSED_PAD src0_sel:WORD_0 src1_sel:DWORD
	v_dot4c_i32_i8_e32 v54, v26, v3
	v_xor_b32_e32 v26, v27, v66
	v_and_b32_e32 v27, 0xffffff00, v26
	v_sub_i16 v27, v27, v65 clamp
	v_lshlrev_b16_e32 v28, 8, v26
	v_and_b32_e32 v27, 0xffffff00, v27
	v_sub_i16 v28, v28, v67 clamp
	v_or_b32_sdwa v27, v28, v27 dst_sel:DWORD dst_unused:UNUSED_PAD src0_sel:BYTE_1 src1_sel:DWORD
	v_and_b32_sdwa v28, v26, s30 dst_sel:DWORD dst_unused:UNUSED_PAD src0_sel:WORD_1 src1_sel:DWORD
	v_sub_i16 v28, v28, v64 clamp
	v_lshlrev_b16_sdwa v26, v45, v26 dst_sel:DWORD dst_unused:UNUSED_PAD src0_sel:DWORD src1_sel:WORD_1
	v_and_b32_e32 v28, 0xffffff00, v28
	v_sub_i16 v26, v26, v68 clamp
	v_or_b32_sdwa v26, v26, v28 dst_sel:WORD_1 dst_unused:UNUSED_PAD src0_sel:BYTE_1 src1_sel:DWORD
	s_nop 0
	v_or_b32_sdwa v26, v27, v26 dst_sel:DWORD dst_unused:UNUSED_PAD src0_sel:WORD_0 src1_sel:DWORD
	v_bfe_u32 v27, v47, 7, 8
	v_bcnt_u32_b32 v28, v27, 0
	v_and_b32_e32 v28, 1, v28
	v_lshlrev_b32_e32 v28, 7, v28
	v_xor_b32_e32 v27, v28, v27
	v_mul_lo_u32 v27, v27, s29
	v_and_b32_e32 v28, 0x8000000, v27
	v_lshrrev_b32_e32 v29, 8, v27
	v_lshrrev_b16_e32 v30, 1, v29
	v_cmp_ne_u16_sdwa s[20:21], v28, v15 src0_sel:BYTE_3 src1_sel:DWORD
	v_bfe_i32 v30, v30, 0, 1
	v_lshrrev_b32_e32 v31, 18, v27
	v_cndmask_b32_e64 v28, 0, -1, s[20:21]
	v_bfe_i32 v31, v31, 0, 1
	v_lshlrev_b16_e32 v28, 8, v28
	v_lshlrev_b16_e32 v30, 8, v30
	v_or_b32_sdwa v48, v31, v28 dst_sel:WORD_1 dst_unused:UNUSED_PAD src0_sel:BYTE_0 src1_sel:DWORD
	v_or_b32_sdwa v50, v6, v30 dst_sel:DWORD dst_unused:UNUSED_PAD src0_sel:BYTE_0 src1_sel:DWORD
	v_or_b32_sdwa v48, v50, v48 dst_sel:DWORD dst_unused:UNUSED_PAD src0_sel:WORD_0 src1_sel:DWORD
	s_waitcnt vmcnt(2)
	v_xor_b32_e32 v24, v24, v48
	v_and_b32_e32 v48, 0xffffff00, v24
	v_sub_i16 v30, v48, v30 clamp
	v_lshlrev_b16_e32 v48, 8, v24
	v_lshlrev_b16_e32 v6, 8, v6
	v_and_b32_e32 v30, 0xffffff00, v30
	v_sub_i16 v6, v48, v6 clamp
	v_or_b32_sdwa v6, v6, v30 dst_sel:DWORD dst_unused:UNUSED_PAD src0_sel:BYTE_1 src1_sel:DWORD
	v_and_b32_sdwa v30, v24, s30 dst_sel:DWORD dst_unused:UNUSED_PAD src0_sel:WORD_1 src1_sel:DWORD
	v_sub_i16 v28, v30, v28 clamp
	v_lshlrev_b16_sdwa v24, v45, v24 dst_sel:DWORD dst_unused:UNUSED_PAD src0_sel:DWORD src1_sel:WORD_1
	v_lshlrev_b16_e32 v30, 8, v31
	v_and_b32_e32 v28, 0xffffff00, v28
	v_sub_i16 v24, v24, v30 clamp
	v_or_b32_sdwa v24, v24, v28 dst_sel:WORD_1 dst_unused:UNUSED_PAD src0_sel:BYTE_1 src1_sel:DWORD
	v_dot4c_i32_i8_e32 v54, v26, v53
	v_or_b32_sdwa v6, v6, v24 dst_sel:DWORD dst_unused:UNUSED_PAD src0_sel:WORD_0 src1_sel:DWORD
	v_dot4c_i32_i8_e32 v49, v6, v7
	v_and_b32_e32 v6, 0x80000000, v27
	v_lshrrev_b16_e32 v24, 5, v29
	v_cmp_ne_u16_sdwa s[20:21], v6, v15 src0_sel:BYTE_3 src1_sel:DWORD
	v_bfe_i32 v24, v24, 0, 1
	v_lshrrev_b32_e32 v27, 22, v27
	v_cndmask_b32_e64 v6, 0, -1, s[20:21]
	v_bfe_i32 v7, v47, 11, 1
	v_bfe_i32 v27, v27, 0, 1
	v_lshlrev_b16_e32 v6, 8, v6
	v_lshlrev_b16_e32 v24, 8, v24
	v_or_b32_sdwa v28, v27, v6 dst_sel:WORD_1 dst_unused:UNUSED_PAD src0_sel:BYTE_0 src1_sel:DWORD
	v_or_b32_sdwa v29, v7, v24 dst_sel:DWORD dst_unused:UNUSED_PAD src0_sel:BYTE_0 src1_sel:DWORD
	v_or_b32_sdwa v28, v29, v28 dst_sel:DWORD dst_unused:UNUSED_PAD src0_sel:WORD_0 src1_sel:DWORD
	v_xor_b32_e32 v25, v25, v28
	v_and_b32_e32 v28, 0xffffff00, v25
	v_sub_i16 v24, v28, v24 clamp
	v_lshlrev_b16_e32 v28, 8, v25
	v_lshlrev_b16_e32 v7, 8, v7
	v_and_b32_e32 v24, 0xffffff00, v24
	v_sub_i16 v7, v28, v7 clamp
	v_or_b32_sdwa v7, v7, v24 dst_sel:DWORD dst_unused:UNUSED_PAD src0_sel:BYTE_1 src1_sel:DWORD
	v_and_b32_sdwa v24, v25, s30 dst_sel:DWORD dst_unused:UNUSED_PAD src0_sel:WORD_1 src1_sel:DWORD
	v_sub_i16 v6, v24, v6 clamp
	v_lshlrev_b16_sdwa v24, v45, v25 dst_sel:DWORD dst_unused:UNUSED_PAD src0_sel:DWORD src1_sel:WORD_1
	v_lshlrev_b16_e32 v25, 8, v27
	v_and_b32_e32 v6, 0xffffff00, v6
	v_sub_i16 v24, v24, v25 clamp
	v_or_b32_sdwa v6, v24, v6 dst_sel:WORD_1 dst_unused:UNUSED_PAD src0_sel:BYTE_1 src1_sel:DWORD
	v_and_or_b32 v26, v47, s28, v69
	v_or_b32_sdwa v6, v7, v6 dst_sel:DWORD dst_unused:UNUSED_PAD src0_sel:WORD_0 src1_sel:DWORD
	v_dot4c_i32_i8_e32 v49, v6, v0
	v_bfe_u32 v0, v26, 14, 8
	v_bcnt_u32_b32 v6, v0, 0
	v_and_b32_e32 v6, 1, v6
	v_lshlrev_b32_e32 v6, 7, v6
	v_xor_b32_e32 v0, v6, v0
	v_mul_lo_u32 v0, v0, s29
	v_and_b32_e32 v6, 0x8000000, v0
	v_lshrrev_b32_e32 v7, 8, v0
	v_lshrrev_b16_e32 v24, 1, v7
	v_cmp_ne_u16_sdwa s[20:21], v6, v15 src0_sel:BYTE_3 src1_sel:DWORD
	v_bfe_i32 v24, v24, 0, 1
	v_lshrrev_b32_e32 v25, 18, v0
	v_cndmask_b32_e64 v6, 0, -1, s[20:21]
	v_bfe_i32 v25, v25, 0, 1
	v_lshlrev_b16_e32 v6, 8, v6
	v_lshlrev_b16_e32 v24, 8, v24
	v_or_b32_sdwa v26, v25, v6 dst_sel:WORD_1 dst_unused:UNUSED_PAD src0_sel:BYTE_0 src1_sel:DWORD
	v_or_b32_sdwa v27, v5, v24 dst_sel:DWORD dst_unused:UNUSED_PAD src0_sel:BYTE_0 src1_sel:DWORD
	v_or_b32_sdwa v26, v27, v26 dst_sel:DWORD dst_unused:UNUSED_PAD src0_sel:WORD_0 src1_sel:DWORD
	s_waitcnt vmcnt(0)
	v_xor_b32_e32 v22, v22, v26
	v_and_b32_e32 v26, 0xffffff00, v22
	v_sub_i16 v24, v26, v24 clamp
	v_lshlrev_b16_e32 v26, 8, v22
	v_lshlrev_b16_e32 v5, 8, v5
	v_and_b32_e32 v24, 0xffffff00, v24
	v_sub_i16 v5, v26, v5 clamp
	v_or_b32_sdwa v5, v5, v24 dst_sel:DWORD dst_unused:UNUSED_PAD src0_sel:BYTE_1 src1_sel:DWORD
	v_and_b32_sdwa v24, v22, s30 dst_sel:DWORD dst_unused:UNUSED_PAD src0_sel:WORD_1 src1_sel:DWORD
	v_sub_i16 v6, v24, v6 clamp
	v_lshlrev_b16_sdwa v22, v45, v22 dst_sel:DWORD dst_unused:UNUSED_PAD src0_sel:DWORD src1_sel:WORD_1
	v_lshlrev_b16_e32 v24, 8, v25
	v_and_b32_e32 v6, 0xffffff00, v6
	v_sub_i16 v22, v22, v24 clamp
	v_or_b32_sdwa v6, v22, v6 dst_sel:WORD_1 dst_unused:UNUSED_PAD src0_sel:BYTE_1 src1_sel:DWORD
	s_nop 0
	v_or_b32_sdwa v5, v5, v6 dst_sel:DWORD dst_unused:UNUSED_PAD src0_sel:WORD_0 src1_sel:DWORD
	v_dot4c_i32_i8_e32 v49, v5, v1
	v_and_b32_e32 v1, 0x80000000, v0
	v_lshrrev_b16_e32 v5, 5, v7
	v_cmp_ne_u16_sdwa s[20:21], v1, v15 src0_sel:BYTE_3 src1_sel:DWORD
	v_bfe_i32 v5, v5, 0, 1
	v_lshrrev_b32_e32 v0, 22, v0
	v_cndmask_b32_e64 v1, 0, -1, s[20:21]
	v_bfe_i32 v0, v0, 0, 1
	v_lshlrev_b16_e32 v1, 8, v1
	v_lshlrev_b16_e32 v5, 8, v5
	v_or_b32_sdwa v6, v0, v1 dst_sel:WORD_1 dst_unused:UNUSED_PAD src0_sel:BYTE_0 src1_sel:DWORD
	v_or_b32_sdwa v7, v56, v5 dst_sel:DWORD dst_unused:UNUSED_PAD src0_sel:BYTE_0 src1_sel:DWORD
	v_or_b32_sdwa v6, v7, v6 dst_sel:DWORD dst_unused:UNUSED_PAD src0_sel:WORD_0 src1_sel:DWORD
	v_xor_b32_e32 v6, v23, v6
	v_and_b32_e32 v7, 0xffffff00, v6
	v_sub_i16 v5, v7, v5 clamp
	v_lshlrev_b16_e32 v7, 8, v6
	v_and_b32_e32 v5, 0xffffff00, v5
	v_sub_i16 v7, v7, v55 clamp
	v_or_b32_sdwa v5, v7, v5 dst_sel:DWORD dst_unused:UNUSED_PAD src0_sel:BYTE_1 src1_sel:DWORD
	v_and_b32_sdwa v7, v6, s30 dst_sel:DWORD dst_unused:UNUSED_PAD src0_sel:WORD_1 src1_sel:DWORD
	v_sub_i16 v1, v7, v1 clamp
	v_lshlrev_b16_sdwa v6, v45, v6 dst_sel:DWORD dst_unused:UNUSED_PAD src0_sel:DWORD src1_sel:WORD_1
	v_lshlrev_b16_e32 v0, 8, v0
	v_and_b32_e32 v1, 0xffffff00, v1
	v_sub_i16 v0, v6, v0 clamp
	v_or_b32_sdwa v0, v0, v1 dst_sel:WORD_1 dst_unused:UNUSED_PAD src0_sel:BYTE_1 src1_sel:DWORD
	s_nop 0
	v_or_b32_sdwa v0, v5, v0 dst_sel:DWORD dst_unused:UNUSED_PAD src0_sel:WORD_0 src1_sel:DWORD
	v_dot4c_i32_i8_e32 v49, v0, v2
	v_xor_b32_e32 v0, v10, v43
	v_and_b32_e32 v1, 0xffffff00, v0
	v_sub_i16 v1, v1, v41 clamp
	v_lshlrev_b16_e32 v2, 8, v0
	v_and_b32_e32 v1, 0xffffff00, v1
	v_sub_i16 v2, v2, v42 clamp
	v_or_b32_sdwa v1, v2, v1 dst_sel:DWORD dst_unused:UNUSED_PAD src0_sel:BYTE_1 src1_sel:DWORD
	v_and_b32_sdwa v2, v0, s30 dst_sel:DWORD dst_unused:UNUSED_PAD src0_sel:WORD_1 src1_sel:DWORD
	v_sub_i16 v2, v2, v39 clamp
	v_lshlrev_b16_sdwa v0, v45, v0 dst_sel:DWORD dst_unused:UNUSED_PAD src0_sel:DWORD src1_sel:WORD_1
	v_and_b32_e32 v2, 0xffffff00, v2
	v_sub_i16 v0, v0, v40 clamp
	v_or_b32_sdwa v0, v0, v2 dst_sel:WORD_1 dst_unused:UNUSED_PAD src0_sel:BYTE_1 src1_sel:DWORD
	s_nop 0
	v_or_b32_sdwa v0, v1, v0 dst_sel:DWORD dst_unused:UNUSED_PAD src0_sel:WORD_0 src1_sel:DWORD
	v_dot4c_i32_i8_e32 v49, v0, v3
	v_xor_b32_e32 v0, v11, v34
	v_and_b32_e32 v1, 0xffffff00, v0
	v_sub_i16 v1, v1, v33 clamp
	v_lshlrev_b16_e32 v2, 8, v0
	v_and_b32_e32 v1, 0xffffff00, v1
	v_sub_i16 v2, v2, v35 clamp
	v_or_b32_sdwa v1, v2, v1 dst_sel:DWORD dst_unused:UNUSED_PAD src0_sel:BYTE_1 src1_sel:DWORD
	v_and_b32_sdwa v2, v0, s30 dst_sel:DWORD dst_unused:UNUSED_PAD src0_sel:WORD_1 src1_sel:DWORD
	v_sub_i16 v2, v2, v32 clamp
	v_lshlrev_b16_sdwa v0, v45, v0 dst_sel:DWORD dst_unused:UNUSED_PAD src0_sel:DWORD src1_sel:WORD_1
	v_and_b32_e32 v2, 0xffffff00, v2
	v_sub_i16 v0, v0, v36 clamp
	v_or_b32_sdwa v0, v0, v2 dst_sel:WORD_1 dst_unused:UNUSED_PAD src0_sel:BYTE_1 src1_sel:DWORD
	s_nop 0
	v_or_b32_sdwa v0, v1, v0 dst_sel:DWORD dst_unused:UNUSED_PAD src0_sel:WORD_0 src1_sel:DWORD
	v_mul_lo_u32 v1, v54, v38
	v_ashrrev_i32_e32 v2, 31, v1
	v_dot4c_i32_i8_e32 v49, v0, v53
	v_lshrrev_b32_e32 v2, 29, v2
	v_add_u32_e32 v1, v1, v2
	v_ashrrev_i32_e32 v2, 3, v1
	v_mul_lo_u32 v0, v49, v37
	v_ashrrev_i32_e32 v1, 31, v0
	v_lshrrev_b32_e32 v1, 29, v1
	v_add_u32_e32 v0, v0, v1
	v_ashrrev_i32_e32 v3, 3, v0
	v_pk_mul_f32 v[0:1], v[4:5], v[8:9] op_sel_hi:[0,1]
	scratch_load_dwordx2 v[4:5], off, off offset:48
	v_cvt_f32_i32_e32 v3, v3
	v_cvt_f32_i32_e32 v2, v2
	s_waitcnt vmcnt(0)
	v_pk_fma_f32 v[0:1], v[0:1], v[2:3], v[4:5]
	scratch_store_dwordx2 off, v[0:1], off offset:48
	s_andn2_b64 exec, exec, s[12:13]
	s_cbranch_execnz .LBB166_2
.LBB166_3:
	s_or_b64 exec, exec, s[6:7]
	s_mov_b32 s5, 0
	v_cmp_eq_u32_e32 vcc, 0, v13
	s_waitcnt lgkmcnt(0)
	; wave barrier
	s_and_saveexec_b64 s[6:7], vcc
	s_cbranch_execz .LBB166_18
; %bb.4:
	scratch_load_dwordx2 v[2:3], off, off
	v_mbcnt_lo_u32_b32 v0, -1, 0
	v_mbcnt_hi_u32_b32 v13, -1, v0
	s_load_dwordx2 s[6:7], s[0:1], 0x38
	s_mul_i32 s0, s3, s14
	v_or_b32_e32 v1, s2, v12
	v_and_b32_e32 v0, 64, v13
	s_mul_i32 s4, s4, s18
	s_add_i32 s2, s0, s2
	v_cmp_gt_u32_e64 s[0:1], s10, v1
	v_xor_b32_e32 v1, 32, v13
	v_add_u32_e32 v14, 64, v0
	s_add_i32 s4, s2, s4
	v_cmp_lt_i32_e64 s[2:3], v1, v14
	v_cmp_gt_u32_e32 vcc, 2, v12
	s_nop 0
	v_cndmask_b32_e64 v0, v13, v1, s[2:3]
	v_lshlrev_b32_e32 v0, 2, v0
	v_xor_b32_e32 v1, 16, v13
	v_cmp_lt_i32_e64 s[2:3], v1, v14
	s_waitcnt vmcnt(0)
	ds_bpermute_b32 v4, v0, v2
	ds_bpermute_b32 v5, v0, v3
	v_cndmask_b32_e64 v1, v13, v1, s[2:3]
	v_lshlrev_b32_e32 v1, 2, v1
	s_waitcnt lgkmcnt(0)
	v_pk_add_f32 v[4:5], v[2:3], v[4:5]
	ds_bpermute_b32 v6, v1, v4
	ds_bpermute_b32 v7, v1, v5
	v_xor_b32_e32 v2, 8, v13
	v_cmp_lt_i32_e64 s[2:3], v2, v14
	v_xor_b32_e32 v3, 4, v13
	s_waitcnt lgkmcnt(0)
	v_pk_add_f32 v[4:5], v[4:5], v[6:7]
	v_cndmask_b32_e64 v2, v13, v2, s[2:3]
	v_lshlrev_b32_e32 v2, 2, v2
	ds_bpermute_b32 v6, v2, v4
	ds_bpermute_b32 v7, v2, v5
	v_cmp_lt_i32_e64 s[2:3], v3, v14
	s_waitcnt lgkmcnt(0)
	v_pk_add_f32 v[6:7], v[4:5], v[6:7]
	v_cndmask_b32_e64 v3, v13, v3, s[2:3]
	v_lshlrev_b32_e32 v3, 2, v3
	ds_bpermute_b32 v8, v3, v6
	ds_bpermute_b32 v9, v3, v7
	v_xor_b32_e32 v4, 2, v13
	v_cmp_lt_i32_e64 s[2:3], v4, v14
	v_xor_b32_e32 v5, 1, v13
	s_waitcnt lgkmcnt(0)
	v_pk_add_f32 v[8:9], v[6:7], v[8:9]
	v_cndmask_b32_e64 v4, v13, v4, s[2:3]
	v_lshlrev_b32_e32 v4, 2, v4
	ds_bpermute_b32 v10, v4, v8
	ds_bpermute_b32 v11, v4, v9
	v_cmp_lt_i32_e64 s[2:3], v5, v14
	s_waitcnt lgkmcnt(0)
	v_pk_add_f32 v[8:9], v[8:9], v[10:11]
	v_cndmask_b32_e64 v5, v13, v5, s[2:3]
	v_lshlrev_b32_e32 v6, 2, v5
	ds_bpermute_b32 v10, v6, v8
	ds_bpermute_b32 v11, v6, v9
	s_lshl_b64 s[2:3], s[4:5], 2
	s_add_u32 s2, s6, s2
	s_addc_u32 s3, s7, s3
	s_and_b64 s[0:1], vcc, s[0:1]
	s_waitcnt lgkmcnt(0)
	v_pk_add_f32 v[8:9], v[8:9], v[10:11]
	v_lshlrev_b32_e32 v5, 2, v12
	scratch_store_dwordx2 off, v[8:9], off
	s_and_saveexec_b64 s[4:5], s[0:1]
	s_cbranch_execz .LBB166_6
; %bb.5:
	scratch_load_dword v7, v5, off
	s_waitcnt vmcnt(0)
	global_store_dword v5, v7, s[2:3]
.LBB166_6:
	s_or_b64 exec, exec, s[4:5]
	scratch_load_dwordx2 v[8:9], off, off offset:8
	s_waitcnt vmcnt(0)
	ds_bpermute_b32 v10, v0, v8
	ds_bpermute_b32 v11, v0, v9
	s_waitcnt lgkmcnt(0)
	v_pk_add_f32 v[8:9], v[8:9], v[10:11]
	ds_bpermute_b32 v10, v1, v8
	ds_bpermute_b32 v11, v1, v9
	s_waitcnt lgkmcnt(0)
	v_pk_add_f32 v[8:9], v[8:9], v[10:11]
	;; [unrolled: 4-line block ×6, first 2 shown]
	scratch_store_dwordx2 off, v[8:9], off offset:8
	s_and_saveexec_b64 s[4:5], s[0:1]
	s_cbranch_execz .LBB166_8
; %bb.7:
	scratch_load_dword v7, v5, off offset:8
	v_add_u32_e32 v8, s10, v12
	v_mov_b32_e32 v9, 0
	v_lshl_add_u64 v[8:9], v[8:9], 2, s[2:3]
	s_waitcnt vmcnt(0)
	global_store_dword v[8:9], v7, off
.LBB166_8:
	s_or_b64 exec, exec, s[4:5]
	scratch_load_dwordx2 v[8:9], off, off offset:16
	s_waitcnt vmcnt(0)
	ds_bpermute_b32 v10, v0, v8
	ds_bpermute_b32 v11, v0, v9
	s_waitcnt lgkmcnt(0)
	v_pk_add_f32 v[8:9], v[8:9], v[10:11]
	ds_bpermute_b32 v10, v1, v8
	ds_bpermute_b32 v11, v1, v9
	s_waitcnt lgkmcnt(0)
	v_pk_add_f32 v[8:9], v[8:9], v[10:11]
	;; [unrolled: 4-line block ×6, first 2 shown]
	scratch_store_dwordx2 off, v[8:9], off offset:16
	s_and_saveexec_b64 s[4:5], s[0:1]
	s_cbranch_execz .LBB166_10
; %bb.9:
	scratch_load_dword v7, v5, off offset:16
	v_lshl_or_b32 v8, s10, 1, v12
	v_mov_b32_e32 v9, 0
	v_lshl_add_u64 v[8:9], v[8:9], 2, s[2:3]
	s_waitcnt vmcnt(0)
	global_store_dword v[8:9], v7, off
.LBB166_10:
	s_or_b64 exec, exec, s[4:5]
	scratch_load_dwordx2 v[8:9], off, off offset:24
	s_waitcnt vmcnt(0)
	ds_bpermute_b32 v10, v0, v8
	ds_bpermute_b32 v11, v0, v9
	s_waitcnt lgkmcnt(0)
	v_pk_add_f32 v[8:9], v[8:9], v[10:11]
	ds_bpermute_b32 v10, v1, v8
	ds_bpermute_b32 v11, v1, v9
	s_waitcnt lgkmcnt(0)
	v_pk_add_f32 v[8:9], v[8:9], v[10:11]
	;; [unrolled: 4-line block ×6, first 2 shown]
	scratch_store_dwordx2 off, v[8:9], off offset:24
	s_and_saveexec_b64 s[4:5], s[0:1]
	s_cbranch_execz .LBB166_12
; %bb.11:
	scratch_load_dword v7, v5, off offset:24
	v_mad_u64_u32 v[8:9], s[6:7], s10, 3, v[12:13]
	v_mov_b32_e32 v9, 0
	v_lshl_add_u64 v[8:9], v[8:9], 2, s[2:3]
	s_waitcnt vmcnt(0)
	global_store_dword v[8:9], v7, off
.LBB166_12:
	s_or_b64 exec, exec, s[4:5]
	scratch_load_dwordx2 v[8:9], off, off offset:32
	s_waitcnt vmcnt(0)
	ds_bpermute_b32 v10, v0, v8
	ds_bpermute_b32 v11, v0, v9
	s_waitcnt lgkmcnt(0)
	v_pk_add_f32 v[8:9], v[8:9], v[10:11]
	ds_bpermute_b32 v10, v1, v8
	ds_bpermute_b32 v11, v1, v9
	s_waitcnt lgkmcnt(0)
	v_pk_add_f32 v[8:9], v[8:9], v[10:11]
	ds_bpermute_b32 v10, v2, v8
	ds_bpermute_b32 v11, v2, v9
	s_waitcnt lgkmcnt(0)
	v_pk_add_f32 v[8:9], v[8:9], v[10:11]
	ds_bpermute_b32 v10, v3, v8
	ds_bpermute_b32 v11, v3, v9
	s_waitcnt lgkmcnt(0)
	v_pk_add_f32 v[8:9], v[8:9], v[10:11]
	ds_bpermute_b32 v10, v4, v8
	ds_bpermute_b32 v11, v4, v9
	s_waitcnt lgkmcnt(0)
	v_pk_add_f32 v[8:9], v[8:9], v[10:11]
	ds_bpermute_b32 v10, v6, v8
	ds_bpermute_b32 v11, v6, v9
	s_waitcnt lgkmcnt(0)
	v_pk_add_f32 v[8:9], v[8:9], v[10:11]
	scratch_store_dwordx2 off, v[8:9], off offset:32
	s_and_saveexec_b64 s[4:5], s[0:1]
	s_cbranch_execz .LBB166_14
; %bb.13:
	scratch_load_dword v7, v5, off offset:32
	v_lshl_or_b32 v8, s10, 2, v12
	v_mov_b32_e32 v9, 0
	v_lshl_add_u64 v[8:9], v[8:9], 2, s[2:3]
	s_waitcnt vmcnt(0)
	global_store_dword v[8:9], v7, off
.LBB166_14:
	s_or_b64 exec, exec, s[4:5]
	scratch_load_dwordx2 v[8:9], off, off offset:40
	s_waitcnt vmcnt(0)
	ds_bpermute_b32 v10, v0, v8
	ds_bpermute_b32 v11, v0, v9
	s_waitcnt lgkmcnt(0)
	v_pk_add_f32 v[8:9], v[8:9], v[10:11]
	ds_bpermute_b32 v10, v1, v8
	ds_bpermute_b32 v11, v1, v9
	s_waitcnt lgkmcnt(0)
	v_pk_add_f32 v[8:9], v[8:9], v[10:11]
	;; [unrolled: 4-line block ×6, first 2 shown]
	scratch_store_dwordx2 off, v[8:9], off offset:40
	s_and_saveexec_b64 s[4:5], s[0:1]
	s_cbranch_execz .LBB166_16
; %bb.15:
	scratch_load_dword v7, v5, off offset:40
	v_mad_u64_u32 v[8:9], s[6:7], s10, 5, v[12:13]
	v_mov_b32_e32 v9, 0
	v_lshl_add_u64 v[8:9], v[8:9], 2, s[2:3]
	s_waitcnt vmcnt(0)
	global_store_dword v[8:9], v7, off
.LBB166_16:
	s_or_b64 exec, exec, s[4:5]
	scratch_load_dwordx2 v[8:9], off, off offset:48
	s_waitcnt vmcnt(0)
	ds_bpermute_b32 v10, v0, v8
	ds_bpermute_b32 v11, v0, v9
	s_waitcnt lgkmcnt(0)
	v_pk_add_f32 v[8:9], v[8:9], v[10:11]
	ds_bpermute_b32 v0, v1, v8
	ds_bpermute_b32 v1, v1, v9
	s_waitcnt lgkmcnt(0)
	v_pk_add_f32 v[0:1], v[8:9], v[0:1]
	;; [unrolled: 4-line block ×6, first 2 shown]
	scratch_store_dwordx2 off, v[0:1], off offset:48
	s_and_b64 exec, exec, s[0:1]
	s_cbranch_execz .LBB166_18
; %bb.17:
	scratch_load_dword v2, v5, off offset:48
	s_mul_i32 s0, s10, 6
	v_or_b32_e32 v0, s0, v12
	v_mov_b32_e32 v1, 0
	v_lshl_add_u64 v[0:1], v[0:1], 2, s[2:3]
	s_waitcnt vmcnt(0)
	global_store_dword v[0:1], v2, off
.LBB166_18:
	s_endpgm
	.section	.rodata,"a",@progbits
	.p2align	6, 0x0
	.amdhsa_kernel _ZL13mul_mat_vec_qIL9ggml_type16ELi7ELb0ELb0EEvPKvS2_PKi31ggml_cuda_mm_fusion_args_devicePfj15HIP_vector_typeIjLj3EEjjjS8_jjjS8_jjjj
		.amdhsa_group_segment_fixed_size 0
		.amdhsa_private_segment_fixed_size 64
		.amdhsa_kernarg_size 144
		.amdhsa_user_sgpr_count 2
		.amdhsa_user_sgpr_dispatch_ptr 0
		.amdhsa_user_sgpr_queue_ptr 0
		.amdhsa_user_sgpr_kernarg_segment_ptr 1
		.amdhsa_user_sgpr_dispatch_id 0
		.amdhsa_user_sgpr_kernarg_preload_length 0
		.amdhsa_user_sgpr_kernarg_preload_offset 0
		.amdhsa_user_sgpr_private_segment_size 0
		.amdhsa_uses_dynamic_stack 0
		.amdhsa_enable_private_segment 1
		.amdhsa_system_sgpr_workgroup_id_x 1
		.amdhsa_system_sgpr_workgroup_id_y 1
		.amdhsa_system_sgpr_workgroup_id_z 1
		.amdhsa_system_sgpr_workgroup_info 0
		.amdhsa_system_vgpr_workitem_id 1
		.amdhsa_next_free_vgpr 83
		.amdhsa_next_free_sgpr 36
		.amdhsa_accum_offset 84
		.amdhsa_reserve_vcc 1
		.amdhsa_float_round_mode_32 0
		.amdhsa_float_round_mode_16_64 0
		.amdhsa_float_denorm_mode_32 3
		.amdhsa_float_denorm_mode_16_64 3
		.amdhsa_dx10_clamp 1
		.amdhsa_ieee_mode 1
		.amdhsa_fp16_overflow 0
		.amdhsa_tg_split 0
		.amdhsa_exception_fp_ieee_invalid_op 0
		.amdhsa_exception_fp_denorm_src 0
		.amdhsa_exception_fp_ieee_div_zero 0
		.amdhsa_exception_fp_ieee_overflow 0
		.amdhsa_exception_fp_ieee_underflow 0
		.amdhsa_exception_fp_ieee_inexact 0
		.amdhsa_exception_int_div_zero 0
	.end_amdhsa_kernel
	.section	.text._ZL13mul_mat_vec_qIL9ggml_type16ELi7ELb0ELb0EEvPKvS2_PKi31ggml_cuda_mm_fusion_args_devicePfj15HIP_vector_typeIjLj3EEjjjS8_jjjS8_jjjj,"axG",@progbits,_ZL13mul_mat_vec_qIL9ggml_type16ELi7ELb0ELb0EEvPKvS2_PKi31ggml_cuda_mm_fusion_args_devicePfj15HIP_vector_typeIjLj3EEjjjS8_jjjS8_jjjj,comdat
.Lfunc_end166:
	.size	_ZL13mul_mat_vec_qIL9ggml_type16ELi7ELb0ELb0EEvPKvS2_PKi31ggml_cuda_mm_fusion_args_devicePfj15HIP_vector_typeIjLj3EEjjjS8_jjjS8_jjjj, .Lfunc_end166-_ZL13mul_mat_vec_qIL9ggml_type16ELi7ELb0ELb0EEvPKvS2_PKi31ggml_cuda_mm_fusion_args_devicePfj15HIP_vector_typeIjLj3EEjjjS8_jjjS8_jjjj
                                        ; -- End function
	.section	.AMDGPU.csdata,"",@progbits
; Kernel info:
; codeLenInByte = 18552
; NumSgprs: 42
; NumVgprs: 83
; NumAgprs: 0
; TotalNumVgprs: 83
; ScratchSize: 64
; MemoryBound: 0
; FloatMode: 240
; IeeeMode: 1
; LDSByteSize: 0 bytes/workgroup (compile time only)
; SGPRBlocks: 5
; VGPRBlocks: 10
; NumSGPRsForWavesPerEU: 42
; NumVGPRsForWavesPerEU: 83
; AccumOffset: 84
; Occupancy: 5
; WaveLimiterHint : 0
; COMPUTE_PGM_RSRC2:SCRATCH_EN: 1
; COMPUTE_PGM_RSRC2:USER_SGPR: 2
; COMPUTE_PGM_RSRC2:TRAP_HANDLER: 0
; COMPUTE_PGM_RSRC2:TGID_X_EN: 1
; COMPUTE_PGM_RSRC2:TGID_Y_EN: 1
; COMPUTE_PGM_RSRC2:TGID_Z_EN: 1
; COMPUTE_PGM_RSRC2:TIDIG_COMP_CNT: 1
; COMPUTE_PGM_RSRC3_GFX90A:ACCUM_OFFSET: 20
; COMPUTE_PGM_RSRC3_GFX90A:TG_SPLIT: 0
	.section	.text._ZL13mul_mat_vec_qIL9ggml_type16ELi8ELb0ELb0EEvPKvS2_PKi31ggml_cuda_mm_fusion_args_devicePfj15HIP_vector_typeIjLj3EEjjjS8_jjjS8_jjjj,"axG",@progbits,_ZL13mul_mat_vec_qIL9ggml_type16ELi8ELb0ELb0EEvPKvS2_PKi31ggml_cuda_mm_fusion_args_devicePfj15HIP_vector_typeIjLj3EEjjjS8_jjjS8_jjjj,comdat
	.globl	_ZL13mul_mat_vec_qIL9ggml_type16ELi8ELb0ELb0EEvPKvS2_PKi31ggml_cuda_mm_fusion_args_devicePfj15HIP_vector_typeIjLj3EEjjjS8_jjjS8_jjjj ; -- Begin function _ZL13mul_mat_vec_qIL9ggml_type16ELi8ELb0ELb0EEvPKvS2_PKi31ggml_cuda_mm_fusion_args_devicePfj15HIP_vector_typeIjLj3EEjjjS8_jjjS8_jjjj
	.p2align	8
	.type	_ZL13mul_mat_vec_qIL9ggml_type16ELi8ELb0ELb0EEvPKvS2_PKi31ggml_cuda_mm_fusion_args_devicePfj15HIP_vector_typeIjLj3EEjjjS8_jjjS8_jjjj,@function
_ZL13mul_mat_vec_qIL9ggml_type16ELi8ELb0ELb0EEvPKvS2_PKi31ggml_cuda_mm_fusion_args_devicePfj15HIP_vector_typeIjLj3EEjjjS8_jjjS8_jjjj: ; @_ZL13mul_mat_vec_qIL9ggml_type16ELi8ELb0ELb0EEvPKvS2_PKi31ggml_cuda_mm_fusion_args_devicePfj15HIP_vector_typeIjLj3EEjjjS8_jjjS8_jjjj
; %bb.0:
	v_bfe_u32 v13, v0, 10, 10
	v_and_b32_e32 v12, 0x3ff, v0
	s_mov_b32 s20, 0
	s_load_dword s5, s[0:1], 0x40
	s_load_dwordx4 s[8:11], s[0:1], 0x50
	s_load_dword s27, s[0:1], 0x60
	s_load_dwordx4 s[12:15], s[0:1], 0x68
	;; [unrolled: 2-line block ×3, first 2 shown]
	v_lshl_or_b32 v4, v13, 6, v12
	s_mov_b32 s21, s20
	s_waitcnt lgkmcnt(0)
	s_lshr_b32 s5, s5, 8
	s_mov_b32 s22, s20
	s_mov_b32 s23, s20
	v_mov_b64_e32 v[0:1], s[20:21]
	v_lshrrev_b32_e32 v17, 3, v4
	s_lshl_b32 s2, s2, 1
	v_mov_b64_e32 v[2:3], s[22:23]
	v_cmp_gt_u32_e32 vcc, s5, v17
	scratch_store_dwordx4 off, v[0:3], off offset:48
	scratch_store_dwordx4 off, v[0:3], off offset:32
	;; [unrolled: 1-line block ×3, first 2 shown]
	scratch_store_dwordx4 off, v[0:3], off
	s_and_saveexec_b64 s[6:7], vcc
	s_cbranch_execz .LBB167_3
; %bb.1:
	s_load_dwordx4 s[20:23], s[0:1], 0x0
	s_mul_i32 s17, s4, s17
	s_mul_i32 s24, s17, 36
	;; [unrolled: 1-line block ×3, first 2 shown]
	s_mul_hi_u32 s19, s17, 36
	s_waitcnt lgkmcnt(0)
	s_add_u32 s24, s22, s24
	s_addc_u32 s19, s23, s19
	s_mul_i32 s28, s13, 36
	s_mul_hi_u32 s29, s13, 36
	s_add_u32 s24, s24, s28
	s_mul_hi_u32 s11, s11, s3
	s_addc_u32 s25, s19, s29
	s_add_i32 s11, s3, s11
	s_lshr_b32 s11, s11, s27
	s_mul_i32 s11, s11, s12
	s_mul_hi_u32 s12, s15, s4
	s_add_i32 s12, s4, s12
	s_lshr_b32 s12, s12, s26
	s_mul_i32 s12, s12, s16
	s_mul_i32 s13, s2, s8
	s_add_i32 s12, s12, s11
	s_add_i32 s11, s12, s13
	s_add_i32 s13, s2, 1
	s_mul_i32 s8, s8, s13
	v_lshl_add_u32 v1, v13, 6, v12
	s_add_i32 s8, s12, s8
	v_lshrrev_b32_e32 v1, 3, v1
	s_movk_i32 s12, 0x120
	v_mov_b64_e32 v[2:3], s[28:29]
	v_mad_u64_u32 v[2:3], s[12:13], v1, s12, v[2:3]
	v_lshlrev_b32_e32 v0, 1, v12
	v_and_b32_e32 v16, 7, v12
	v_mad_u64_u32 v[2:3], s[12:13], s17, 36, v[2:3]
	v_and_b32_e32 v0, 14, v0
	v_mad_u64_u32 v[2:3], s[12:13], v16, 36, v[2:3]
	v_lshlrev_b32_e32 v0, 1, v0
	v_lshl_add_u64 v[2:3], v[2:3], 0, s[22:23]
	v_mov_b32_e32 v15, 0
	v_lshlrev_b32_e32 v42, 3, v17
	s_mul_i32 s15, s9, 7
	s_mul_i32 s19, s9, 6
	;; [unrolled: 1-line block ×3, first 2 shown]
	s_lshl_b32 s27, s9, 2
	v_lshl_add_u64 v[18:19], v[2:3], 0, 16
	s_lshl_b32 s22, s9, 1
	s_mul_i32 s23, s9, 3
	s_mov_b64 s[12:13], 0
	s_movk_i32 s28, 0x42
	v_mov_b64_e32 v[20:21], s[20:21]
	v_lshlrev_b32_e32 v14, 1, v0
	s_mov_b32 s29, 0xffff
	s_mov_b32 s30, 0x1010101
	s_movk_i32 s31, 0xff00
	s_mov_b64 s[16:17], 0x900
	v_mov_b32_e32 v43, 8
	v_mov_b32_e32 v44, 3
.LBB167_2:                              ; =>This Inner Loop Header: Depth=1
	v_add_u32_e32 v8, s11, v17
	v_mad_i64_i32 v[22:23], s[20:21], v8, s28, v[20:21]
	v_lshl_add_u64 v[28:29], v[22:23], 0, v[14:15]
	global_load_dword v51, v[18:19], off offset:16
	global_load_dwordx4 v[0:3], v[18:19], off
	global_load_dwordx4 v[4:7], v[18:19], off offset:-16
	global_load_ushort v8, v[28:29], off offset:2
	global_load_dword v48, v[28:29], off offset:2
	global_load_dword v47, v[28:29], off offset:4
	s_getpc_b64 s[20:21]
	s_add_u32 s20, s20, _ZL11iq2xxs_grid@rel32@lo+4
	s_addc_u32 s21, s21, _ZL11iq2xxs_grid@rel32@hi+12
	v_mov_b32_e32 v52, 0
	global_load_dword v46, v[28:29], off offset:6
	v_lshl_add_u64 v[18:19], v[18:19], 0, s[16:17]
	s_waitcnt vmcnt(3)
	v_and_b32_sdwa v9, s29, v8 dst_sel:DWORD dst_unused:UNUSED_PAD src0_sel:DWORD src1_sel:BYTE_0
	v_lshlrev_b32_e32 v9, 3, v9
	global_load_dwordx2 v[32:33], v9, s[20:21]
	s_waitcnt vmcnt(2)
	v_bfe_u32 v9, v47, 16, 8
	v_bcnt_u32_b32 v10, v9, 0
	v_and_b32_e32 v10, 1, v10
	v_lshlrev_b32_e32 v10, 7, v10
	v_xor_b32_e32 v9, v10, v9
	v_mul_lo_u32 v9, v9, s30
	v_and_b32_e32 v10, 0x8000000, v9
	v_lshrrev_b32_e32 v24, 8, v9
	v_lshrrev_b32_e32 v54, 16, v47
	v_lshrrev_b16_e32 v25, 1, v24
	v_cmp_ne_u16_sdwa s[34:35], v10, v15 src0_sel:BYTE_3 src1_sel:DWORD
	v_and_b32_e32 v11, 1, v54
	v_bfe_i32 v25, v25, 0, 1
	v_lshrrev_b32_e32 v26, 18, v9
	v_cndmask_b32_e64 v10, 0, -1, s[34:35]
	v_sub_u16_e32 v11, 0, v11
	v_bfe_i32 v26, v26, 0, 1
	v_lshlrev_b16_e32 v10, 8, v10
	v_lshlrev_b16_e32 v25, 8, v25
	v_or_b32_sdwa v27, v26, v10 dst_sel:WORD_1 dst_unused:UNUSED_PAD src0_sel:BYTE_0 src1_sel:DWORD
	v_or_b32_sdwa v30, v11, v25 dst_sel:DWORD dst_unused:UNUSED_PAD src0_sel:BYTE_0 src1_sel:DWORD
	v_or_b32_sdwa v27, v30, v27 dst_sel:DWORD dst_unused:UNUSED_PAD src0_sel:WORD_0 src1_sel:DWORD
	v_lshlrev_b16_e32 v11, 8, v11
	v_lshlrev_b16_e32 v26, 8, v26
	v_lshrrev_b16_e32 v24, 5, v24
	v_bfe_i32 v24, v24, 0, 1
	v_lshlrev_b16_e32 v24, 8, v24
	v_lshlrev_b32_sdwa v8, v44, v8 dst_sel:DWORD dst_unused:UNUSED_PAD src0_sel:DWORD src1_sel:BYTE_1
	v_bfe_u32 v63, v47, 23, 8
	v_bcnt_u32_b32 v64, v63, 0
	v_and_b32_e32 v64, 1, v64
	v_lshlrev_b32_e32 v64, 7, v64
	v_xor_b32_e32 v63, v64, v63
	v_mul_lo_u32 v63, v63, s30
	v_and_b32_e32 v64, 0x8000000, v63
	v_lshrrev_b32_e32 v65, 8, v63
	v_lshrrev_b16_e32 v66, 1, v65
	v_bfe_i32 v66, v66, 0, 1
	v_lshrrev_b32_e32 v67, 18, v63
	v_bfe_i32 v55, v54, 7, 1
	v_bfe_i32 v67, v67, 0, 1
	v_lshlrev_b16_e32 v66, 8, v66
	v_or_b32_sdwa v69, v55, v66 dst_sel:DWORD dst_unused:UNUSED_PAD src0_sel:BYTE_0 src1_sel:DWORD
	v_lshlrev_b16_e32 v55, 8, v55
	s_waitcnt vmcnt(1)
	v_and_b32_e32 v62, 0xffff0000, v46
	v_bfe_i32 v56, v54, 14, 1
	v_or_b32_e32 v62, v62, v54
	v_lshrrev_b32_e32 v61, 16, v46
	v_cvt_f32_f16_e32 v4, v4
	s_waitcnt vmcnt(0)
	v_xor_b32_e32 v27, v32, v27
	v_and_b32_e32 v30, 0xffffff00, v27
	v_sub_i16 v25, v30, v25 clamp
	v_lshlrev_b16_e32 v30, 8, v27
	v_and_b32_e32 v25, 0xffffff00, v25
	v_sub_i16 v11, v30, v11 clamp
	v_or_b32_sdwa v11, v11, v25 dst_sel:DWORD dst_unused:UNUSED_PAD src0_sel:BYTE_1 src1_sel:DWORD
	v_and_b32_sdwa v25, v27, s31 dst_sel:DWORD dst_unused:UNUSED_PAD src0_sel:WORD_1 src1_sel:DWORD
	v_sub_i16 v10, v25, v10 clamp
	v_lshlrev_b16_sdwa v25, v43, v27 dst_sel:DWORD dst_unused:UNUSED_PAD src0_sel:DWORD src1_sel:WORD_1
	v_and_b32_e32 v10, 0xffffff00, v10
	v_sub_i16 v25, v25, v26 clamp
	v_or_b32_sdwa v10, v25, v10 dst_sel:WORD_1 dst_unused:UNUSED_PAD src0_sel:BYTE_1 src1_sel:DWORD
	global_load_dwordx2 v[30:31], v8, s[20:21]
	v_or_b32_sdwa v10, v11, v10 dst_sel:DWORD dst_unused:UNUSED_PAD src0_sel:WORD_0 src1_sel:DWORD
	v_dot4c_i32_i8_e32 v52, v10, v5
	v_and_b32_e32 v10, 0x80000000, v9
	v_cmp_ne_u16_sdwa s[34:35], v10, v15 src0_sel:BYTE_3 src1_sel:DWORD
	v_lshrrev_b32_e32 v9, 22, v9
	v_bfe_i32 v11, v54, 4, 1
	v_cndmask_b32_e64 v10, 0, -1, s[34:35]
	v_bfe_i32 v9, v9, 0, 1
	v_lshlrev_b16_e32 v10, 8, v10
	v_or_b32_sdwa v25, v9, v10 dst_sel:WORD_1 dst_unused:UNUSED_PAD src0_sel:BYTE_0 src1_sel:DWORD
	v_or_b32_sdwa v26, v11, v24 dst_sel:DWORD dst_unused:UNUSED_PAD src0_sel:BYTE_0 src1_sel:DWORD
	v_or_b32_sdwa v25, v26, v25 dst_sel:DWORD dst_unused:UNUSED_PAD src0_sel:WORD_0 src1_sel:DWORD
	v_xor_b32_e32 v25, v33, v25
	v_and_b32_e32 v26, 0xffffff00, v25
	v_sub_i16 v24, v26, v24 clamp
	v_lshlrev_b16_e32 v26, 8, v25
	v_lshlrev_b16_e32 v11, 8, v11
	v_and_b32_e32 v24, 0xffffff00, v24
	v_sub_i16 v11, v26, v11 clamp
	v_or_b32_sdwa v11, v11, v24 dst_sel:DWORD dst_unused:UNUSED_PAD src0_sel:BYTE_1 src1_sel:DWORD
	v_and_b32_sdwa v24, v25, s31 dst_sel:DWORD dst_unused:UNUSED_PAD src0_sel:WORD_1 src1_sel:DWORD
	v_sub_i16 v10, v24, v10 clamp
	v_lshlrev_b16_sdwa v24, v43, v25 dst_sel:DWORD dst_unused:UNUSED_PAD src0_sel:DWORD src1_sel:WORD_1
	v_lshlrev_b16_e32 v9, 8, v9
	v_and_b32_e32 v10, 0xffffff00, v10
	v_sub_i16 v9, v24, v9 clamp
	v_or_b32_sdwa v9, v9, v10 dst_sel:WORD_1 dst_unused:UNUSED_PAD src0_sel:BYTE_1 src1_sel:DWORD
	v_lshlrev_b32_sdwa v8, v44, v48 dst_sel:DWORD dst_unused:UNUSED_PAD src0_sel:DWORD src1_sel:BYTE_2
	v_or_b32_sdwa v9, v11, v9 dst_sel:DWORD dst_unused:UNUSED_PAD src0_sel:WORD_0 src1_sel:DWORD
	v_lshlrev_b32_sdwa v24, v44, v48 dst_sel:DWORD dst_unused:UNUSED_PAD src0_sel:DWORD src1_sel:BYTE_3
	v_dot4c_i32_i8_e32 v52, v9, v6
	global_load_dwordx2 v[10:11], v8, s[20:21]
	s_nop 0
	global_load_dwordx2 v[8:9], v24, s[20:21]
	global_load_ushort v53, v[22:23], off
	v_add_u32_e32 v24, s8, v17
	v_mad_i64_i32 v[24:25], s[34:35], v24, s28, v[20:21]
	v_lshl_add_u64 v[26:27], v[24:25], 0, v[14:15]
	global_load_ushort v34, v[26:27], off offset:2
	global_load_dword v50, v[26:27], off offset:2
	global_load_dword v49, v[26:27], off offset:4
	v_bfe_i32 v54, v54, 11, 1
	global_load_dword v45, v[26:27], off offset:6
	v_add_u32_e32 v17, 8, v17
	v_cmp_le_u32_e32 vcc, s5, v17
	s_or_b64 s[12:13], vcc, s[12:13]
	s_waitcnt vmcnt(3)
	v_and_b32_sdwa v35, s29, v34 dst_sel:DWORD dst_unused:UNUSED_PAD src0_sel:DWORD src1_sel:BYTE_0
	v_lshlrev_b32_e32 v35, 3, v35
	global_load_dwordx2 v[36:37], v35, s[20:21]
	s_waitcnt vmcnt(2)
	v_bfe_u32 v35, v49, 16, 8
	v_bcnt_u32_b32 v38, v35, 0
	v_and_b32_e32 v38, 1, v38
	v_lshlrev_b32_e32 v38, 7, v38
	v_xor_b32_e32 v35, v38, v35
	v_mul_lo_u32 v35, v35, s30
	v_and_b32_e32 v38, 0x8000000, v35
	v_lshrrev_b32_e32 v40, 8, v35
	v_lshrrev_b32_e32 v57, 16, v49
	v_lshrrev_b16_e32 v41, 1, v40
	v_cmp_ne_u16_sdwa s[34:35], v38, v15 src0_sel:BYTE_3 src1_sel:DWORD
	v_and_b32_e32 v39, 1, v57
	v_bfe_i32 v41, v41, 0, 1
	v_lshrrev_b32_e32 v58, 18, v35
	v_cndmask_b32_e64 v38, 0, -1, s[34:35]
	v_sub_u16_e32 v39, 0, v39
	v_bfe_i32 v58, v58, 0, 1
	v_lshlrev_b16_e32 v38, 8, v38
	v_lshlrev_b16_e32 v41, 8, v41
	v_or_b32_sdwa v59, v58, v38 dst_sel:WORD_1 dst_unused:UNUSED_PAD src0_sel:BYTE_0 src1_sel:DWORD
	v_or_b32_sdwa v60, v39, v41 dst_sel:DWORD dst_unused:UNUSED_PAD src0_sel:BYTE_0 src1_sel:DWORD
	v_or_b32_sdwa v59, v60, v59 dst_sel:DWORD dst_unused:UNUSED_PAD src0_sel:WORD_0 src1_sel:DWORD
	v_lshlrev_b16_e32 v39, 8, v39
	v_lshlrev_b16_e32 v58, 8, v58
	s_waitcnt vmcnt(0)
	v_xor_b32_e32 v59, v36, v59
	v_and_b32_e32 v60, 0xffffff00, v59
	v_sub_i16 v41, v60, v41 clamp
	v_lshlrev_b16_e32 v60, 8, v59
	v_and_b32_e32 v41, 0xffffff00, v41
	v_sub_i16 v39, v60, v39 clamp
	v_or_b32_sdwa v39, v39, v41 dst_sel:DWORD dst_unused:UNUSED_PAD src0_sel:BYTE_1 src1_sel:DWORD
	v_and_b32_sdwa v41, v59, s31 dst_sel:DWORD dst_unused:UNUSED_PAD src0_sel:WORD_1 src1_sel:DWORD
	v_sub_i16 v38, v41, v38 clamp
	v_lshlrev_b16_sdwa v41, v43, v59 dst_sel:DWORD dst_unused:UNUSED_PAD src0_sel:DWORD src1_sel:WORD_1
	v_and_b32_e32 v38, 0xffffff00, v38
	v_sub_i16 v41, v41, v58 clamp
	v_or_b32_sdwa v38, v41, v38 dst_sel:WORD_1 dst_unused:UNUSED_PAD src0_sel:BYTE_1 src1_sel:DWORD
	v_mov_b32_e32 v58, 0
	v_or_b32_sdwa v38, v39, v38 dst_sel:DWORD dst_unused:UNUSED_PAD src0_sel:WORD_0 src1_sel:DWORD
	v_dot4c_i32_i8_e32 v58, v38, v5
	v_and_b32_e32 v5, 0x80000000, v35
	v_cmp_ne_u16_sdwa s[34:35], v5, v15 src0_sel:BYTE_3 src1_sel:DWORD
	v_lshrrev_b16_e32 v39, 5, v40
	v_bfe_i32 v39, v39, 0, 1
	v_cndmask_b32_e64 v5, 0, -1, s[34:35]
	v_cmp_ne_u16_sdwa s[34:35], v64, v15 src0_sel:BYTE_3 src1_sel:DWORD
	v_lshrrev_b32_e32 v35, 22, v35
	v_bfe_i32 v38, v57, 4, 1
	v_cndmask_b32_e64 v64, 0, -1, s[34:35]
	v_lshlrev_b16_e32 v64, 8, v64
	v_or_b32_sdwa v68, v67, v64 dst_sel:WORD_1 dst_unused:UNUSED_PAD src0_sel:BYTE_0 src1_sel:DWORD
	v_lshlrev_b16_e32 v67, 8, v67
	v_or_b32_sdwa v68, v69, v68 dst_sel:DWORD dst_unused:UNUSED_PAD src0_sel:WORD_0 src1_sel:DWORD
	v_xor_b32_e32 v68, v30, v68
	v_and_b32_e32 v69, 0xffffff00, v68
	v_sub_i16 v66, v69, v66 clamp
	v_lshlrev_b16_e32 v69, 8, v68
	v_and_b32_e32 v66, 0xffffff00, v66
	v_sub_i16 v55, v69, v55 clamp
	v_or_b32_sdwa v55, v55, v66 dst_sel:DWORD dst_unused:UNUSED_PAD src0_sel:BYTE_1 src1_sel:DWORD
	v_and_b32_sdwa v66, v68, s31 dst_sel:DWORD dst_unused:UNUSED_PAD src0_sel:WORD_1 src1_sel:DWORD
	v_sub_i16 v64, v66, v64 clamp
	v_lshlrev_b16_sdwa v66, v43, v68 dst_sel:DWORD dst_unused:UNUSED_PAD src0_sel:DWORD src1_sel:WORD_1
	v_and_b32_e32 v64, 0xffffff00, v64
	v_sub_i16 v66, v66, v67 clamp
	v_or_b32_sdwa v64, v66, v64 dst_sel:WORD_1 dst_unused:UNUSED_PAD src0_sel:BYTE_1 src1_sel:DWORD
	v_bfe_i32 v35, v35, 0, 1
	v_or_b32_sdwa v55, v55, v64 dst_sel:DWORD dst_unused:UNUSED_PAD src0_sel:WORD_0 src1_sel:DWORD
	v_dot4c_i32_i8_e32 v52, v55, v7
	v_and_b32_e32 v55, 0x80000000, v63
	v_lshrrev_b16_e32 v64, 5, v65
	v_cmp_ne_u16_sdwa s[34:35], v55, v15 src0_sel:BYTE_3 src1_sel:DWORD
	v_bfe_i32 v64, v64, 0, 1
	v_lshrrev_b32_e32 v63, 22, v63
	v_cndmask_b32_e64 v55, 0, -1, s[34:35]
	v_bfe_i32 v63, v63, 0, 1
	v_lshlrev_b16_e32 v55, 8, v55
	v_lshlrev_b16_e32 v64, 8, v64
	;; [unrolled: 1-line block ×4, first 2 shown]
	v_or_b32_sdwa v65, v63, v55 dst_sel:WORD_1 dst_unused:UNUSED_PAD src0_sel:BYTE_0 src1_sel:DWORD
	v_or_b32_sdwa v66, v54, v64 dst_sel:DWORD dst_unused:UNUSED_PAD src0_sel:BYTE_0 src1_sel:DWORD
	v_or_b32_sdwa v40, v35, v5 dst_sel:WORD_1 dst_unused:UNUSED_PAD src0_sel:BYTE_0 src1_sel:DWORD
	v_or_b32_sdwa v41, v38, v39 dst_sel:DWORD dst_unused:UNUSED_PAD src0_sel:BYTE_0 src1_sel:DWORD
	v_or_b32_sdwa v65, v66, v65 dst_sel:DWORD dst_unused:UNUSED_PAD src0_sel:WORD_0 src1_sel:DWORD
	v_or_b32_sdwa v40, v41, v40 dst_sel:DWORD dst_unused:UNUSED_PAD src0_sel:WORD_0 src1_sel:DWORD
	v_xor_b32_e32 v65, v31, v65
	v_xor_b32_e32 v40, v37, v40
	v_and_b32_e32 v66, 0xffffff00, v65
	v_and_b32_e32 v41, 0xffffff00, v40
	v_sub_i16 v64, v66, v64 clamp
	v_lshlrev_b16_e32 v66, 8, v65
	v_lshlrev_b16_e32 v54, 8, v54
	v_sub_i16 v39, v41, v39 clamp
	v_lshlrev_b16_e32 v41, 8, v40
	v_lshlrev_b16_e32 v38, 8, v38
	v_and_b32_e32 v64, 0xffffff00, v64
	v_sub_i16 v54, v66, v54 clamp
	v_and_b32_e32 v39, 0xffffff00, v39
	v_sub_i16 v38, v41, v38 clamp
	v_or_b32_sdwa v54, v54, v64 dst_sel:DWORD dst_unused:UNUSED_PAD src0_sel:BYTE_1 src1_sel:DWORD
	v_and_b32_sdwa v64, v65, s31 dst_sel:DWORD dst_unused:UNUSED_PAD src0_sel:WORD_1 src1_sel:DWORD
	v_or_b32_sdwa v38, v38, v39 dst_sel:DWORD dst_unused:UNUSED_PAD src0_sel:BYTE_1 src1_sel:DWORD
	v_and_b32_sdwa v39, v40, s31 dst_sel:DWORD dst_unused:UNUSED_PAD src0_sel:WORD_1 src1_sel:DWORD
	v_sub_i16 v55, v64, v55 clamp
	v_lshlrev_b16_sdwa v64, v43, v65 dst_sel:DWORD dst_unused:UNUSED_PAD src0_sel:DWORD src1_sel:WORD_1
	v_lshlrev_b16_e32 v63, 8, v63
	v_sub_i16 v5, v39, v5 clamp
	v_lshlrev_b16_sdwa v39, v43, v40 dst_sel:DWORD dst_unused:UNUSED_PAD src0_sel:DWORD src1_sel:WORD_1
	v_lshlrev_b16_e32 v35, 8, v35
	v_and_b32_e32 v55, 0xffffff00, v55
	v_sub_i16 v63, v64, v63 clamp
	v_and_b32_e32 v5, 0xffffff00, v5
	v_sub_i16 v35, v39, v35 clamp
	v_or_b32_sdwa v55, v63, v55 dst_sel:WORD_1 dst_unused:UNUSED_PAD src0_sel:BYTE_1 src1_sel:DWORD
	v_or_b32_sdwa v5, v35, v5 dst_sel:WORD_1 dst_unused:UNUSED_PAD src0_sel:BYTE_1 src1_sel:DWORD
	v_or_b32_sdwa v54, v54, v55 dst_sel:DWORD dst_unused:UNUSED_PAD src0_sel:WORD_0 src1_sel:DWORD
	v_or_b32_sdwa v5, v38, v5 dst_sel:DWORD dst_unused:UNUSED_PAD src0_sel:WORD_0 src1_sel:DWORD
	v_dot4c_i32_i8_e32 v52, v54, v0
	v_bfe_u32 v54, v62, 14, 8
	v_dot4c_i32_i8_e32 v58, v5, v6
	v_lshlrev_b32_sdwa v5, v44, v34 dst_sel:DWORD dst_unused:UNUSED_PAD src0_sel:DWORD src1_sel:BYTE_1
	v_bcnt_u32_b32 v55, v54, 0
	global_load_dwordx2 v[34:35], v5, s[20:21]
	v_and_b32_e32 v55, 1, v55
	v_lshlrev_b32_e32 v55, 7, v55
	v_xor_b32_e32 v54, v55, v54
	v_mul_lo_u32 v54, v54, s30
	v_and_b32_e32 v55, 0x8000000, v54
	v_lshrrev_b32_e32 v62, 8, v54
	v_lshrrev_b16_e32 v63, 1, v62
	v_cmp_ne_u16_sdwa s[34:35], v55, v15 src0_sel:BYTE_3 src1_sel:DWORD
	v_bfe_i32 v63, v63, 0, 1
	v_lshrrev_b32_e32 v64, 18, v54
	v_cndmask_b32_e64 v55, 0, -1, s[34:35]
	v_bfe_i32 v64, v64, 0, 1
	v_lshlrev_b16_e32 v55, 8, v55
	v_lshlrev_b16_e32 v63, 8, v63
	v_or_b32_sdwa v65, v64, v55 dst_sel:WORD_1 dst_unused:UNUSED_PAD src0_sel:BYTE_0 src1_sel:DWORD
	v_or_b32_sdwa v66, v56, v63 dst_sel:DWORD dst_unused:UNUSED_PAD src0_sel:BYTE_0 src1_sel:DWORD
	v_or_b32_sdwa v65, v66, v65 dst_sel:DWORD dst_unused:UNUSED_PAD src0_sel:WORD_0 src1_sel:DWORD
	v_xor_b32_e32 v10, v10, v65
	v_and_b32_e32 v65, 0xffffff00, v10
	v_sub_i16 v63, v65, v63 clamp
	v_lshlrev_b16_e32 v65, 8, v10
	v_lshlrev_b16_e32 v56, 8, v56
	v_and_b32_e32 v63, 0xffffff00, v63
	v_sub_i16 v56, v65, v56 clamp
	v_or_b32_sdwa v56, v56, v63 dst_sel:DWORD dst_unused:UNUSED_PAD src0_sel:BYTE_1 src1_sel:DWORD
	v_and_b32_sdwa v63, v10, s31 dst_sel:DWORD dst_unused:UNUSED_PAD src0_sel:WORD_1 src1_sel:DWORD
	v_sub_i16 v55, v63, v55 clamp
	v_lshlrev_b16_sdwa v10, v43, v10 dst_sel:DWORD dst_unused:UNUSED_PAD src0_sel:DWORD src1_sel:WORD_1
	v_lshlrev_b16_e32 v63, 8, v64
	v_and_b32_e32 v55, 0xffffff00, v55
	v_sub_i16 v10, v10, v63 clamp
	v_or_b32_sdwa v10, v10, v55 dst_sel:WORD_1 dst_unused:UNUSED_PAD src0_sel:BYTE_1 src1_sel:DWORD
	v_bfe_i32 v55, v61, 2, 1
	v_or_b32_sdwa v10, v56, v10 dst_sel:DWORD dst_unused:UNUSED_PAD src0_sel:WORD_0 src1_sel:DWORD
	v_dot4c_i32_i8_e32 v52, v10, v1
	v_and_b32_e32 v10, 0x80000000, v54
	v_lshrrev_b16_e32 v56, 5, v62
	v_cmp_ne_u16_sdwa s[34:35], v10, v15 src0_sel:BYTE_3 src1_sel:DWORD
	v_bfe_i32 v56, v56, 0, 1
	v_lshrrev_b32_e32 v54, 22, v54
	v_cndmask_b32_e64 v10, 0, -1, s[34:35]
	v_bfe_i32 v54, v54, 0, 1
	v_lshlrev_b16_e32 v10, 8, v10
	v_lshlrev_b16_e32 v56, 8, v56
	v_or_b32_sdwa v62, v54, v10 dst_sel:WORD_1 dst_unused:UNUSED_PAD src0_sel:BYTE_0 src1_sel:DWORD
	v_or_b32_sdwa v63, v55, v56 dst_sel:DWORD dst_unused:UNUSED_PAD src0_sel:BYTE_0 src1_sel:DWORD
	v_or_b32_sdwa v62, v63, v62 dst_sel:DWORD dst_unused:UNUSED_PAD src0_sel:WORD_0 src1_sel:DWORD
	v_xor_b32_e32 v11, v11, v62
	v_and_b32_e32 v62, 0xffffff00, v11
	v_sub_i16 v56, v62, v56 clamp
	v_lshlrev_b16_e32 v62, 8, v11
	v_lshlrev_b16_e32 v55, 8, v55
	v_and_b32_e32 v56, 0xffffff00, v56
	v_sub_i16 v55, v62, v55 clamp
	v_or_b32_sdwa v55, v55, v56 dst_sel:DWORD dst_unused:UNUSED_PAD src0_sel:BYTE_1 src1_sel:DWORD
	v_and_b32_sdwa v56, v11, s31 dst_sel:DWORD dst_unused:UNUSED_PAD src0_sel:WORD_1 src1_sel:DWORD
	v_sub_i16 v10, v56, v10 clamp
	v_lshlrev_b16_sdwa v11, v43, v11 dst_sel:DWORD dst_unused:UNUSED_PAD src0_sel:DWORD src1_sel:WORD_1
	v_lshlrev_b16_e32 v54, 8, v54
	v_and_b32_e32 v10, 0xffffff00, v10
	v_sub_i16 v11, v11, v54 clamp
	v_or_b32_sdwa v10, v11, v10 dst_sel:WORD_1 dst_unused:UNUSED_PAD src0_sel:BYTE_1 src1_sel:DWORD
	v_lshlrev_b32_sdwa v6, v44, v50 dst_sel:DWORD dst_unused:UNUSED_PAD src0_sel:DWORD src1_sel:BYTE_2
	global_load_dwordx2 v[40:41], v6, s[20:21]
	v_or_b32_sdwa v10, v55, v10 dst_sel:DWORD dst_unused:UNUSED_PAD src0_sel:WORD_0 src1_sel:DWORD
	v_dot4c_i32_i8_e32 v52, v10, v2
	v_bfe_u32 v10, v46, 21, 8
	v_bcnt_u32_b32 v11, v10, 0
	v_and_b32_e32 v11, 1, v11
	v_lshlrev_b32_e32 v11, 7, v11
	v_xor_b32_e32 v10, v11, v10
	v_mul_lo_u32 v10, v10, s30
	v_and_b32_e32 v11, 0x8000000, v10
	v_lshrrev_b32_e32 v55, 8, v10
	v_lshrrev_b16_e32 v56, 1, v55
	v_cmp_ne_u16_sdwa s[34:35], v11, v15 src0_sel:BYTE_3 src1_sel:DWORD
	v_bfe_i32 v56, v56, 0, 1
	v_lshrrev_b32_e32 v62, 18, v10
	v_cndmask_b32_e64 v11, 0, -1, s[34:35]
	v_bfe_i32 v54, v61, 5, 1
	v_bfe_i32 v62, v62, 0, 1
	v_lshlrev_b16_e32 v11, 8, v11
	v_lshlrev_b16_e32 v56, 8, v56
	v_or_b32_sdwa v63, v62, v11 dst_sel:WORD_1 dst_unused:UNUSED_PAD src0_sel:BYTE_0 src1_sel:DWORD
	v_or_b32_sdwa v64, v54, v56 dst_sel:DWORD dst_unused:UNUSED_PAD src0_sel:BYTE_0 src1_sel:DWORD
	v_or_b32_sdwa v63, v64, v63 dst_sel:DWORD dst_unused:UNUSED_PAD src0_sel:WORD_0 src1_sel:DWORD
	v_xor_b32_e32 v8, v8, v63
	v_and_b32_e32 v63, 0xffffff00, v8
	v_sub_i16 v56, v63, v56 clamp
	v_lshlrev_b16_e32 v63, 8, v8
	v_lshlrev_b16_e32 v54, 8, v54
	v_and_b32_e32 v56, 0xffffff00, v56
	v_sub_i16 v54, v63, v54 clamp
	v_or_b32_sdwa v54, v54, v56 dst_sel:DWORD dst_unused:UNUSED_PAD src0_sel:BYTE_1 src1_sel:DWORD
	v_and_b32_sdwa v56, v8, s31 dst_sel:DWORD dst_unused:UNUSED_PAD src0_sel:WORD_1 src1_sel:DWORD
	v_sub_i16 v11, v56, v11 clamp
	v_lshlrev_b16_sdwa v8, v43, v8 dst_sel:DWORD dst_unused:UNUSED_PAD src0_sel:DWORD src1_sel:WORD_1
	v_lshlrev_b16_e32 v56, 8, v62
	v_and_b32_e32 v11, 0xffffff00, v11
	v_sub_i16 v8, v8, v56 clamp
	v_or_b32_sdwa v8, v8, v11 dst_sel:WORD_1 dst_unused:UNUSED_PAD src0_sel:BYTE_1 src1_sel:DWORD
	v_bfe_i32 v11, v61, 9, 1
	v_or_b32_sdwa v8, v54, v8 dst_sel:DWORD dst_unused:UNUSED_PAD src0_sel:WORD_0 src1_sel:DWORD
	v_dot4c_i32_i8_e32 v52, v8, v3
	v_and_b32_e32 v8, 0x80000000, v10
	v_lshrrev_b16_e32 v54, 5, v55
	v_cmp_ne_u16_sdwa s[34:35], v8, v15 src0_sel:BYTE_3 src1_sel:DWORD
	v_bfe_i32 v54, v54, 0, 1
	v_lshrrev_b32_e32 v10, 22, v10
	v_cndmask_b32_e64 v8, 0, -1, s[34:35]
	v_bfe_i32 v10, v10, 0, 1
	v_lshlrev_b16_e32 v8, 8, v8
	v_lshlrev_b16_e32 v54, 8, v54
	v_or_b32_sdwa v55, v10, v8 dst_sel:WORD_1 dst_unused:UNUSED_PAD src0_sel:BYTE_0 src1_sel:DWORD
	v_or_b32_sdwa v56, v11, v54 dst_sel:DWORD dst_unused:UNUSED_PAD src0_sel:BYTE_0 src1_sel:DWORD
	v_or_b32_sdwa v55, v56, v55 dst_sel:DWORD dst_unused:UNUSED_PAD src0_sel:WORD_0 src1_sel:DWORD
	v_xor_b32_e32 v9, v9, v55
	v_and_b32_e32 v55, 0xffffff00, v9
	v_sub_i16 v54, v55, v54 clamp
	v_lshlrev_b16_e32 v55, 8, v9
	v_lshlrev_b16_e32 v11, 8, v11
	v_and_b32_e32 v54, 0xffffff00, v54
	v_sub_i16 v11, v55, v11 clamp
	v_or_b32_sdwa v11, v11, v54 dst_sel:DWORD dst_unused:UNUSED_PAD src0_sel:BYTE_1 src1_sel:DWORD
	v_and_b32_sdwa v54, v9, s31 dst_sel:DWORD dst_unused:UNUSED_PAD src0_sel:WORD_1 src1_sel:DWORD
	v_sub_i16 v8, v54, v8 clamp
	v_lshlrev_b16_sdwa v9, v43, v9 dst_sel:DWORD dst_unused:UNUSED_PAD src0_sel:DWORD src1_sel:WORD_1
	v_lshlrev_b16_e32 v10, 8, v10
	v_and_b32_e32 v8, 0xffffff00, v8
	v_sub_i16 v9, v9, v10 clamp
	v_or_b32_sdwa v8, v9, v8 dst_sel:WORD_1 dst_unused:UNUSED_PAD src0_sel:BYTE_1 src1_sel:DWORD
	v_bfe_u32 v9, v49, 23, 8
	v_bcnt_u32_b32 v10, v9, 0
	v_and_b32_e32 v10, 1, v10
	v_lshlrev_b32_e32 v10, 7, v10
	v_lshlrev_b32_sdwa v59, v44, v50 dst_sel:DWORD dst_unused:UNUSED_PAD src0_sel:DWORD src1_sel:BYTE_3
	v_xor_b32_e32 v9, v10, v9
	global_load_dwordx2 v[38:39], v59, s[20:21]
	global_load_ushort v60, v[24:25], off
	v_mul_lo_u32 v9, v9, s30
	v_or_b32_sdwa v8, v11, v8 dst_sel:DWORD dst_unused:UNUSED_PAD src0_sel:WORD_0 src1_sel:DWORD
	v_and_b32_e32 v10, 0x8000000, v9
	v_lshrrev_b32_e32 v11, 8, v9
	v_lshrrev_b16_e32 v54, 1, v11
	v_cmp_ne_u16_sdwa s[34:35], v10, v15 src0_sel:BYTE_3 src1_sel:DWORD
	v_bfe_i32 v54, v54, 0, 1
	v_lshrrev_b32_e32 v55, 18, v9
	v_cndmask_b32_e64 v10, 0, -1, s[34:35]
	v_bfe_i32 v5, v57, 7, 1
	v_bfe_i32 v55, v55, 0, 1
	v_lshlrev_b16_e32 v10, 8, v10
	v_lshlrev_b16_e32 v54, 8, v54
	v_or_b32_sdwa v56, v55, v10 dst_sel:WORD_1 dst_unused:UNUSED_PAD src0_sel:BYTE_0 src1_sel:DWORD
	v_or_b32_sdwa v61, v5, v54 dst_sel:DWORD dst_unused:UNUSED_PAD src0_sel:BYTE_0 src1_sel:DWORD
	v_or_b32_sdwa v56, v61, v56 dst_sel:DWORD dst_unused:UNUSED_PAD src0_sel:WORD_0 src1_sel:DWORD
	s_waitcnt vmcnt(3)
	v_xor_b32_e32 v56, v34, v56
	v_and_b32_e32 v61, 0xffffff00, v56
	v_sub_i16 v54, v61, v54 clamp
	v_lshlrev_b16_e32 v61, 8, v56
	v_lshlrev_b16_e32 v5, 8, v5
	v_and_b32_e32 v54, 0xffffff00, v54
	v_sub_i16 v5, v61, v5 clamp
	v_or_b32_sdwa v5, v5, v54 dst_sel:DWORD dst_unused:UNUSED_PAD src0_sel:BYTE_1 src1_sel:DWORD
	v_and_b32_sdwa v54, v56, s31 dst_sel:DWORD dst_unused:UNUSED_PAD src0_sel:WORD_1 src1_sel:DWORD
	v_sub_i16 v10, v54, v10 clamp
	v_lshlrev_b16_sdwa v54, v43, v56 dst_sel:DWORD dst_unused:UNUSED_PAD src0_sel:DWORD src1_sel:WORD_1
	v_lshlrev_b16_e32 v55, 8, v55
	v_and_b32_e32 v10, 0xffffff00, v10
	v_sub_i16 v54, v54, v55 clamp
	v_or_b32_sdwa v10, v54, v10 dst_sel:WORD_1 dst_unused:UNUSED_PAD src0_sel:BYTE_1 src1_sel:DWORD
	v_dot4c_i32_i8_e32 v52, v8, v51
	v_or_b32_sdwa v5, v5, v10 dst_sel:DWORD dst_unused:UNUSED_PAD src0_sel:WORD_0 src1_sel:DWORD
	v_dot4c_i32_i8_e32 v58, v5, v7
	v_and_b32_e32 v5, 0x80000000, v9
	v_lshrrev_b16_e32 v10, 5, v11
	v_cmp_ne_u16_sdwa s[34:35], v5, v15 src0_sel:BYTE_3 src1_sel:DWORD
	v_bfe_i32 v10, v10, 0, 1
	v_lshrrev_b32_e32 v9, 22, v9
	v_cndmask_b32_e64 v5, 0, -1, s[34:35]
	v_bfe_i32 v7, v57, 11, 1
	v_bfe_i32 v9, v9, 0, 1
	v_lshlrev_b16_e32 v5, 8, v5
	v_lshlrev_b16_e32 v10, 8, v10
	v_or_b32_sdwa v11, v9, v5 dst_sel:WORD_1 dst_unused:UNUSED_PAD src0_sel:BYTE_0 src1_sel:DWORD
	v_or_b32_sdwa v54, v7, v10 dst_sel:DWORD dst_unused:UNUSED_PAD src0_sel:BYTE_0 src1_sel:DWORD
	v_or_b32_sdwa v11, v54, v11 dst_sel:DWORD dst_unused:UNUSED_PAD src0_sel:WORD_0 src1_sel:DWORD
	v_xor_b32_e32 v11, v35, v11
	v_and_b32_e32 v54, 0xffffff00, v11
	v_sub_i16 v10, v54, v10 clamp
	v_lshlrev_b16_e32 v54, 8, v11
	v_lshlrev_b16_e32 v7, 8, v7
	v_and_b32_e32 v10, 0xffffff00, v10
	v_sub_i16 v7, v54, v7 clamp
	v_or_b32_sdwa v7, v7, v10 dst_sel:DWORD dst_unused:UNUSED_PAD src0_sel:BYTE_1 src1_sel:DWORD
	v_and_b32_sdwa v10, v11, s31 dst_sel:DWORD dst_unused:UNUSED_PAD src0_sel:WORD_1 src1_sel:DWORD
	v_sub_i16 v5, v10, v5 clamp
	v_lshlrev_b16_sdwa v10, v43, v11 dst_sel:DWORD dst_unused:UNUSED_PAD src0_sel:DWORD src1_sel:WORD_1
	v_lshlrev_b16_e32 v9, 8, v9
	v_and_b32_e32 v5, 0xffffff00, v5
	v_sub_i16 v9, v10, v9 clamp
	v_and_b32_e32 v8, 0xffff0000, v45
	v_or_b32_sdwa v5, v9, v5 dst_sel:WORD_1 dst_unused:UNUSED_PAD src0_sel:BYTE_1 src1_sel:DWORD
	v_or_b32_e32 v8, v8, v57
	v_or_b32_sdwa v5, v7, v5 dst_sel:DWORD dst_unused:UNUSED_PAD src0_sel:WORD_0 src1_sel:DWORD
	v_dot4c_i32_i8_e32 v58, v5, v0
	v_bfe_u32 v0, v8, 14, 8
	v_bcnt_u32_b32 v5, v0, 0
	v_and_b32_e32 v5, 1, v5
	v_lshlrev_b32_e32 v5, 7, v5
	v_xor_b32_e32 v0, v5, v0
	v_mul_lo_u32 v0, v0, s30
	v_and_b32_e32 v5, 0x8000000, v0
	v_lshrrev_b32_e32 v7, 8, v0
	v_lshrrev_b16_e32 v8, 1, v7
	v_cmp_ne_u16_sdwa s[34:35], v5, v15 src0_sel:BYTE_3 src1_sel:DWORD
	v_bfe_i32 v8, v8, 0, 1
	v_lshrrev_b32_e32 v9, 18, v0
	v_cndmask_b32_e64 v5, 0, -1, s[34:35]
	v_bfe_i32 v6, v57, 14, 1
	v_bfe_i32 v9, v9, 0, 1
	v_lshlrev_b16_e32 v5, 8, v5
	v_lshlrev_b16_e32 v8, 8, v8
	v_or_b32_sdwa v10, v9, v5 dst_sel:WORD_1 dst_unused:UNUSED_PAD src0_sel:BYTE_0 src1_sel:DWORD
	v_or_b32_sdwa v11, v6, v8 dst_sel:DWORD dst_unused:UNUSED_PAD src0_sel:BYTE_0 src1_sel:DWORD
	v_or_b32_sdwa v10, v11, v10 dst_sel:DWORD dst_unused:UNUSED_PAD src0_sel:WORD_0 src1_sel:DWORD
	s_waitcnt vmcnt(2)
	v_xor_b32_e32 v10, v40, v10
	v_and_b32_e32 v11, 0xffffff00, v10
	v_sub_i16 v8, v11, v8 clamp
	v_lshlrev_b16_e32 v11, 8, v10
	v_lshlrev_b16_e32 v6, 8, v6
	v_and_b32_e32 v8, 0xffffff00, v8
	v_sub_i16 v6, v11, v6 clamp
	v_or_b32_sdwa v6, v6, v8 dst_sel:DWORD dst_unused:UNUSED_PAD src0_sel:BYTE_1 src1_sel:DWORD
	v_and_b32_sdwa v8, v10, s31 dst_sel:DWORD dst_unused:UNUSED_PAD src0_sel:WORD_1 src1_sel:DWORD
	v_sub_i16 v5, v8, v5 clamp
	v_lshlrev_b16_sdwa v8, v43, v10 dst_sel:DWORD dst_unused:UNUSED_PAD src0_sel:DWORD src1_sel:WORD_1
	v_lshlrev_b16_e32 v9, 8, v9
	v_and_b32_e32 v5, 0xffffff00, v5
	v_sub_i16 v8, v8, v9 clamp
	v_or_b32_sdwa v5, v8, v5 dst_sel:WORD_1 dst_unused:UNUSED_PAD src0_sel:BYTE_1 src1_sel:DWORD
	v_lshrrev_b32_e32 v59, 16, v45
	v_or_b32_sdwa v5, v6, v5 dst_sel:DWORD dst_unused:UNUSED_PAD src0_sel:WORD_0 src1_sel:DWORD
	v_dot4c_i32_i8_e32 v58, v5, v1
	v_and_b32_e32 v1, 0x80000000, v0
	v_lshrrev_b16_e32 v6, 5, v7
	v_cmp_ne_u16_sdwa s[34:35], v1, v15 src0_sel:BYTE_3 src1_sel:DWORD
	v_bfe_i32 v6, v6, 0, 1
	v_lshrrev_b32_e32 v0, 22, v0
	v_cndmask_b32_e64 v1, 0, -1, s[34:35]
	v_bfe_i32 v5, v59, 2, 1
	v_bfe_i32 v0, v0, 0, 1
	v_lshlrev_b16_e32 v1, 8, v1
	v_lshlrev_b16_e32 v6, 8, v6
	v_or_b32_sdwa v7, v0, v1 dst_sel:WORD_1 dst_unused:UNUSED_PAD src0_sel:BYTE_0 src1_sel:DWORD
	v_or_b32_sdwa v8, v5, v6 dst_sel:DWORD dst_unused:UNUSED_PAD src0_sel:BYTE_0 src1_sel:DWORD
	v_or_b32_sdwa v7, v8, v7 dst_sel:DWORD dst_unused:UNUSED_PAD src0_sel:WORD_0 src1_sel:DWORD
	v_xor_b32_e32 v7, v41, v7
	v_and_b32_e32 v8, 0xffffff00, v7
	v_sub_i16 v6, v8, v6 clamp
	v_lshlrev_b16_e32 v8, 8, v7
	v_lshlrev_b16_e32 v5, 8, v5
	v_and_b32_e32 v6, 0xffffff00, v6
	v_sub_i16 v5, v8, v5 clamp
	v_or_b32_sdwa v5, v5, v6 dst_sel:DWORD dst_unused:UNUSED_PAD src0_sel:BYTE_1 src1_sel:DWORD
	v_and_b32_sdwa v6, v7, s31 dst_sel:DWORD dst_unused:UNUSED_PAD src0_sel:WORD_1 src1_sel:DWORD
	v_sub_i16 v1, v6, v1 clamp
	v_lshlrev_b16_sdwa v6, v43, v7 dst_sel:DWORD dst_unused:UNUSED_PAD src0_sel:DWORD src1_sel:WORD_1
	v_lshlrev_b16_e32 v0, 8, v0
	v_and_b32_e32 v1, 0xffffff00, v1
	v_sub_i16 v0, v6, v0 clamp
	v_or_b32_sdwa v0, v0, v1 dst_sel:WORD_1 dst_unused:UNUSED_PAD src0_sel:BYTE_1 src1_sel:DWORD
	s_nop 0
	v_or_b32_sdwa v0, v5, v0 dst_sel:DWORD dst_unused:UNUSED_PAD src0_sel:WORD_0 src1_sel:DWORD
	v_dot4c_i32_i8_e32 v58, v0, v2
	v_bfe_u32 v0, v45, 21, 8
	v_bcnt_u32_b32 v1, v0, 0
	v_and_b32_e32 v1, 1, v1
	v_lshlrev_b32_e32 v1, 7, v1
	v_xor_b32_e32 v0, v1, v0
	v_mul_lo_u32 v0, v0, s30
	v_and_b32_e32 v1, 0x8000000, v0
	v_lshrrev_b32_e32 v5, 8, v0
	v_lshrrev_b16_e32 v6, 1, v5
	v_cmp_ne_u16_sdwa s[34:35], v1, v15 src0_sel:BYTE_3 src1_sel:DWORD
	v_bfe_i32 v6, v6, 0, 1
	v_lshrrev_b32_e32 v7, 18, v0
	v_cndmask_b32_e64 v1, 0, -1, s[34:35]
	v_bfe_i32 v2, v59, 5, 1
	v_bfe_i32 v7, v7, 0, 1
	v_lshlrev_b16_e32 v1, 8, v1
	v_lshlrev_b16_e32 v6, 8, v6
	v_or_b32_sdwa v8, v7, v1 dst_sel:WORD_1 dst_unused:UNUSED_PAD src0_sel:BYTE_0 src1_sel:DWORD
	v_or_b32_sdwa v9, v2, v6 dst_sel:DWORD dst_unused:UNUSED_PAD src0_sel:BYTE_0 src1_sel:DWORD
	v_or_b32_sdwa v8, v9, v8 dst_sel:DWORD dst_unused:UNUSED_PAD src0_sel:WORD_0 src1_sel:DWORD
	s_waitcnt vmcnt(1)
	v_xor_b32_e32 v8, v38, v8
	v_and_b32_e32 v9, 0xffffff00, v8
	v_sub_i16 v6, v9, v6 clamp
	v_lshlrev_b16_e32 v9, 8, v8
	v_lshlrev_b16_e32 v2, 8, v2
	v_and_b32_e32 v6, 0xffffff00, v6
	v_sub_i16 v2, v9, v2 clamp
	v_or_b32_sdwa v2, v2, v6 dst_sel:DWORD dst_unused:UNUSED_PAD src0_sel:BYTE_1 src1_sel:DWORD
	v_and_b32_sdwa v6, v8, s31 dst_sel:DWORD dst_unused:UNUSED_PAD src0_sel:WORD_1 src1_sel:DWORD
	v_sub_i16 v1, v6, v1 clamp
	v_lshlrev_b16_sdwa v6, v43, v8 dst_sel:DWORD dst_unused:UNUSED_PAD src0_sel:DWORD src1_sel:WORD_1
	v_lshlrev_b16_e32 v7, 8, v7
	v_and_b32_e32 v1, 0xffffff00, v1
	v_sub_i16 v6, v6, v7 clamp
	v_or_b32_sdwa v1, v6, v1 dst_sel:WORD_1 dst_unused:UNUSED_PAD src0_sel:BYTE_1 src1_sel:DWORD
	v_cvt_f32_f16_e32 v38, v53
	v_or_b32_sdwa v1, v2, v1 dst_sel:DWORD dst_unused:UNUSED_PAD src0_sel:WORD_0 src1_sel:DWORD
	v_dot4c_i32_i8_e32 v58, v1, v3
	v_and_b32_e32 v1, 0x80000000, v0
	v_lshrrev_b16_e32 v3, 5, v5
	v_cmp_ne_u16_sdwa s[34:35], v1, v15 src0_sel:BYTE_3 src1_sel:DWORD
	v_bfe_i32 v3, v3, 0, 1
	v_lshrrev_b32_e32 v0, 22, v0
	v_cndmask_b32_e64 v1, 0, -1, s[34:35]
	v_bfe_i32 v2, v59, 9, 1
	v_bfe_i32 v0, v0, 0, 1
	v_lshlrev_b16_e32 v1, 8, v1
	v_lshlrev_b16_e32 v3, 8, v3
	v_or_b32_sdwa v5, v0, v1 dst_sel:WORD_1 dst_unused:UNUSED_PAD src0_sel:BYTE_0 src1_sel:DWORD
	v_or_b32_sdwa v6, v2, v3 dst_sel:DWORD dst_unused:UNUSED_PAD src0_sel:BYTE_0 src1_sel:DWORD
	v_or_b32_sdwa v5, v6, v5 dst_sel:DWORD dst_unused:UNUSED_PAD src0_sel:WORD_0 src1_sel:DWORD
	v_xor_b32_e32 v5, v39, v5
	v_and_b32_e32 v6, 0xffffff00, v5
	v_sub_i16 v3, v6, v3 clamp
	v_lshlrev_b16_e32 v6, 8, v5
	v_lshlrev_b16_e32 v2, 8, v2
	v_and_b32_e32 v3, 0xffffff00, v3
	v_sub_i16 v2, v6, v2 clamp
	v_or_b32_sdwa v2, v2, v3 dst_sel:DWORD dst_unused:UNUSED_PAD src0_sel:BYTE_1 src1_sel:DWORD
	v_and_b32_sdwa v3, v5, s31 dst_sel:DWORD dst_unused:UNUSED_PAD src0_sel:WORD_1 src1_sel:DWORD
	v_sub_i16 v1, v3, v1 clamp
	v_lshlrev_b16_sdwa v3, v43, v5 dst_sel:DWORD dst_unused:UNUSED_PAD src0_sel:DWORD src1_sel:WORD_1
	v_lshlrev_b16_e32 v0, 8, v0
	v_and_b32_e32 v1, 0xffffff00, v1
	v_sub_i16 v0, v3, v0 clamp
	v_or_b32_sdwa v0, v0, v1 dst_sel:WORD_1 dst_unused:UNUSED_PAD src0_sel:BYTE_1 src1_sel:DWORD
	v_lshrrev_b32_e32 v1, 27, v46
	v_or_b32_sdwa v0, v2, v0 dst_sel:DWORD dst_unused:UNUSED_PAD src0_sel:WORD_0 src1_sel:DWORD
	v_or_b32_e32 v1, 1, v1
	v_dot4c_i32_i8_e32 v58, v0, v51
	v_lshrrev_b32_e32 v0, 27, v45
	v_mul_lo_u32 v1, v52, v1
	v_or_b32_e32 v0, 1, v0
	v_ashrrev_i32_e32 v2, 31, v1
	v_mul_lo_u32 v0, v58, v0
	v_lshrrev_b32_e32 v2, 29, v2
	v_add_u32_e32 v1, v1, v2
	v_ashrrev_i32_e32 v2, 31, v0
	v_lshrrev_b32_e32 v2, 29, v2
	v_add_u32_e32 v0, v0, v2
	v_ashrrev_i32_e32 v1, 3, v1
	v_ashrrev_i32_e32 v0, 3, v0
	v_cvt_f32_i32_e32 v7, v0
	v_cvt_f32_i32_e32 v6, v1
	scratch_load_dwordx4 v[0:3], off, off
	s_waitcnt vmcnt(1)
	v_cvt_f32_f16_e32 v39, v60
	v_pk_mul_f32 v[4:5], v[4:5], v[38:39] op_sel_hi:[0,1]
	s_waitcnt vmcnt(0)
	v_pk_fma_f32 v[0:1], v[4:5], v[6:7], v[0:1]
	v_add_u32_e32 v4, s9, v42
	v_mad_u64_u32 v[4:5], s[34:35], v4, 36, s[24:25]
	v_mad_u64_u32 v[40:41], s[34:35], v16, 36, v[4:5]
	global_load_dword v51, v[40:41], off offset:32
	global_load_dwordx4 v[4:7], v[40:41], off offset:16
	global_load_dwordx4 v[8:11], v[40:41], off
	s_nop 0
	global_load_ushort v40, v[28:29], off offset:4
	global_load_ushort v41, v[28:29], off offset:6
	;; [unrolled: 1-line block ×3, first 2 shown]
	s_waitcnt vmcnt(3)
	v_cvt_f32_f16_e32 v8, v8
	s_waitcnt vmcnt(1)
	v_and_b32_e32 v56, 0xffff, v41
	v_and_b32_e32 v53, 0xff, v56
	v_bcnt_u32_b32 v54, v53, 0
	v_and_b32_e32 v54, 1, v54
	v_lshlrev_b32_e32 v54, 7, v54
	v_xor_b32_e32 v53, v54, v53
	v_mul_lo_u32 v54, v53, s30
	v_and_b32_e32 v53, 0x8000000, v54
	v_lshrrev_b32_e32 v55, 8, v54
	v_lshrrev_b16_e32 v57, 1, v55
	v_cmp_ne_u16_sdwa s[34:35], v53, v15 src0_sel:BYTE_3 src1_sel:DWORD
	v_and_b32_e32 v41, 1, v41
	v_bfe_i32 v57, v57, 0, 1
	v_lshrrev_b32_e32 v58, 18, v54
	v_cndmask_b32_e64 v53, 0, -1, s[34:35]
	v_sub_u16_e32 v41, 0, v41
	v_bfe_i32 v58, v58, 0, 1
	v_lshlrev_b16_e32 v53, 8, v53
	v_lshlrev_b16_e32 v57, 8, v57
	v_or_b32_sdwa v59, v58, v53 dst_sel:WORD_1 dst_unused:UNUSED_PAD src0_sel:BYTE_0 src1_sel:DWORD
	v_or_b32_sdwa v60, v41, v57 dst_sel:DWORD dst_unused:UNUSED_PAD src0_sel:BYTE_0 src1_sel:DWORD
	v_or_b32_sdwa v59, v60, v59 dst_sel:DWORD dst_unused:UNUSED_PAD src0_sel:WORD_0 src1_sel:DWORD
	v_xor_b32_e32 v32, v32, v59
	v_and_b32_e32 v59, 0xffffff00, v32
	v_sub_i16 v57, v59, v57 clamp
	v_lshlrev_b16_e32 v59, 8, v32
	v_lshlrev_b16_e32 v41, 8, v41
	v_and_b32_e32 v57, 0xffffff00, v57
	v_sub_i16 v41, v59, v41 clamp
	v_or_b32_sdwa v41, v41, v57 dst_sel:DWORD dst_unused:UNUSED_PAD src0_sel:BYTE_1 src1_sel:DWORD
	v_and_b32_sdwa v57, v32, s31 dst_sel:DWORD dst_unused:UNUSED_PAD src0_sel:WORD_1 src1_sel:DWORD
	v_sub_i16 v53, v57, v53 clamp
	v_lshlrev_b16_sdwa v32, v43, v32 dst_sel:DWORD dst_unused:UNUSED_PAD src0_sel:DWORD src1_sel:WORD_1
	v_lshlrev_b16_e32 v57, 8, v58
	v_and_b32_e32 v53, 0xffffff00, v53
	v_sub_i16 v32, v32, v57 clamp
	v_or_b32_sdwa v32, v32, v53 dst_sel:WORD_1 dst_unused:UNUSED_PAD src0_sel:BYTE_1 src1_sel:DWORD
	v_mov_b32_e32 v53, 0
	v_or_b32_sdwa v32, v41, v32 dst_sel:DWORD dst_unused:UNUSED_PAD src0_sel:WORD_0 src1_sel:DWORD
	v_dot4c_i32_i8_e32 v53, v32, v9
	v_and_b32_e32 v32, 0x80000000, v54
	v_lshrrev_b16_e32 v55, 5, v55
	v_cmp_ne_u16_sdwa s[34:35], v32, v15 src0_sel:BYTE_3 src1_sel:DWORD
	v_bfe_i32 v55, v55, 0, 1
	v_lshrrev_b32_e32 v54, 22, v54
	v_cndmask_b32_e64 v32, 0, -1, s[34:35]
	v_bfe_i32 v41, v56, 4, 1
	v_bfe_i32 v54, v54, 0, 1
	v_lshlrev_b16_e32 v32, 8, v32
	v_lshlrev_b16_e32 v55, 8, v55
	v_or_b32_sdwa v57, v54, v32 dst_sel:WORD_1 dst_unused:UNUSED_PAD src0_sel:BYTE_0 src1_sel:DWORD
	v_or_b32_sdwa v58, v41, v55 dst_sel:DWORD dst_unused:UNUSED_PAD src0_sel:BYTE_0 src1_sel:DWORD
	v_or_b32_sdwa v57, v58, v57 dst_sel:DWORD dst_unused:UNUSED_PAD src0_sel:WORD_0 src1_sel:DWORD
	v_xor_b32_e32 v33, v33, v57
	v_and_b32_e32 v57, 0xffffff00, v33
	v_sub_i16 v55, v57, v55 clamp
	v_lshlrev_b16_e32 v57, 8, v33
	v_lshlrev_b16_e32 v41, 8, v41
	v_and_b32_e32 v55, 0xffffff00, v55
	v_sub_i16 v41, v57, v41 clamp
	v_or_b32_sdwa v41, v41, v55 dst_sel:DWORD dst_unused:UNUSED_PAD src0_sel:BYTE_1 src1_sel:DWORD
	v_and_b32_sdwa v55, v33, s31 dst_sel:DWORD dst_unused:UNUSED_PAD src0_sel:WORD_1 src1_sel:DWORD
	v_sub_i16 v32, v55, v32 clamp
	v_lshlrev_b16_sdwa v33, v43, v33 dst_sel:DWORD dst_unused:UNUSED_PAD src0_sel:DWORD src1_sel:WORD_1
	v_lshlrev_b16_e32 v54, 8, v54
	v_and_b32_e32 v32, 0xffffff00, v32
	v_sub_i16 v33, v33, v54 clamp
	v_or_b32_sdwa v32, v33, v32 dst_sel:WORD_1 dst_unused:UNUSED_PAD src0_sel:BYTE_1 src1_sel:DWORD
	v_bfe_i32 v57, v56, 7, 1
	v_or_b32_sdwa v32, v41, v32 dst_sel:DWORD dst_unused:UNUSED_PAD src0_sel:WORD_0 src1_sel:DWORD
	v_dot4c_i32_i8_e32 v53, v32, v10
	v_and_b32_sdwa v32, s29, v40 dst_sel:DWORD dst_unused:UNUSED_PAD src0_sel:DWORD src1_sel:BYTE_0
	v_lshlrev_b32_e32 v32, 3, v32
	global_load_dwordx2 v[54:55], v32, s[20:21]
	v_lshlrev_b32_sdwa v32, v44, v40 dst_sel:DWORD dst_unused:UNUSED_PAD src0_sel:DWORD src1_sel:BYTE_1
	global_load_dwordx2 v[40:41], v32, s[20:21]
	global_load_ushort v33, v[26:27], off offset:4
	global_load_ushort v59, v[26:27], off offset:6
	v_bfe_i32 v58, v56, 14, 1
	global_load_ushort v61, v[26:27], off offset:8
	s_waitcnt vmcnt(1)
	v_and_b32_e32 v60, 0xffff, v59
	v_and_b32_e32 v32, 0xff, v60
	v_bcnt_u32_b32 v62, v32, 0
	v_and_b32_e32 v62, 1, v62
	v_lshlrev_b32_e32 v62, 7, v62
	v_xor_b32_e32 v32, v62, v32
	v_mul_lo_u32 v32, v32, s30
	v_and_b32_e32 v62, 0x8000000, v32
	v_lshrrev_b32_e32 v63, 8, v32
	v_lshrrev_b16_e32 v64, 1, v63
	v_cmp_ne_u16_sdwa s[34:35], v62, v15 src0_sel:BYTE_3 src1_sel:DWORD
	v_and_b32_e32 v59, 1, v59
	v_bfe_i32 v64, v64, 0, 1
	v_lshrrev_b32_e32 v65, 18, v32
	v_cndmask_b32_e64 v62, 0, -1, s[34:35]
	v_sub_u16_e32 v59, 0, v59
	v_bfe_i32 v65, v65, 0, 1
	v_lshlrev_b16_e32 v62, 8, v62
	v_lshlrev_b16_e32 v64, 8, v64
	v_or_b32_sdwa v66, v65, v62 dst_sel:WORD_1 dst_unused:UNUSED_PAD src0_sel:BYTE_0 src1_sel:DWORD
	v_or_b32_sdwa v67, v59, v64 dst_sel:DWORD dst_unused:UNUSED_PAD src0_sel:BYTE_0 src1_sel:DWORD
	v_or_b32_sdwa v66, v67, v66 dst_sel:DWORD dst_unused:UNUSED_PAD src0_sel:WORD_0 src1_sel:DWORD
	v_xor_b32_e32 v36, v36, v66
	v_and_b32_e32 v66, 0xffffff00, v36
	v_sub_i16 v64, v66, v64 clamp
	v_lshlrev_b16_e32 v66, 8, v36
	v_lshlrev_b16_e32 v59, 8, v59
	v_and_b32_e32 v64, 0xffffff00, v64
	v_sub_i16 v59, v66, v59 clamp
	v_or_b32_sdwa v59, v59, v64 dst_sel:DWORD dst_unused:UNUSED_PAD src0_sel:BYTE_1 src1_sel:DWORD
	v_and_b32_sdwa v64, v36, s31 dst_sel:DWORD dst_unused:UNUSED_PAD src0_sel:WORD_1 src1_sel:DWORD
	v_sub_i16 v62, v64, v62 clamp
	v_lshlrev_b16_sdwa v36, v43, v36 dst_sel:DWORD dst_unused:UNUSED_PAD src0_sel:DWORD src1_sel:WORD_1
	v_lshlrev_b16_e32 v64, 8, v65
	v_and_b32_e32 v62, 0xffffff00, v62
	v_sub_i16 v36, v36, v64 clamp
	v_or_b32_sdwa v36, v36, v62 dst_sel:WORD_1 dst_unused:UNUSED_PAD src0_sel:BYTE_1 src1_sel:DWORD
	v_lshrrev_b16_e32 v62, 5, v63
	v_or_b32_sdwa v36, v59, v36 dst_sel:DWORD dst_unused:UNUSED_PAD src0_sel:WORD_0 src1_sel:DWORD
	v_mov_b32_e32 v59, 0
	v_dot4c_i32_i8_e32 v59, v36, v9
	v_and_b32_e32 v9, 0x80000000, v32
	v_cmp_ne_u16_sdwa s[34:35], v9, v15 src0_sel:BYTE_3 src1_sel:DWORD
	v_bfe_i32 v62, v62, 0, 1
	v_lshrrev_b32_e32 v32, 22, v32
	v_cndmask_b32_e64 v9, 0, -1, s[34:35]
	v_bfe_i32 v36, v60, 4, 1
	v_bfe_i32 v32, v32, 0, 1
	v_lshlrev_b16_e32 v9, 8, v9
	v_lshlrev_b16_e32 v62, 8, v62
	v_or_b32_sdwa v63, v32, v9 dst_sel:WORD_1 dst_unused:UNUSED_PAD src0_sel:BYTE_0 src1_sel:DWORD
	v_or_b32_sdwa v64, v36, v62 dst_sel:DWORD dst_unused:UNUSED_PAD src0_sel:BYTE_0 src1_sel:DWORD
	v_or_b32_sdwa v63, v64, v63 dst_sel:DWORD dst_unused:UNUSED_PAD src0_sel:WORD_0 src1_sel:DWORD
	v_xor_b32_e32 v37, v37, v63
	v_and_b32_e32 v63, 0xffffff00, v37
	v_sub_i16 v62, v63, v62 clamp
	v_lshlrev_b16_e32 v63, 8, v37
	v_lshlrev_b16_e32 v36, 8, v36
	v_sub_i16 v36, v63, v36 clamp
	v_bfe_u32 v63, v56, 7, 8
	v_bcnt_u32_b32 v64, v63, 0
	v_and_b32_e32 v64, 1, v64
	v_lshlrev_b32_e32 v64, 7, v64
	v_xor_b32_e32 v63, v64, v63
	v_mul_lo_u32 v63, v63, s30
	v_and_b32_e32 v64, 0x8000000, v63
	v_lshrrev_b32_e32 v65, 8, v63
	v_lshrrev_b16_e32 v66, 1, v65
	v_cmp_ne_u16_sdwa s[34:35], v64, v15 src0_sel:BYTE_3 src1_sel:DWORD
	v_bfe_i32 v66, v66, 0, 1
	v_lshrrev_b32_e32 v67, 18, v63
	v_cndmask_b32_e64 v64, 0, -1, s[34:35]
	v_bfe_i32 v67, v67, 0, 1
	v_lshlrev_b16_e32 v64, 8, v64
	v_lshlrev_b16_e32 v66, 8, v66
	v_or_b32_sdwa v68, v67, v64 dst_sel:WORD_1 dst_unused:UNUSED_PAD src0_sel:BYTE_0 src1_sel:DWORD
	v_or_b32_sdwa v69, v57, v66 dst_sel:DWORD dst_unused:UNUSED_PAD src0_sel:BYTE_0 src1_sel:DWORD
	v_or_b32_sdwa v68, v69, v68 dst_sel:DWORD dst_unused:UNUSED_PAD src0_sel:WORD_0 src1_sel:DWORD
	v_xor_b32_e32 v30, v30, v68
	v_and_b32_e32 v68, 0xffffff00, v30
	v_sub_i16 v66, v68, v66 clamp
	v_lshlrev_b16_e32 v68, 8, v30
	v_lshlrev_b16_e32 v57, 8, v57
	v_and_b32_e32 v66, 0xffffff00, v66
	v_sub_i16 v57, v68, v57 clamp
	v_or_b32_sdwa v57, v57, v66 dst_sel:DWORD dst_unused:UNUSED_PAD src0_sel:BYTE_1 src1_sel:DWORD
	v_and_b32_sdwa v66, v30, s31 dst_sel:DWORD dst_unused:UNUSED_PAD src0_sel:WORD_1 src1_sel:DWORD
	v_sub_i16 v64, v66, v64 clamp
	v_lshlrev_b16_sdwa v30, v43, v30 dst_sel:DWORD dst_unused:UNUSED_PAD src0_sel:DWORD src1_sel:WORD_1
	v_lshlrev_b16_e32 v66, 8, v67
	v_and_b32_e32 v64, 0xffffff00, v64
	v_sub_i16 v30, v30, v66 clamp
	v_or_b32_sdwa v30, v30, v64 dst_sel:WORD_1 dst_unused:UNUSED_PAD src0_sel:BYTE_1 src1_sel:DWORD
	v_and_b32_e32 v62, 0xffffff00, v62
	v_or_b32_sdwa v30, v57, v30 dst_sel:DWORD dst_unused:UNUSED_PAD src0_sel:WORD_0 src1_sel:DWORD
	v_dot4c_i32_i8_e32 v53, v30, v11
	v_and_b32_e32 v30, 0x80000000, v63
	v_lshrrev_b16_e32 v57, 5, v65
	v_cmp_ne_u16_sdwa s[34:35], v30, v15 src0_sel:BYTE_3 src1_sel:DWORD
	v_or_b32_sdwa v36, v36, v62 dst_sel:DWORD dst_unused:UNUSED_PAD src0_sel:BYTE_1 src1_sel:DWORD
	v_and_b32_sdwa v62, v37, s31 dst_sel:DWORD dst_unused:UNUSED_PAD src0_sel:WORD_1 src1_sel:DWORD
	v_bfe_i32 v57, v57, 0, 1
	v_lshrrev_b32_e32 v63, 22, v63
	v_cndmask_b32_e64 v30, 0, -1, s[34:35]
	v_sub_i16 v9, v62, v9 clamp
	v_lshl_or_b32 v62, v52, 16, v56
	v_bfe_i32 v56, v56, 11, 1
	v_bfe_i32 v63, v63, 0, 1
	v_lshlrev_b16_e32 v30, 8, v30
	v_lshlrev_b16_e32 v57, 8, v57
	v_or_b32_sdwa v64, v63, v30 dst_sel:WORD_1 dst_unused:UNUSED_PAD src0_sel:BYTE_0 src1_sel:DWORD
	v_or_b32_sdwa v65, v56, v57 dst_sel:DWORD dst_unused:UNUSED_PAD src0_sel:BYTE_0 src1_sel:DWORD
	v_or_b32_sdwa v64, v65, v64 dst_sel:DWORD dst_unused:UNUSED_PAD src0_sel:WORD_0 src1_sel:DWORD
	v_xor_b32_e32 v31, v31, v64
	v_and_b32_e32 v64, 0xffffff00, v31
	v_sub_i16 v57, v64, v57 clamp
	v_lshlrev_b16_e32 v64, 8, v31
	v_lshlrev_b16_e32 v56, 8, v56
	v_and_b32_e32 v57, 0xffffff00, v57
	v_sub_i16 v56, v64, v56 clamp
	v_or_b32_sdwa v56, v56, v57 dst_sel:DWORD dst_unused:UNUSED_PAD src0_sel:BYTE_1 src1_sel:DWORD
	v_and_b32_sdwa v57, v31, s31 dst_sel:DWORD dst_unused:UNUSED_PAD src0_sel:WORD_1 src1_sel:DWORD
	v_sub_i16 v30, v57, v30 clamp
	v_lshlrev_b16_sdwa v31, v43, v31 dst_sel:DWORD dst_unused:UNUSED_PAD src0_sel:DWORD src1_sel:WORD_1
	v_lshlrev_b16_e32 v57, 8, v63
	v_and_b32_e32 v30, 0xffffff00, v30
	v_sub_i16 v31, v31, v57 clamp
	v_or_b32_sdwa v30, v31, v30 dst_sel:WORD_1 dst_unused:UNUSED_PAD src0_sel:BYTE_1 src1_sel:DWORD
	v_lshlrev_b16_sdwa v37, v43, v37 dst_sel:DWORD dst_unused:UNUSED_PAD src0_sel:DWORD src1_sel:WORD_1
	v_or_b32_sdwa v30, v56, v30 dst_sel:DWORD dst_unused:UNUSED_PAD src0_sel:WORD_0 src1_sel:DWORD
	v_dot4c_i32_i8_e32 v53, v30, v4
	v_bfe_u32 v30, v62, 14, 8
	v_bcnt_u32_b32 v31, v30, 0
	v_and_b32_e32 v31, 1, v31
	v_lshlrev_b32_e32 v31, 7, v31
	v_xor_b32_e32 v30, v31, v30
	v_mul_lo_u32 v30, v30, s30
	v_and_b32_e32 v31, 0x8000000, v30
	v_lshrrev_b32_e32 v56, 8, v30
	v_lshrrev_b16_e32 v57, 1, v56
	v_cmp_ne_u16_sdwa s[34:35], v31, v15 src0_sel:BYTE_3 src1_sel:DWORD
	v_bfe_i32 v57, v57, 0, 1
	v_lshrrev_b32_e32 v62, 18, v30
	v_cndmask_b32_e64 v31, 0, -1, s[34:35]
	v_bfe_i32 v62, v62, 0, 1
	v_lshlrev_b16_e32 v31, 8, v31
	v_lshlrev_b16_e32 v57, 8, v57
	v_or_b32_sdwa v63, v62, v31 dst_sel:WORD_1 dst_unused:UNUSED_PAD src0_sel:BYTE_0 src1_sel:DWORD
	v_or_b32_sdwa v64, v58, v57 dst_sel:DWORD dst_unused:UNUSED_PAD src0_sel:BYTE_0 src1_sel:DWORD
	v_or_b32_sdwa v63, v64, v63 dst_sel:DWORD dst_unused:UNUSED_PAD src0_sel:WORD_0 src1_sel:DWORD
	v_xor_b32_e32 v54, v54, v63
	v_and_b32_e32 v63, 0xffffff00, v54
	v_sub_i16 v57, v63, v57 clamp
	v_lshlrev_b16_e32 v63, 8, v54
	v_lshlrev_b16_e32 v58, 8, v58
	v_and_b32_e32 v57, 0xffffff00, v57
	v_sub_i16 v58, v63, v58 clamp
	v_or_b32_sdwa v57, v58, v57 dst_sel:DWORD dst_unused:UNUSED_PAD src0_sel:BYTE_1 src1_sel:DWORD
	v_and_b32_sdwa v58, v54, s31 dst_sel:DWORD dst_unused:UNUSED_PAD src0_sel:WORD_1 src1_sel:DWORD
	v_sub_i16 v31, v58, v31 clamp
	v_lshlrev_b16_sdwa v54, v43, v54 dst_sel:DWORD dst_unused:UNUSED_PAD src0_sel:DWORD src1_sel:WORD_1
	v_lshlrev_b16_e32 v58, 8, v62
	v_and_b32_e32 v31, 0xffffff00, v31
	v_sub_i16 v54, v54, v58 clamp
	v_or_b32_sdwa v31, v54, v31 dst_sel:WORD_1 dst_unused:UNUSED_PAD src0_sel:BYTE_1 src1_sel:DWORD
	v_lshrrev_b16_e32 v56, 5, v56
	v_or_b32_sdwa v31, v57, v31 dst_sel:DWORD dst_unused:UNUSED_PAD src0_sel:WORD_0 src1_sel:DWORD
	v_dot4c_i32_i8_e32 v53, v31, v5
	v_and_b32_e32 v31, 0x80000000, v30
	v_cmp_ne_u16_sdwa s[34:35], v31, v15 src0_sel:BYTE_3 src1_sel:DWORD
	v_bfe_i32 v56, v56, 0, 1
	v_lshrrev_b32_e32 v30, 22, v30
	v_cndmask_b32_e64 v31, 0, -1, s[34:35]
	v_bfe_i32 v54, v52, 2, 1
	v_bfe_i32 v30, v30, 0, 1
	v_lshlrev_b16_e32 v31, 8, v31
	v_lshlrev_b16_e32 v56, 8, v56
	v_or_b32_sdwa v57, v30, v31 dst_sel:WORD_1 dst_unused:UNUSED_PAD src0_sel:BYTE_0 src1_sel:DWORD
	v_or_b32_sdwa v58, v54, v56 dst_sel:DWORD dst_unused:UNUSED_PAD src0_sel:BYTE_0 src1_sel:DWORD
	v_or_b32_sdwa v57, v58, v57 dst_sel:DWORD dst_unused:UNUSED_PAD src0_sel:WORD_0 src1_sel:DWORD
	v_xor_b32_e32 v55, v55, v57
	v_and_b32_e32 v57, 0xffffff00, v55
	v_sub_i16 v56, v57, v56 clamp
	v_lshlrev_b16_e32 v57, 8, v55
	v_lshlrev_b16_e32 v54, 8, v54
	v_and_b32_e32 v56, 0xffffff00, v56
	v_sub_i16 v54, v57, v54 clamp
	v_or_b32_sdwa v54, v54, v56 dst_sel:DWORD dst_unused:UNUSED_PAD src0_sel:BYTE_1 src1_sel:DWORD
	v_and_b32_sdwa v56, v55, s31 dst_sel:DWORD dst_unused:UNUSED_PAD src0_sel:WORD_1 src1_sel:DWORD
	v_lshlrev_b16_e32 v32, 8, v32
	v_sub_i16 v31, v56, v31 clamp
	v_lshlrev_b16_sdwa v55, v43, v55 dst_sel:DWORD dst_unused:UNUSED_PAD src0_sel:DWORD src1_sel:WORD_1
	v_lshlrev_b16_e32 v30, 8, v30
	v_and_b32_e32 v9, 0xffffff00, v9
	v_sub_i16 v32, v37, v32 clamp
	v_and_b32_e32 v31, 0xffffff00, v31
	v_sub_i16 v30, v55, v30 clamp
	v_or_b32_sdwa v9, v32, v9 dst_sel:WORD_1 dst_unused:UNUSED_PAD src0_sel:BYTE_1 src1_sel:DWORD
	v_or_b32_sdwa v30, v30, v31 dst_sel:WORD_1 dst_unused:UNUSED_PAD src0_sel:BYTE_1 src1_sel:DWORD
	v_or_b32_sdwa v9, v36, v9 dst_sel:DWORD dst_unused:UNUSED_PAD src0_sel:WORD_0 src1_sel:DWORD
	v_or_b32_sdwa v30, v54, v30 dst_sel:DWORD dst_unused:UNUSED_PAD src0_sel:WORD_0 src1_sel:DWORD
	v_dot4c_i32_i8_e32 v59, v9, v10
	v_and_b32_sdwa v10, s29, v33 dst_sel:DWORD dst_unused:UNUSED_PAD src0_sel:DWORD src1_sel:BYTE_0
	v_dot4c_i32_i8_e32 v53, v30, v6
	v_bfe_u32 v30, v52, 5, 8
	v_lshlrev_b32_e32 v10, 3, v10
	v_bcnt_u32_b32 v31, v30, 0
	global_load_dwordx2 v[36:37], v10, s[20:21]
	v_and_b32_e32 v31, 1, v31
	v_lshlrev_b32_e32 v31, 7, v31
	v_xor_b32_e32 v30, v31, v30
	v_mul_lo_u32 v30, v30, s30
	v_and_b32_e32 v31, 0x8000000, v30
	v_lshrrev_b32_e32 v55, 8, v30
	v_lshrrev_b16_e32 v56, 1, v55
	v_cmp_ne_u16_sdwa s[34:35], v31, v15 src0_sel:BYTE_3 src1_sel:DWORD
	v_bfe_i32 v56, v56, 0, 1
	v_lshrrev_b32_e32 v57, 18, v30
	v_cndmask_b32_e64 v31, 0, -1, s[34:35]
	v_bfe_i32 v54, v52, 5, 1
	v_bfe_i32 v57, v57, 0, 1
	v_lshlrev_b16_e32 v31, 8, v31
	v_lshlrev_b16_e32 v56, 8, v56
	v_or_b32_sdwa v58, v57, v31 dst_sel:WORD_1 dst_unused:UNUSED_PAD src0_sel:BYTE_0 src1_sel:DWORD
	v_or_b32_sdwa v62, v54, v56 dst_sel:DWORD dst_unused:UNUSED_PAD src0_sel:BYTE_0 src1_sel:DWORD
	v_or_b32_sdwa v58, v62, v58 dst_sel:DWORD dst_unused:UNUSED_PAD src0_sel:WORD_0 src1_sel:DWORD
	v_xor_b32_e32 v40, v40, v58
	v_and_b32_e32 v58, 0xffffff00, v40
	v_sub_i16 v56, v58, v56 clamp
	v_lshlrev_b16_e32 v58, 8, v40
	v_lshlrev_b16_e32 v54, 8, v54
	v_and_b32_e32 v56, 0xffffff00, v56
	v_sub_i16 v54, v58, v54 clamp
	v_or_b32_sdwa v54, v54, v56 dst_sel:DWORD dst_unused:UNUSED_PAD src0_sel:BYTE_1 src1_sel:DWORD
	v_and_b32_sdwa v56, v40, s31 dst_sel:DWORD dst_unused:UNUSED_PAD src0_sel:WORD_1 src1_sel:DWORD
	v_sub_i16 v31, v56, v31 clamp
	v_lshlrev_b16_sdwa v40, v43, v40 dst_sel:DWORD dst_unused:UNUSED_PAD src0_sel:DWORD src1_sel:WORD_1
	v_lshlrev_b16_e32 v56, 8, v57
	v_and_b32_e32 v31, 0xffffff00, v31
	v_sub_i16 v40, v40, v56 clamp
	v_or_b32_sdwa v31, v40, v31 dst_sel:WORD_1 dst_unused:UNUSED_PAD src0_sel:BYTE_1 src1_sel:DWORD
	v_bfe_i32 v40, v52, 9, 1
	v_or_b32_sdwa v31, v54, v31 dst_sel:DWORD dst_unused:UNUSED_PAD src0_sel:WORD_0 src1_sel:DWORD
	v_dot4c_i32_i8_e32 v53, v31, v7
	v_and_b32_e32 v31, 0x80000000, v30
	v_lshrrev_b16_e32 v54, 5, v55
	v_cmp_ne_u16_sdwa s[34:35], v31, v15 src0_sel:BYTE_3 src1_sel:DWORD
	v_bfe_i32 v54, v54, 0, 1
	v_lshrrev_b32_e32 v30, 22, v30
	v_cndmask_b32_e64 v31, 0, -1, s[34:35]
	v_bfe_i32 v30, v30, 0, 1
	v_lshlrev_b16_e32 v31, 8, v31
	v_lshlrev_b16_e32 v54, 8, v54
	v_or_b32_sdwa v55, v30, v31 dst_sel:WORD_1 dst_unused:UNUSED_PAD src0_sel:BYTE_0 src1_sel:DWORD
	v_or_b32_sdwa v56, v40, v54 dst_sel:DWORD dst_unused:UNUSED_PAD src0_sel:BYTE_0 src1_sel:DWORD
	v_or_b32_sdwa v55, v56, v55 dst_sel:DWORD dst_unused:UNUSED_PAD src0_sel:WORD_0 src1_sel:DWORD
	v_xor_b32_e32 v41, v41, v55
	v_and_b32_e32 v55, 0xffffff00, v41
	v_sub_i16 v54, v55, v54 clamp
	v_lshlrev_b16_e32 v55, 8, v41
	v_lshlrev_b16_e32 v40, 8, v40
	v_and_b32_e32 v54, 0xffffff00, v54
	v_sub_i16 v40, v55, v40 clamp
	v_or_b32_sdwa v40, v40, v54 dst_sel:DWORD dst_unused:UNUSED_PAD src0_sel:BYTE_1 src1_sel:DWORD
	v_and_b32_sdwa v54, v41, s31 dst_sel:DWORD dst_unused:UNUSED_PAD src0_sel:WORD_1 src1_sel:DWORD
	v_sub_i16 v31, v54, v31 clamp
	v_lshlrev_b16_sdwa v41, v43, v41 dst_sel:DWORD dst_unused:UNUSED_PAD src0_sel:DWORD src1_sel:WORD_1
	v_lshlrev_b16_e32 v30, 8, v30
	v_and_b32_e32 v31, 0xffffff00, v31
	v_sub_i16 v30, v41, v30 clamp
	v_or_b32_sdwa v30, v30, v31 dst_sel:WORD_1 dst_unused:UNUSED_PAD src0_sel:BYTE_1 src1_sel:DWORD
	v_bfe_u32 v31, v60, 7, 8
	v_or_b32_sdwa v30, v40, v30 dst_sel:DWORD dst_unused:UNUSED_PAD src0_sel:WORD_0 src1_sel:DWORD
	v_bcnt_u32_b32 v40, v31, 0
	v_and_b32_e32 v40, 1, v40
	v_lshlrev_b32_sdwa v32, v44, v33 dst_sel:DWORD dst_unused:UNUSED_PAD src0_sel:DWORD src1_sel:BYTE_1
	global_load_dwordx2 v[32:33], v32, s[20:21]
	v_lshlrev_b32_e32 v40, 7, v40
	v_xor_b32_e32 v31, v40, v31
	v_mul_lo_u32 v31, v31, s30
	v_and_b32_e32 v40, 0x8000000, v31
	v_lshrrev_b32_e32 v41, 8, v31
	v_lshrrev_b16_e32 v54, 1, v41
	v_cmp_ne_u16_sdwa s[34:35], v40, v15 src0_sel:BYTE_3 src1_sel:DWORD
	v_bfe_i32 v54, v54, 0, 1
	v_lshrrev_b32_e32 v55, 18, v31
	v_cndmask_b32_e64 v40, 0, -1, s[34:35]
	v_bfe_i32 v9, v60, 7, 1
	v_bfe_i32 v55, v55, 0, 1
	v_lshlrev_b16_e32 v40, 8, v40
	v_lshlrev_b16_e32 v54, 8, v54
	v_or_b32_sdwa v56, v55, v40 dst_sel:WORD_1 dst_unused:UNUSED_PAD src0_sel:BYTE_0 src1_sel:DWORD
	v_or_b32_sdwa v57, v9, v54 dst_sel:DWORD dst_unused:UNUSED_PAD src0_sel:BYTE_0 src1_sel:DWORD
	v_or_b32_sdwa v56, v57, v56 dst_sel:DWORD dst_unused:UNUSED_PAD src0_sel:WORD_0 src1_sel:DWORD
	v_xor_b32_e32 v34, v34, v56
	v_and_b32_e32 v56, 0xffffff00, v34
	v_sub_i16 v54, v56, v54 clamp
	v_lshlrev_b16_e32 v56, 8, v34
	v_lshlrev_b16_e32 v9, 8, v9
	v_and_b32_e32 v54, 0xffffff00, v54
	v_sub_i16 v9, v56, v9 clamp
	v_or_b32_sdwa v9, v9, v54 dst_sel:DWORD dst_unused:UNUSED_PAD src0_sel:BYTE_1 src1_sel:DWORD
	v_and_b32_sdwa v54, v34, s31 dst_sel:DWORD dst_unused:UNUSED_PAD src0_sel:WORD_1 src1_sel:DWORD
	v_sub_i16 v40, v54, v40 clamp
	v_lshlrev_b16_sdwa v34, v43, v34 dst_sel:DWORD dst_unused:UNUSED_PAD src0_sel:DWORD src1_sel:WORD_1
	v_lshlrev_b16_e32 v54, 8, v55
	v_and_b32_e32 v40, 0xffffff00, v40
	v_sub_i16 v34, v34, v54 clamp
	v_or_b32_sdwa v34, v34, v40 dst_sel:WORD_1 dst_unused:UNUSED_PAD src0_sel:BYTE_1 src1_sel:DWORD
	v_dot4c_i32_i8_e32 v53, v30, v51
	v_or_b32_sdwa v9, v9, v34 dst_sel:DWORD dst_unused:UNUSED_PAD src0_sel:WORD_0 src1_sel:DWORD
	v_dot4c_i32_i8_e32 v59, v9, v11
	v_and_b32_e32 v9, 0x80000000, v31
	v_lshrrev_b16_e32 v34, 5, v41
	v_cmp_ne_u16_sdwa s[34:35], v9, v15 src0_sel:BYTE_3 src1_sel:DWORD
	v_bfe_i32 v34, v34, 0, 1
	v_lshrrev_b32_e32 v31, 22, v31
	v_cndmask_b32_e64 v9, 0, -1, s[34:35]
	v_bfe_i32 v11, v60, 11, 1
	v_bfe_i32 v31, v31, 0, 1
	v_lshlrev_b16_e32 v9, 8, v9
	v_lshlrev_b16_e32 v34, 8, v34
	v_or_b32_sdwa v40, v31, v9 dst_sel:WORD_1 dst_unused:UNUSED_PAD src0_sel:BYTE_0 src1_sel:DWORD
	v_or_b32_sdwa v41, v11, v34 dst_sel:DWORD dst_unused:UNUSED_PAD src0_sel:BYTE_0 src1_sel:DWORD
	v_or_b32_sdwa v40, v41, v40 dst_sel:DWORD dst_unused:UNUSED_PAD src0_sel:WORD_0 src1_sel:DWORD
	v_xor_b32_e32 v35, v35, v40
	v_and_b32_e32 v40, 0xffffff00, v35
	v_sub_i16 v34, v40, v34 clamp
	v_lshlrev_b16_e32 v40, 8, v35
	v_lshlrev_b16_e32 v11, 8, v11
	v_and_b32_e32 v34, 0xffffff00, v34
	v_sub_i16 v11, v40, v11 clamp
	v_or_b32_sdwa v11, v11, v34 dst_sel:DWORD dst_unused:UNUSED_PAD src0_sel:BYTE_1 src1_sel:DWORD
	v_and_b32_sdwa v34, v35, s31 dst_sel:DWORD dst_unused:UNUSED_PAD src0_sel:WORD_1 src1_sel:DWORD
	v_sub_i16 v9, v34, v9 clamp
	v_lshlrev_b16_sdwa v34, v43, v35 dst_sel:DWORD dst_unused:UNUSED_PAD src0_sel:DWORD src1_sel:WORD_1
	v_lshlrev_b16_e32 v31, 8, v31
	v_and_b32_e32 v9, 0xffffff00, v9
	v_sub_i16 v31, v34, v31 clamp
	v_or_b32_sdwa v9, v31, v9 dst_sel:WORD_1 dst_unused:UNUSED_PAD src0_sel:BYTE_1 src1_sel:DWORD
	s_waitcnt vmcnt(2)
	v_lshl_or_b32 v30, v61, 16, v60
	v_or_b32_sdwa v9, v11, v9 dst_sel:DWORD dst_unused:UNUSED_PAD src0_sel:WORD_0 src1_sel:DWORD
	v_dot4c_i32_i8_e32 v59, v9, v4
	v_bfe_u32 v4, v30, 14, 8
	v_bcnt_u32_b32 v9, v4, 0
	v_and_b32_e32 v9, 1, v9
	v_lshlrev_b32_e32 v9, 7, v9
	v_xor_b32_e32 v4, v9, v4
	v_mul_lo_u32 v4, v4, s30
	v_and_b32_e32 v9, 0x8000000, v4
	v_lshrrev_b32_e32 v11, 8, v4
	v_lshrrev_b16_e32 v30, 1, v11
	v_cmp_ne_u16_sdwa s[34:35], v9, v15 src0_sel:BYTE_3 src1_sel:DWORD
	v_bfe_i32 v30, v30, 0, 1
	v_lshrrev_b32_e32 v31, 18, v4
	v_cndmask_b32_e64 v9, 0, -1, s[34:35]
	v_bfe_i32 v10, v60, 14, 1
	v_bfe_i32 v31, v31, 0, 1
	v_lshlrev_b16_e32 v9, 8, v9
	v_lshlrev_b16_e32 v30, 8, v30
	v_or_b32_sdwa v34, v31, v9 dst_sel:WORD_1 dst_unused:UNUSED_PAD src0_sel:BYTE_0 src1_sel:DWORD
	v_or_b32_sdwa v35, v10, v30 dst_sel:DWORD dst_unused:UNUSED_PAD src0_sel:BYTE_0 src1_sel:DWORD
	v_or_b32_sdwa v34, v35, v34 dst_sel:DWORD dst_unused:UNUSED_PAD src0_sel:WORD_0 src1_sel:DWORD
	s_waitcnt vmcnt(1)
	v_xor_b32_e32 v34, v36, v34
	v_and_b32_e32 v35, 0xffffff00, v34
	v_sub_i16 v30, v35, v30 clamp
	v_lshlrev_b16_e32 v35, 8, v34
	v_lshlrev_b16_e32 v10, 8, v10
	v_and_b32_e32 v30, 0xffffff00, v30
	v_sub_i16 v10, v35, v10 clamp
	v_or_b32_sdwa v10, v10, v30 dst_sel:DWORD dst_unused:UNUSED_PAD src0_sel:BYTE_1 src1_sel:DWORD
	v_and_b32_sdwa v30, v34, s31 dst_sel:DWORD dst_unused:UNUSED_PAD src0_sel:WORD_1 src1_sel:DWORD
	v_sub_i16 v9, v30, v9 clamp
	v_lshlrev_b16_sdwa v30, v43, v34 dst_sel:DWORD dst_unused:UNUSED_PAD src0_sel:DWORD src1_sel:WORD_1
	v_lshlrev_b16_e32 v31, 8, v31
	v_and_b32_e32 v9, 0xffffff00, v9
	v_sub_i16 v30, v30, v31 clamp
	v_or_b32_sdwa v9, v30, v9 dst_sel:WORD_1 dst_unused:UNUSED_PAD src0_sel:BYTE_1 src1_sel:DWORD
	s_nop 0
	v_or_b32_sdwa v9, v10, v9 dst_sel:DWORD dst_unused:UNUSED_PAD src0_sel:WORD_0 src1_sel:DWORD
	v_dot4c_i32_i8_e32 v59, v9, v5
	v_and_b32_e32 v5, 0x80000000, v4
	v_lshrrev_b16_e32 v10, 5, v11
	v_cmp_ne_u16_sdwa s[34:35], v5, v15 src0_sel:BYTE_3 src1_sel:DWORD
	v_bfe_i32 v10, v10, 0, 1
	v_lshrrev_b32_e32 v4, 22, v4
	v_cndmask_b32_e64 v5, 0, -1, s[34:35]
	v_bfe_i32 v9, v61, 2, 1
	v_bfe_i32 v4, v4, 0, 1
	v_lshlrev_b16_e32 v5, 8, v5
	v_lshlrev_b16_e32 v10, 8, v10
	v_or_b32_sdwa v11, v4, v5 dst_sel:WORD_1 dst_unused:UNUSED_PAD src0_sel:BYTE_0 src1_sel:DWORD
	v_or_b32_sdwa v30, v9, v10 dst_sel:DWORD dst_unused:UNUSED_PAD src0_sel:BYTE_0 src1_sel:DWORD
	v_or_b32_sdwa v11, v30, v11 dst_sel:DWORD dst_unused:UNUSED_PAD src0_sel:WORD_0 src1_sel:DWORD
	v_xor_b32_e32 v11, v37, v11
	v_and_b32_e32 v30, 0xffffff00, v11
	v_sub_i16 v10, v30, v10 clamp
	v_lshlrev_b16_e32 v30, 8, v11
	v_lshlrev_b16_e32 v9, 8, v9
	v_and_b32_e32 v10, 0xffffff00, v10
	v_sub_i16 v9, v30, v9 clamp
	v_or_b32_sdwa v9, v9, v10 dst_sel:DWORD dst_unused:UNUSED_PAD src0_sel:BYTE_1 src1_sel:DWORD
	v_and_b32_sdwa v10, v11, s31 dst_sel:DWORD dst_unused:UNUSED_PAD src0_sel:WORD_1 src1_sel:DWORD
	v_sub_i16 v5, v10, v5 clamp
	v_lshlrev_b16_sdwa v10, v43, v11 dst_sel:DWORD dst_unused:UNUSED_PAD src0_sel:DWORD src1_sel:WORD_1
	v_lshlrev_b16_e32 v4, 8, v4
	v_and_b32_e32 v5, 0xffffff00, v5
	v_sub_i16 v4, v10, v4 clamp
	v_or_b32_sdwa v4, v4, v5 dst_sel:WORD_1 dst_unused:UNUSED_PAD src0_sel:BYTE_1 src1_sel:DWORD
	s_nop 0
	v_or_b32_sdwa v4, v9, v4 dst_sel:DWORD dst_unused:UNUSED_PAD src0_sel:WORD_0 src1_sel:DWORD
	v_dot4c_i32_i8_e32 v59, v4, v6
	v_bfe_u32 v4, v61, 5, 8
	v_bcnt_u32_b32 v5, v4, 0
	v_and_b32_e32 v5, 1, v5
	v_lshlrev_b32_e32 v5, 7, v5
	v_xor_b32_e32 v4, v5, v4
	v_mul_lo_u32 v4, v4, s30
	v_and_b32_e32 v5, 0x8000000, v4
	v_lshrrev_b32_e32 v9, 8, v4
	v_lshrrev_b16_e32 v10, 1, v9
	v_cmp_ne_u16_sdwa s[34:35], v5, v15 src0_sel:BYTE_3 src1_sel:DWORD
	v_bfe_i32 v10, v10, 0, 1
	v_lshrrev_b32_e32 v11, 18, v4
	v_cndmask_b32_e64 v5, 0, -1, s[34:35]
	v_bfe_i32 v6, v61, 5, 1
	v_bfe_i32 v11, v11, 0, 1
	v_lshlrev_b16_e32 v5, 8, v5
	v_lshlrev_b16_e32 v10, 8, v10
	v_or_b32_sdwa v30, v11, v5 dst_sel:WORD_1 dst_unused:UNUSED_PAD src0_sel:BYTE_0 src1_sel:DWORD
	v_or_b32_sdwa v31, v6, v10 dst_sel:DWORD dst_unused:UNUSED_PAD src0_sel:BYTE_0 src1_sel:DWORD
	v_or_b32_sdwa v30, v31, v30 dst_sel:DWORD dst_unused:UNUSED_PAD src0_sel:WORD_0 src1_sel:DWORD
	s_waitcnt vmcnt(0)
	v_xor_b32_e32 v30, v32, v30
	v_and_b32_e32 v31, 0xffffff00, v30
	v_sub_i16 v10, v31, v10 clamp
	v_lshlrev_b16_e32 v31, 8, v30
	v_lshlrev_b16_e32 v6, 8, v6
	v_and_b32_e32 v10, 0xffffff00, v10
	v_sub_i16 v6, v31, v6 clamp
	v_or_b32_sdwa v6, v6, v10 dst_sel:DWORD dst_unused:UNUSED_PAD src0_sel:BYTE_1 src1_sel:DWORD
	v_and_b32_sdwa v10, v30, s31 dst_sel:DWORD dst_unused:UNUSED_PAD src0_sel:WORD_1 src1_sel:DWORD
	v_sub_i16 v5, v10, v5 clamp
	v_lshlrev_b16_sdwa v10, v43, v30 dst_sel:DWORD dst_unused:UNUSED_PAD src0_sel:DWORD src1_sel:WORD_1
	v_lshlrev_b16_e32 v11, 8, v11
	v_and_b32_e32 v5, 0xffffff00, v5
	v_sub_i16 v10, v10, v11 clamp
	v_or_b32_sdwa v5, v10, v5 dst_sel:WORD_1 dst_unused:UNUSED_PAD src0_sel:BYTE_1 src1_sel:DWORD
	s_nop 0
	v_or_b32_sdwa v5, v6, v5 dst_sel:DWORD dst_unused:UNUSED_PAD src0_sel:WORD_0 src1_sel:DWORD
	v_dot4c_i32_i8_e32 v59, v5, v7
	v_and_b32_e32 v5, 0x80000000, v4
	v_lshrrev_b16_e32 v7, 5, v9
	v_cmp_ne_u16_sdwa s[34:35], v5, v15 src0_sel:BYTE_3 src1_sel:DWORD
	v_bfe_i32 v7, v7, 0, 1
	v_lshrrev_b32_e32 v4, 22, v4
	v_cndmask_b32_e64 v5, 0, -1, s[34:35]
	v_bfe_i32 v6, v61, 9, 1
	v_bfe_i32 v4, v4, 0, 1
	v_lshlrev_b16_e32 v5, 8, v5
	v_lshlrev_b16_e32 v7, 8, v7
	v_or_b32_sdwa v9, v4, v5 dst_sel:WORD_1 dst_unused:UNUSED_PAD src0_sel:BYTE_0 src1_sel:DWORD
	v_or_b32_sdwa v10, v6, v7 dst_sel:DWORD dst_unused:UNUSED_PAD src0_sel:BYTE_0 src1_sel:DWORD
	v_or_b32_sdwa v9, v10, v9 dst_sel:DWORD dst_unused:UNUSED_PAD src0_sel:WORD_0 src1_sel:DWORD
	v_xor_b32_e32 v9, v33, v9
	v_and_b32_e32 v10, 0xffffff00, v9
	v_sub_i16 v7, v10, v7 clamp
	v_lshlrev_b16_e32 v10, 8, v9
	v_lshlrev_b16_e32 v6, 8, v6
	v_and_b32_e32 v7, 0xffffff00, v7
	v_sub_i16 v6, v10, v6 clamp
	v_or_b32_sdwa v6, v6, v7 dst_sel:DWORD dst_unused:UNUSED_PAD src0_sel:BYTE_1 src1_sel:DWORD
	v_and_b32_sdwa v7, v9, s31 dst_sel:DWORD dst_unused:UNUSED_PAD src0_sel:WORD_1 src1_sel:DWORD
	v_sub_i16 v5, v7, v5 clamp
	v_lshlrev_b16_sdwa v7, v43, v9 dst_sel:DWORD dst_unused:UNUSED_PAD src0_sel:DWORD src1_sel:WORD_1
	v_lshlrev_b16_e32 v4, 8, v4
	v_and_b32_e32 v5, 0xffffff00, v5
	v_sub_i16 v4, v7, v4 clamp
	v_or_b32_sdwa v4, v4, v5 dst_sel:WORD_1 dst_unused:UNUSED_PAD src0_sel:BYTE_1 src1_sel:DWORD
	v_lshrrev_b32_e32 v5, 11, v52
	v_or_b32_e32 v5, 1, v5
	v_or_b32_sdwa v4, v6, v4 dst_sel:DWORD dst_unused:UNUSED_PAD src0_sel:WORD_0 src1_sel:DWORD
	v_mul_lo_u32 v5, v53, v5
	v_dot4c_i32_i8_e32 v59, v4, v51
	v_lshrrev_b32_e32 v4, 11, v61
	v_ashrrev_i32_e32 v6, 31, v5
	v_or_b32_e32 v4, 1, v4
	v_lshrrev_b32_e32 v6, 29, v6
	v_mul_lo_u32 v4, v59, v4
	v_add_u32_e32 v5, v5, v6
	v_ashrrev_i32_e32 v6, 3, v5
	v_ashrrev_i32_e32 v5, 31, v4
	v_lshrrev_b32_e32 v5, 29, v5
	v_add_u32_e32 v4, v4, v5
	v_ashrrev_i32_e32 v7, 3, v4
	v_cvt_f32_i32_e32 v7, v7
	v_cvt_f32_i32_e32 v6, v6
	v_pk_mul_f32 v[4:5], v[8:9], v[38:39] op_sel_hi:[0,1]
	v_pk_fma_f32 v[2:3], v[4:5], v[6:7], v[2:3]
	scratch_store_dwordx4 off, v[0:3], off
	s_nop 1
	v_add_u32_e32 v0, s22, v42
	v_mad_u64_u32 v[0:1], s[34:35], v0, 36, s[24:25]
	v_mad_u64_u32 v[8:9], s[34:35], v16, 36, v[0:1]
	global_load_dword v11, v[8:9], off offset:32
	global_load_dwordx4 v[0:3], v[8:9], off offset:16
	global_load_dwordx4 v[4:7], v[8:9], off
	global_load_ushort v31, v[28:29], off offset:2
	global_load_ushort v10, v[28:29], off offset:6
	s_waitcnt vmcnt(1)
	v_and_b32_sdwa v8, s29, v31 dst_sel:DWORD dst_unused:UNUSED_PAD src0_sel:DWORD src1_sel:BYTE_0
	v_lshlrev_b32_e32 v8, 3, v8
	global_load_dwordx2 v[8:9], v8, s[20:21]
	s_waitcnt vmcnt(1)
	v_and_b32_e32 v35, 0xffff, v10
	v_and_b32_e32 v30, 0xff, v35
	v_bcnt_u32_b32 v32, v30, 0
	v_and_b32_e32 v32, 1, v32
	v_lshlrev_b32_e32 v32, 7, v32
	v_xor_b32_e32 v30, v32, v30
	v_mul_lo_u32 v32, v30, s30
	v_and_b32_e32 v30, 0x8000000, v32
	v_lshrrev_b32_e32 v33, 8, v32
	v_lshrrev_b16_e32 v34, 1, v33
	v_cmp_ne_u16_sdwa s[34:35], v30, v15 src0_sel:BYTE_3 src1_sel:DWORD
	v_and_b32_e32 v10, 1, v10
	v_bfe_i32 v34, v34, 0, 1
	v_lshrrev_b32_e32 v36, 18, v32
	v_cndmask_b32_e64 v30, 0, -1, s[34:35]
	v_sub_u16_e32 v10, 0, v10
	v_bfe_i32 v36, v36, 0, 1
	v_lshlrev_b16_e32 v30, 8, v30
	v_lshlrev_b16_e32 v34, 8, v34
	v_or_b32_sdwa v37, v36, v30 dst_sel:WORD_1 dst_unused:UNUSED_PAD src0_sel:BYTE_0 src1_sel:DWORD
	v_or_b32_sdwa v38, v10, v34 dst_sel:DWORD dst_unused:UNUSED_PAD src0_sel:BYTE_0 src1_sel:DWORD
	v_or_b32_sdwa v37, v38, v37 dst_sel:DWORD dst_unused:UNUSED_PAD src0_sel:WORD_0 src1_sel:DWORD
	v_lshlrev_b16_e32 v10, 8, v10
	v_lshrrev_b16_e32 v33, 5, v33
	v_bfe_i32 v33, v33, 0, 1
	v_lshlrev_b16_e32 v33, 8, v33
	v_cvt_f32_f16_e32 v4, v4
	s_waitcnt vmcnt(0)
	v_xor_b32_e32 v8, v8, v37
	v_and_b32_e32 v37, 0xffffff00, v8
	v_sub_i16 v34, v37, v34 clamp
	v_lshlrev_b16_e32 v37, 8, v8
	v_and_b32_e32 v34, 0xffffff00, v34
	v_sub_i16 v10, v37, v10 clamp
	v_or_b32_sdwa v10, v10, v34 dst_sel:DWORD dst_unused:UNUSED_PAD src0_sel:BYTE_1 src1_sel:DWORD
	v_and_b32_sdwa v34, v8, s31 dst_sel:DWORD dst_unused:UNUSED_PAD src0_sel:WORD_1 src1_sel:DWORD
	v_sub_i16 v30, v34, v30 clamp
	v_lshlrev_b16_sdwa v8, v43, v8 dst_sel:DWORD dst_unused:UNUSED_PAD src0_sel:DWORD src1_sel:WORD_1
	v_lshlrev_b16_e32 v34, 8, v36
	v_and_b32_e32 v30, 0xffffff00, v30
	v_sub_i16 v8, v8, v34 clamp
	v_or_b32_sdwa v8, v8, v30 dst_sel:WORD_1 dst_unused:UNUSED_PAD src0_sel:BYTE_1 src1_sel:DWORD
	v_bfe_i32 v34, v35, 4, 1
	v_or_b32_sdwa v8, v10, v8 dst_sel:DWORD dst_unused:UNUSED_PAD src0_sel:WORD_0 src1_sel:DWORD
	v_and_b32_e32 v10, 0x80000000, v32
	v_cmp_ne_u16_sdwa s[34:35], v10, v15 src0_sel:BYTE_3 src1_sel:DWORD
	v_lshrrev_b32_e32 v32, 22, v32
	v_bfe_i32 v32, v32, 0, 1
	v_cndmask_b32_e64 v10, 0, -1, s[34:35]
	v_lshlrev_b16_e32 v10, 8, v10
	v_or_b32_sdwa v36, v32, v10 dst_sel:WORD_1 dst_unused:UNUSED_PAD src0_sel:BYTE_0 src1_sel:DWORD
	v_or_b32_sdwa v37, v34, v33 dst_sel:DWORD dst_unused:UNUSED_PAD src0_sel:BYTE_0 src1_sel:DWORD
	v_or_b32_sdwa v36, v37, v36 dst_sel:DWORD dst_unused:UNUSED_PAD src0_sel:WORD_0 src1_sel:DWORD
	v_xor_b32_e32 v9, v9, v36
	v_and_b32_e32 v36, 0xffffff00, v9
	v_sub_i16 v33, v36, v33 clamp
	v_lshlrev_b16_e32 v36, 8, v9
	v_lshlrev_b16_e32 v34, 8, v34
	v_and_b32_e32 v33, 0xffffff00, v33
	v_sub_i16 v34, v36, v34 clamp
	v_or_b32_sdwa v33, v34, v33 dst_sel:DWORD dst_unused:UNUSED_PAD src0_sel:BYTE_1 src1_sel:DWORD
	v_and_b32_sdwa v34, v9, s31 dst_sel:DWORD dst_unused:UNUSED_PAD src0_sel:WORD_1 src1_sel:DWORD
	v_sub_i16 v10, v34, v10 clamp
	v_lshlrev_b16_sdwa v9, v43, v9 dst_sel:DWORD dst_unused:UNUSED_PAD src0_sel:DWORD src1_sel:WORD_1
	v_lshlrev_b16_e32 v32, 8, v32
	v_and_b32_e32 v10, 0xffffff00, v10
	v_sub_i16 v9, v9, v32 clamp
	v_or_b32_sdwa v9, v9, v10 dst_sel:WORD_1 dst_unused:UNUSED_PAD src0_sel:BYTE_1 src1_sel:DWORD
	global_load_ushort v34, v[26:27], off offset:2
	global_load_ushort v10, v[26:27], off offset:6
	v_or_b32_sdwa v9, v33, v9 dst_sel:DWORD dst_unused:UNUSED_PAD src0_sel:WORD_0 src1_sel:DWORD
	v_mov_b32_e32 v30, 0
	v_dot4c_i32_i8_e32 v30, v8, v5
	v_dot4c_i32_i8_e32 v30, v9, v6
	s_waitcnt vmcnt(1)
	v_and_b32_sdwa v32, s29, v34 dst_sel:DWORD dst_unused:UNUSED_PAD src0_sel:DWORD src1_sel:BYTE_0
	v_lshlrev_b32_e32 v32, 3, v32
	global_load_dwordx2 v[36:37], v32, s[20:21]
	s_waitcnt vmcnt(1)
	v_and_b32_e32 v33, 0xffff, v10
	v_and_b32_e32 v32, 0xff, v33
	v_bcnt_u32_b32 v38, v32, 0
	v_and_b32_e32 v38, 1, v38
	v_lshlrev_b32_e32 v38, 7, v38
	v_xor_b32_e32 v32, v38, v32
	v_mul_lo_u32 v38, v32, s30
	v_and_b32_e32 v32, 0x8000000, v38
	v_lshrrev_b32_e32 v39, 8, v38
	v_lshrrev_b16_e32 v40, 1, v39
	v_cmp_ne_u16_sdwa s[34:35], v32, v15 src0_sel:BYTE_3 src1_sel:DWORD
	v_and_b32_e32 v10, 1, v10
	v_bfe_i32 v40, v40, 0, 1
	v_lshrrev_b32_e32 v41, 18, v38
	v_cndmask_b32_e64 v32, 0, -1, s[34:35]
	v_sub_u16_e32 v10, 0, v10
	v_bfe_i32 v41, v41, 0, 1
	v_lshlrev_b16_e32 v32, 8, v32
	v_lshlrev_b16_e32 v40, 8, v40
	v_or_b32_sdwa v51, v41, v32 dst_sel:WORD_1 dst_unused:UNUSED_PAD src0_sel:BYTE_0 src1_sel:DWORD
	v_or_b32_sdwa v52, v10, v40 dst_sel:DWORD dst_unused:UNUSED_PAD src0_sel:BYTE_0 src1_sel:DWORD
	v_or_b32_sdwa v51, v52, v51 dst_sel:DWORD dst_unused:UNUSED_PAD src0_sel:WORD_0 src1_sel:DWORD
	v_lshlrev_b16_e32 v10, 8, v10
	v_lshrrev_b16_e32 v39, 5, v39
	v_bfe_i32 v39, v39, 0, 1
	v_lshlrev_b16_e32 v39, 8, v39
	v_lshlrev_b32_sdwa v34, v44, v34 dst_sel:DWORD dst_unused:UNUSED_PAD src0_sel:DWORD src1_sel:BYTE_1
	s_waitcnt vmcnt(0)
	v_xor_b32_e32 v36, v36, v51
	v_and_b32_e32 v51, 0xffffff00, v36
	v_sub_i16 v40, v51, v40 clamp
	v_lshlrev_b16_e32 v51, 8, v36
	v_and_b32_e32 v40, 0xffffff00, v40
	v_sub_i16 v10, v51, v10 clamp
	v_or_b32_sdwa v10, v10, v40 dst_sel:DWORD dst_unused:UNUSED_PAD src0_sel:BYTE_1 src1_sel:DWORD
	v_and_b32_sdwa v40, v36, s31 dst_sel:DWORD dst_unused:UNUSED_PAD src0_sel:WORD_1 src1_sel:DWORD
	v_sub_i16 v32, v40, v32 clamp
	v_lshlrev_b16_sdwa v36, v43, v36 dst_sel:DWORD dst_unused:UNUSED_PAD src0_sel:DWORD src1_sel:WORD_1
	v_lshlrev_b16_e32 v40, 8, v41
	v_and_b32_e32 v32, 0xffffff00, v32
	v_sub_i16 v36, v36, v40 clamp
	v_or_b32_sdwa v32, v36, v32 dst_sel:WORD_1 dst_unused:UNUSED_PAD src0_sel:BYTE_1 src1_sel:DWORD
	v_bfe_i32 v36, v33, 4, 1
	v_or_b32_sdwa v10, v10, v32 dst_sel:DWORD dst_unused:UNUSED_PAD src0_sel:WORD_0 src1_sel:DWORD
	v_mov_b32_e32 v32, 0
	v_dot4c_i32_i8_e32 v32, v10, v5
	v_and_b32_e32 v5, 0x80000000, v38
	v_cmp_ne_u16_sdwa s[34:35], v5, v15 src0_sel:BYTE_3 src1_sel:DWORD
	v_lshrrev_b32_e32 v38, 22, v38
	v_bfe_i32 v38, v38, 0, 1
	v_cndmask_b32_e64 v5, 0, -1, s[34:35]
	v_lshlrev_b16_e32 v5, 8, v5
	v_or_b32_sdwa v40, v38, v5 dst_sel:WORD_1 dst_unused:UNUSED_PAD src0_sel:BYTE_0 src1_sel:DWORD
	v_or_b32_sdwa v41, v36, v39 dst_sel:DWORD dst_unused:UNUSED_PAD src0_sel:BYTE_0 src1_sel:DWORD
	v_or_b32_sdwa v40, v41, v40 dst_sel:DWORD dst_unused:UNUSED_PAD src0_sel:WORD_0 src1_sel:DWORD
	v_xor_b32_e32 v37, v37, v40
	v_and_b32_e32 v40, 0xffffff00, v37
	v_sub_i16 v39, v40, v39 clamp
	v_lshlrev_b16_e32 v40, 8, v37
	v_lshlrev_b16_e32 v36, 8, v36
	v_and_b32_e32 v39, 0xffffff00, v39
	v_sub_i16 v36, v40, v36 clamp
	v_or_b32_sdwa v36, v36, v39 dst_sel:DWORD dst_unused:UNUSED_PAD src0_sel:BYTE_1 src1_sel:DWORD
	v_and_b32_sdwa v39, v37, s31 dst_sel:DWORD dst_unused:UNUSED_PAD src0_sel:WORD_1 src1_sel:DWORD
	v_sub_i16 v5, v39, v5 clamp
	v_lshlrev_b16_sdwa v37, v43, v37 dst_sel:DWORD dst_unused:UNUSED_PAD src0_sel:DWORD src1_sel:WORD_1
	v_lshlrev_b16_e32 v38, 8, v38
	v_and_b32_e32 v5, 0xffffff00, v5
	v_sub_i16 v37, v37, v38 clamp
	v_or_b32_sdwa v5, v37, v5 dst_sel:WORD_1 dst_unused:UNUSED_PAD src0_sel:BYTE_1 src1_sel:DWORD
	s_nop 0
	v_or_b32_sdwa v5, v36, v5 dst_sel:DWORD dst_unused:UNUSED_PAD src0_sel:WORD_0 src1_sel:DWORD
	v_dot4c_i32_i8_e32 v32, v5, v6
	v_lshlrev_b32_sdwa v6, v44, v31 dst_sel:DWORD dst_unused:UNUSED_PAD src0_sel:DWORD src1_sel:BYTE_1
	global_load_dwordx2 v[36:37], v6, s[20:21]
	v_bfe_u32 v31, v35, 7, 8
	v_bcnt_u32_b32 v38, v31, 0
	v_and_b32_e32 v38, 1, v38
	v_lshlrev_b32_e32 v38, 7, v38
	v_xor_b32_e32 v31, v38, v31
	v_mul_lo_u32 v31, v31, s30
	v_and_b32_e32 v38, 0x8000000, v31
	v_lshrrev_b32_e32 v39, 8, v31
	v_lshrrev_b16_e32 v40, 1, v39
	v_cmp_ne_u16_sdwa s[34:35], v38, v15 src0_sel:BYTE_3 src1_sel:DWORD
	v_bfe_i32 v40, v40, 0, 1
	v_lshrrev_b32_e32 v41, 18, v31
	v_cndmask_b32_e64 v38, 0, -1, s[34:35]
	v_bfe_i32 v6, v35, 7, 1
	v_bfe_i32 v41, v41, 0, 1
	v_lshlrev_b16_e32 v38, 8, v38
	v_lshlrev_b16_e32 v40, 8, v40
	v_or_b32_sdwa v51, v41, v38 dst_sel:WORD_1 dst_unused:UNUSED_PAD src0_sel:BYTE_0 src1_sel:DWORD
	v_or_b32_sdwa v52, v6, v40 dst_sel:DWORD dst_unused:UNUSED_PAD src0_sel:BYTE_0 src1_sel:DWORD
	v_or_b32_sdwa v51, v52, v51 dst_sel:DWORD dst_unused:UNUSED_PAD src0_sel:WORD_0 src1_sel:DWORD
	v_lshlrev_b16_e32 v6, 8, v6
	v_lshrrev_b16_e32 v39, 5, v39
	v_bfe_i32 v39, v39, 0, 1
	v_lshlrev_b16_e32 v39, 8, v39
	s_waitcnt vmcnt(0)
	v_xor_b32_e32 v36, v36, v51
	v_and_b32_e32 v51, 0xffffff00, v36
	v_sub_i16 v40, v51, v40 clamp
	v_lshlrev_b16_e32 v51, 8, v36
	v_and_b32_e32 v40, 0xffffff00, v40
	v_sub_i16 v6, v51, v6 clamp
	v_or_b32_sdwa v6, v6, v40 dst_sel:DWORD dst_unused:UNUSED_PAD src0_sel:BYTE_1 src1_sel:DWORD
	v_and_b32_sdwa v40, v36, s31 dst_sel:DWORD dst_unused:UNUSED_PAD src0_sel:WORD_1 src1_sel:DWORD
	v_sub_i16 v38, v40, v38 clamp
	v_lshlrev_b16_sdwa v36, v43, v36 dst_sel:DWORD dst_unused:UNUSED_PAD src0_sel:DWORD src1_sel:WORD_1
	v_lshlrev_b16_e32 v40, 8, v41
	v_and_b32_e32 v38, 0xffffff00, v38
	v_sub_i16 v36, v36, v40 clamp
	v_or_b32_sdwa v36, v36, v38 dst_sel:WORD_1 dst_unused:UNUSED_PAD src0_sel:BYTE_1 src1_sel:DWORD
	v_bfe_i32 v38, v35, 11, 1
	v_or_b32_sdwa v6, v6, v36 dst_sel:DWORD dst_unused:UNUSED_PAD src0_sel:WORD_0 src1_sel:DWORD
	v_and_b32_e32 v36, 0x80000000, v31
	v_cmp_ne_u16_sdwa s[34:35], v36, v15 src0_sel:BYTE_3 src1_sel:DWORD
	v_lshrrev_b32_e32 v31, 22, v31
	v_bfe_i32 v31, v31, 0, 1
	v_cndmask_b32_e64 v36, 0, -1, s[34:35]
	v_lshlrev_b16_e32 v36, 8, v36
	v_or_b32_sdwa v40, v31, v36 dst_sel:WORD_1 dst_unused:UNUSED_PAD src0_sel:BYTE_0 src1_sel:DWORD
	v_or_b32_sdwa v41, v38, v39 dst_sel:DWORD dst_unused:UNUSED_PAD src0_sel:BYTE_0 src1_sel:DWORD
	v_or_b32_sdwa v40, v41, v40 dst_sel:DWORD dst_unused:UNUSED_PAD src0_sel:WORD_0 src1_sel:DWORD
	v_xor_b32_e32 v37, v37, v40
	v_and_b32_e32 v40, 0xffffff00, v37
	v_sub_i16 v39, v40, v39 clamp
	v_lshlrev_b16_e32 v40, 8, v37
	v_lshlrev_b16_e32 v38, 8, v38
	v_and_b32_e32 v39, 0xffffff00, v39
	v_sub_i16 v38, v40, v38 clamp
	v_or_b32_sdwa v38, v38, v39 dst_sel:DWORD dst_unused:UNUSED_PAD src0_sel:BYTE_1 src1_sel:DWORD
	v_and_b32_sdwa v39, v37, s31 dst_sel:DWORD dst_unused:UNUSED_PAD src0_sel:WORD_1 src1_sel:DWORD
	v_sub_i16 v36, v39, v36 clamp
	v_lshlrev_b16_sdwa v37, v43, v37 dst_sel:DWORD dst_unused:UNUSED_PAD src0_sel:DWORD src1_sel:WORD_1
	v_lshlrev_b16_e32 v31, 8, v31
	v_and_b32_e32 v36, 0xffffff00, v36
	v_sub_i16 v31, v37, v31 clamp
	v_or_b32_sdwa v31, v31, v36 dst_sel:WORD_1 dst_unused:UNUSED_PAD src0_sel:BYTE_1 src1_sel:DWORD
	global_load_ushort v36, v[28:29], off offset:4
	global_load_ushort v51, v[28:29], off offset:8
	v_bfe_i32 v37, v35, 14, 1
	v_or_b32_sdwa v31, v38, v31 dst_sel:DWORD dst_unused:UNUSED_PAD src0_sel:WORD_0 src1_sel:DWORD
	v_dot4c_i32_i8_e32 v30, v6, v7
	v_dot4c_i32_i8_e32 v30, v31, v0
	s_waitcnt vmcnt(1)
	v_and_b32_sdwa v28, s29, v36 dst_sel:DWORD dst_unused:UNUSED_PAD src0_sel:DWORD src1_sel:BYTE_0
	v_lshlrev_b32_e32 v28, 3, v28
	global_load_dwordx2 v[28:29], v28, s[20:21]
	s_waitcnt vmcnt(1)
	v_lshlrev_b32_e32 v73, 16, v51
	v_or_b32_e32 v35, v73, v35
	v_bfe_u32 v35, v35, 14, 8
	v_bcnt_u32_b32 v38, v35, 0
	v_and_b32_e32 v38, 1, v38
	v_lshlrev_b32_e32 v38, 7, v38
	v_xor_b32_e32 v35, v38, v35
	v_mul_lo_u32 v35, v35, s30
	v_and_b32_e32 v38, 0x8000000, v35
	v_lshrrev_b32_e32 v39, 8, v35
	v_lshrrev_b16_e32 v40, 1, v39
	v_cmp_ne_u16_sdwa s[34:35], v38, v15 src0_sel:BYTE_3 src1_sel:DWORD
	v_bfe_i32 v40, v40, 0, 1
	v_lshrrev_b32_e32 v41, 18, v35
	v_cndmask_b32_e64 v38, 0, -1, s[34:35]
	v_bfe_i32 v41, v41, 0, 1
	v_lshlrev_b16_e32 v38, 8, v38
	v_lshlrev_b16_e32 v40, 8, v40
	v_or_b32_sdwa v52, v41, v38 dst_sel:WORD_1 dst_unused:UNUSED_PAD src0_sel:BYTE_0 src1_sel:DWORD
	v_or_b32_sdwa v53, v37, v40 dst_sel:DWORD dst_unused:UNUSED_PAD src0_sel:BYTE_0 src1_sel:DWORD
	v_or_b32_sdwa v52, v53, v52 dst_sel:DWORD dst_unused:UNUSED_PAD src0_sel:WORD_0 src1_sel:DWORD
	v_lshlrev_b16_e32 v37, 8, v37
	v_bfe_i32 v60, v51, 2, 1
	v_lshlrev_b16_e32 v61, 8, v60
	s_waitcnt vmcnt(0)
	v_xor_b32_e32 v28, v28, v52
	v_and_b32_e32 v52, 0xffffff00, v28
	v_sub_i16 v40, v52, v40 clamp
	v_lshlrev_b16_e32 v52, 8, v28
	v_and_b32_e32 v40, 0xffffff00, v40
	v_sub_i16 v37, v52, v37 clamp
	v_or_b32_sdwa v37, v37, v40 dst_sel:DWORD dst_unused:UNUSED_PAD src0_sel:BYTE_1 src1_sel:DWORD
	v_and_b32_sdwa v40, v28, s31 dst_sel:DWORD dst_unused:UNUSED_PAD src0_sel:WORD_1 src1_sel:DWORD
	v_sub_i16 v38, v40, v38 clamp
	v_lshlrev_b16_sdwa v28, v43, v28 dst_sel:DWORD dst_unused:UNUSED_PAD src0_sel:DWORD src1_sel:WORD_1
	v_lshlrev_b16_e32 v40, 8, v41
	v_and_b32_e32 v38, 0xffffff00, v38
	v_sub_i16 v28, v28, v40 clamp
	v_or_b32_sdwa v28, v28, v38 dst_sel:WORD_1 dst_unused:UNUSED_PAD src0_sel:BYTE_1 src1_sel:DWORD
	v_lshrrev_b16_e32 v38, 5, v39
	v_or_b32_sdwa v28, v37, v28 dst_sel:DWORD dst_unused:UNUSED_PAD src0_sel:WORD_0 src1_sel:DWORD
	v_and_b32_e32 v37, 0x80000000, v35
	v_cmp_ne_u16_sdwa s[34:35], v37, v15 src0_sel:BYTE_3 src1_sel:DWORD
	v_bfe_i32 v38, v38, 0, 1
	v_lshrrev_b32_e32 v35, 22, v35
	v_cndmask_b32_e64 v37, 0, -1, s[34:35]
	v_bfe_i32 v35, v35, 0, 1
	v_lshlrev_b16_e32 v37, 8, v37
	v_lshlrev_b16_e32 v38, 8, v38
	v_or_b32_sdwa v39, v35, v37 dst_sel:WORD_1 dst_unused:UNUSED_PAD src0_sel:BYTE_0 src1_sel:DWORD
	v_or_b32_sdwa v40, v60, v38 dst_sel:DWORD dst_unused:UNUSED_PAD src0_sel:BYTE_0 src1_sel:DWORD
	v_or_b32_sdwa v39, v40, v39 dst_sel:DWORD dst_unused:UNUSED_PAD src0_sel:WORD_0 src1_sel:DWORD
	v_xor_b32_e32 v29, v29, v39
	v_and_b32_e32 v39, 0xffffff00, v29
	v_sub_i16 v38, v39, v38 clamp
	v_lshlrev_b16_e32 v39, 8, v29
	v_and_b32_e32 v38, 0xffffff00, v38
	v_sub_i16 v39, v39, v61 clamp
	v_or_b32_sdwa v38, v39, v38 dst_sel:DWORD dst_unused:UNUSED_PAD src0_sel:BYTE_1 src1_sel:DWORD
	v_and_b32_sdwa v39, v29, s31 dst_sel:DWORD dst_unused:UNUSED_PAD src0_sel:WORD_1 src1_sel:DWORD
	v_sub_i16 v37, v39, v37 clamp
	v_lshlrev_b16_sdwa v29, v43, v29 dst_sel:DWORD dst_unused:UNUSED_PAD src0_sel:DWORD src1_sel:WORD_1
	v_lshlrev_b16_e32 v35, 8, v35
	v_and_b32_e32 v37, 0xffffff00, v37
	v_sub_i16 v29, v29, v35 clamp
	v_lshlrev_b32_sdwa v35, v44, v36 dst_sel:DWORD dst_unused:UNUSED_PAD src0_sel:DWORD src1_sel:BYTE_1
	v_or_b32_sdwa v29, v29, v37 dst_sel:WORD_1 dst_unused:UNUSED_PAD src0_sel:BYTE_1 src1_sel:DWORD
	global_load_dwordx2 v[36:37], v35, s[20:21]
	v_bfe_u32 v35, v51, 5, 8
	v_or_b32_sdwa v29, v38, v29 dst_sel:DWORD dst_unused:UNUSED_PAD src0_sel:WORD_0 src1_sel:DWORD
	v_bcnt_u32_b32 v38, v35, 0
	v_and_b32_e32 v38, 1, v38
	v_lshlrev_b32_e32 v38, 7, v38
	v_xor_b32_e32 v35, v38, v35
	v_mul_lo_u32 v38, v35, s30
	v_and_b32_e32 v35, 0x8000000, v38
	v_lshrrev_b32_e32 v40, 8, v38
	v_lshrrev_b16_e32 v41, 1, v40
	v_cmp_ne_u16_sdwa s[34:35], v35, v15 src0_sel:BYTE_3 src1_sel:DWORD
	v_bfe_i32 v41, v41, 0, 1
	v_lshrrev_b32_e32 v52, 18, v38
	v_cndmask_b32_e64 v35, 0, -1, s[34:35]
	v_bfe_i32 v39, v51, 5, 1
	v_bfe_i32 v52, v52, 0, 1
	v_lshlrev_b16_e32 v62, 8, v35
	v_lshlrev_b16_e32 v63, 8, v41
	v_or_b32_sdwa v35, v52, v62 dst_sel:WORD_1 dst_unused:UNUSED_PAD src0_sel:BYTE_0 src1_sel:DWORD
	v_or_b32_sdwa v41, v39, v63 dst_sel:DWORD dst_unused:UNUSED_PAD src0_sel:BYTE_0 src1_sel:DWORD
	v_or_b32_sdwa v64, v41, v35 dst_sel:DWORD dst_unused:UNUSED_PAD src0_sel:WORD_0 src1_sel:DWORD
	v_lshlrev_b16_e32 v65, 8, v39
	v_lshlrev_b16_e32 v66, 8, v52
	v_lshrrev_b16_e32 v40, 5, v40
	v_bfe_i32 v40, v40, 0, 1
	v_lshlrev_b16_e32 v68, 8, v40
	v_dot4c_i32_i8_e32 v30, v28, v1
	v_dot4c_i32_i8_e32 v30, v29, v2
	s_waitcnt vmcnt(0)
	v_xor_b32_e32 v35, v36, v64
	v_and_b32_e32 v36, 0xffffff00, v35
	v_sub_i16 v36, v36, v63 clamp
	v_lshlrev_b16_e32 v41, 8, v35
	v_and_b32_e32 v36, 0xffffff00, v36
	v_sub_i16 v39, v41, v65 clamp
	v_or_b32_sdwa v36, v39, v36 dst_sel:DWORD dst_unused:UNUSED_PAD src0_sel:BYTE_1 src1_sel:DWORD
	v_and_b32_sdwa v39, v35, s31 dst_sel:DWORD dst_unused:UNUSED_PAD src0_sel:WORD_1 src1_sel:DWORD
	v_sub_i16 v39, v39, v62 clamp
	v_lshlrev_b16_sdwa v35, v43, v35 dst_sel:DWORD dst_unused:UNUSED_PAD src0_sel:DWORD src1_sel:WORD_1
	v_and_b32_e32 v39, 0xffffff00, v39
	v_sub_i16 v35, v35, v66 clamp
	v_or_b32_sdwa v35, v35, v39 dst_sel:WORD_1 dst_unused:UNUSED_PAD src0_sel:BYTE_1 src1_sel:DWORD
	v_bfe_i32 v39, v51, 9, 1
	v_or_b32_sdwa v35, v36, v35 dst_sel:DWORD dst_unused:UNUSED_PAD src0_sel:WORD_0 src1_sel:DWORD
	v_and_b32_e32 v36, 0x80000000, v38
	v_cmp_ne_u16_sdwa s[34:35], v36, v15 src0_sel:BYTE_3 src1_sel:DWORD
	v_lshrrev_b32_e32 v38, 22, v38
	v_bfe_i32 v38, v38, 0, 1
	v_cndmask_b32_e64 v36, 0, -1, s[34:35]
	v_lshlrev_b16_e32 v67, 8, v36
	v_or_b32_sdwa v36, v38, v67 dst_sel:WORD_1 dst_unused:UNUSED_PAD src0_sel:BYTE_0 src1_sel:DWORD
	v_or_b32_sdwa v40, v39, v68 dst_sel:DWORD dst_unused:UNUSED_PAD src0_sel:BYTE_0 src1_sel:DWORD
	v_or_b32_sdwa v69, v40, v36 dst_sel:DWORD dst_unused:UNUSED_PAD src0_sel:WORD_0 src1_sel:DWORD
	v_xor_b32_e32 v36, v37, v69
	v_and_b32_e32 v37, 0xffffff00, v36
	v_sub_i16 v37, v37, v68 clamp
	v_lshlrev_b16_e32 v40, 8, v36
	v_lshlrev_b16_e32 v70, 8, v39
	v_and_b32_e32 v37, 0xffffff00, v37
	v_sub_i16 v39, v40, v70 clamp
	v_or_b32_sdwa v37, v39, v37 dst_sel:DWORD dst_unused:UNUSED_PAD src0_sel:BYTE_1 src1_sel:DWORD
	v_and_b32_sdwa v39, v36, s31 dst_sel:DWORD dst_unused:UNUSED_PAD src0_sel:WORD_1 src1_sel:DWORD
	v_sub_i16 v39, v39, v67 clamp
	v_lshlrev_b16_sdwa v36, v43, v36 dst_sel:DWORD dst_unused:UNUSED_PAD src0_sel:DWORD src1_sel:WORD_1
	v_lshlrev_b16_e32 v71, 8, v38
	v_and_b32_e32 v39, 0xffffff00, v39
	v_sub_i16 v36, v36, v71 clamp
	v_or_b32_sdwa v36, v36, v39 dst_sel:WORD_1 dst_unused:UNUSED_PAD src0_sel:BYTE_1 src1_sel:DWORD
	v_bfe_u32 v38, v33, 7, 8
	v_or_b32_sdwa v57, v37, v36 dst_sel:DWORD dst_unused:UNUSED_PAD src0_sel:WORD_0 src1_sel:DWORD
	global_load_dwordx2 v[36:37], v34, s[20:21]
	v_bcnt_u32_b32 v39, v38, 0
	v_and_b32_e32 v39, 1, v39
	v_lshlrev_b32_e32 v39, 7, v39
	v_xor_b32_e32 v38, v39, v38
	v_mul_lo_u32 v38, v38, s30
	v_and_b32_e32 v39, 0x8000000, v38
	v_lshrrev_b32_e32 v40, 8, v38
	v_lshrrev_b16_e32 v41, 1, v40
	v_cmp_ne_u16_sdwa s[34:35], v39, v15 src0_sel:BYTE_3 src1_sel:DWORD
	v_bfe_i32 v41, v41, 0, 1
	v_lshrrev_b32_e32 v52, 18, v38
	v_cndmask_b32_e64 v39, 0, -1, s[34:35]
	v_bfe_i32 v34, v33, 7, 1
	v_bfe_i32 v52, v52, 0, 1
	v_lshlrev_b16_e32 v39, 8, v39
	v_lshlrev_b16_e32 v41, 8, v41
	v_or_b32_sdwa v53, v52, v39 dst_sel:WORD_1 dst_unused:UNUSED_PAD src0_sel:BYTE_0 src1_sel:DWORD
	v_or_b32_sdwa v54, v34, v41 dst_sel:DWORD dst_unused:UNUSED_PAD src0_sel:BYTE_0 src1_sel:DWORD
	v_or_b32_sdwa v53, v54, v53 dst_sel:DWORD dst_unused:UNUSED_PAD src0_sel:WORD_0 src1_sel:DWORD
	v_lshlrev_b16_e32 v34, 8, v34
	v_dot4c_i32_i8_e32 v30, v35, v3
	v_dot4c_i32_i8_e32 v30, v57, v11
	s_waitcnt vmcnt(0)
	v_xor_b32_e32 v36, v36, v53
	v_and_b32_e32 v53, 0xffffff00, v36
	v_sub_i16 v41, v53, v41 clamp
	v_lshlrev_b16_e32 v53, 8, v36
	v_and_b32_e32 v41, 0xffffff00, v41
	v_sub_i16 v34, v53, v34 clamp
	v_or_b32_sdwa v34, v34, v41 dst_sel:DWORD dst_unused:UNUSED_PAD src0_sel:BYTE_1 src1_sel:DWORD
	v_and_b32_sdwa v41, v36, s31 dst_sel:DWORD dst_unused:UNUSED_PAD src0_sel:WORD_1 src1_sel:DWORD
	v_sub_i16 v39, v41, v39 clamp
	v_lshlrev_b16_sdwa v36, v43, v36 dst_sel:DWORD dst_unused:UNUSED_PAD src0_sel:DWORD src1_sel:WORD_1
	v_lshlrev_b16_e32 v41, 8, v52
	v_and_b32_e32 v39, 0xffffff00, v39
	v_sub_i16 v36, v36, v41 clamp
	v_or_b32_sdwa v36, v36, v39 dst_sel:WORD_1 dst_unused:UNUSED_PAD src0_sel:BYTE_1 src1_sel:DWORD
	v_lshrrev_b16_e32 v39, 5, v40
	v_or_b32_sdwa v34, v34, v36 dst_sel:DWORD dst_unused:UNUSED_PAD src0_sel:WORD_0 src1_sel:DWORD
	v_dot4c_i32_i8_e32 v32, v34, v7
	v_and_b32_e32 v7, 0x80000000, v38
	v_cmp_ne_u16_sdwa s[34:35], v7, v15 src0_sel:BYTE_3 src1_sel:DWORD
	v_bfe_i32 v39, v39, 0, 1
	v_lshrrev_b32_e32 v38, 22, v38
	v_cndmask_b32_e64 v7, 0, -1, s[34:35]
	v_bfe_i32 v36, v33, 11, 1
	v_bfe_i32 v38, v38, 0, 1
	v_lshlrev_b16_e32 v7, 8, v7
	v_lshlrev_b16_e32 v39, 8, v39
	v_or_b32_sdwa v40, v38, v7 dst_sel:WORD_1 dst_unused:UNUSED_PAD src0_sel:BYTE_0 src1_sel:DWORD
	v_or_b32_sdwa v41, v36, v39 dst_sel:DWORD dst_unused:UNUSED_PAD src0_sel:BYTE_0 src1_sel:DWORD
	v_or_b32_sdwa v40, v41, v40 dst_sel:DWORD dst_unused:UNUSED_PAD src0_sel:WORD_0 src1_sel:DWORD
	v_xor_b32_e32 v37, v37, v40
	v_and_b32_e32 v40, 0xffffff00, v37
	v_sub_i16 v39, v40, v39 clamp
	v_lshlrev_b16_e32 v40, 8, v37
	v_lshlrev_b16_e32 v36, 8, v36
	v_and_b32_e32 v39, 0xffffff00, v39
	v_sub_i16 v36, v40, v36 clamp
	v_or_b32_sdwa v36, v36, v39 dst_sel:DWORD dst_unused:UNUSED_PAD src0_sel:BYTE_1 src1_sel:DWORD
	v_and_b32_sdwa v39, v37, s31 dst_sel:DWORD dst_unused:UNUSED_PAD src0_sel:WORD_1 src1_sel:DWORD
	v_sub_i16 v7, v39, v7 clamp
	v_lshlrev_b16_sdwa v37, v43, v37 dst_sel:DWORD dst_unused:UNUSED_PAD src0_sel:DWORD src1_sel:WORD_1
	v_lshlrev_b16_e32 v38, 8, v38
	v_and_b32_e32 v7, 0xffffff00, v7
	v_sub_i16 v37, v37, v38 clamp
	v_or_b32_sdwa v7, v37, v7 dst_sel:WORD_1 dst_unused:UNUSED_PAD src0_sel:BYTE_1 src1_sel:DWORD
	s_nop 0
	v_or_b32_sdwa v7, v36, v7 dst_sel:DWORD dst_unused:UNUSED_PAD src0_sel:WORD_0 src1_sel:DWORD
	v_dot4c_i32_i8_e32 v32, v7, v0
	global_load_ushort v0, v[26:27], off offset:4
	global_load_ushort v41, v[26:27], off offset:8
	v_bfe_i32 v36, v33, 14, 1
	s_waitcnt vmcnt(1)
	v_and_b32_sdwa v26, s29, v0 dst_sel:DWORD dst_unused:UNUSED_PAD src0_sel:DWORD src1_sel:BYTE_0
	v_lshlrev_b32_e32 v26, 3, v26
	global_load_dwordx2 v[26:27], v26, s[20:21]
	s_waitcnt vmcnt(1)
	v_lshlrev_b32_e32 v74, 16, v41
	v_or_b32_e32 v33, v74, v33
	v_bfe_u32 v33, v33, 14, 8
	v_bcnt_u32_b32 v37, v33, 0
	v_and_b32_e32 v37, 1, v37
	v_lshlrev_b32_e32 v37, 7, v37
	v_xor_b32_e32 v33, v37, v33
	v_mul_lo_u32 v33, v33, s30
	v_and_b32_e32 v37, 0x8000000, v33
	v_lshrrev_b32_e32 v38, 8, v33
	v_lshrrev_b16_e32 v39, 1, v38
	v_cmp_ne_u16_sdwa s[34:35], v37, v15 src0_sel:BYTE_3 src1_sel:DWORD
	v_bfe_i32 v39, v39, 0, 1
	v_lshrrev_b32_e32 v40, 18, v33
	v_cndmask_b32_e64 v37, 0, -1, s[34:35]
	v_bfe_i32 v40, v40, 0, 1
	v_lshlrev_b16_e32 v37, 8, v37
	v_lshlrev_b16_e32 v39, 8, v39
	v_or_b32_sdwa v52, v40, v37 dst_sel:WORD_1 dst_unused:UNUSED_PAD src0_sel:BYTE_0 src1_sel:DWORD
	v_or_b32_sdwa v53, v36, v39 dst_sel:DWORD dst_unused:UNUSED_PAD src0_sel:BYTE_0 src1_sel:DWORD
	v_or_b32_sdwa v52, v53, v52 dst_sel:DWORD dst_unused:UNUSED_PAD src0_sel:WORD_0 src1_sel:DWORD
	v_lshlrev_b16_e32 v36, 8, v36
	v_bfe_i32 v59, v41, 2, 1
	v_lshlrev_b16_e32 v58, 8, v59
	v_lshlrev_b32_sdwa v0, v44, v0 dst_sel:DWORD dst_unused:UNUSED_PAD src0_sel:DWORD src1_sel:BYTE_1
	s_waitcnt vmcnt(0)
	v_xor_b32_e32 v26, v26, v52
	v_and_b32_e32 v52, 0xffffff00, v26
	v_sub_i16 v39, v52, v39 clamp
	v_lshlrev_b16_e32 v52, 8, v26
	v_and_b32_e32 v39, 0xffffff00, v39
	v_sub_i16 v36, v52, v36 clamp
	v_or_b32_sdwa v36, v36, v39 dst_sel:DWORD dst_unused:UNUSED_PAD src0_sel:BYTE_1 src1_sel:DWORD
	v_and_b32_sdwa v39, v26, s31 dst_sel:DWORD dst_unused:UNUSED_PAD src0_sel:WORD_1 src1_sel:DWORD
	v_sub_i16 v37, v39, v37 clamp
	v_lshlrev_b16_sdwa v26, v43, v26 dst_sel:DWORD dst_unused:UNUSED_PAD src0_sel:DWORD src1_sel:WORD_1
	v_lshlrev_b16_e32 v39, 8, v40
	v_and_b32_e32 v37, 0xffffff00, v37
	v_sub_i16 v26, v26, v39 clamp
	v_or_b32_sdwa v26, v26, v37 dst_sel:WORD_1 dst_unused:UNUSED_PAD src0_sel:BYTE_1 src1_sel:DWORD
	s_nop 0
	v_or_b32_sdwa v72, v36, v26 dst_sel:DWORD dst_unused:UNUSED_PAD src0_sel:WORD_0 src1_sel:DWORD
	v_dot4c_i32_i8_e32 v32, v72, v1
	v_and_b32_e32 v1, 0x80000000, v33
	v_lshrrev_b16_e32 v26, 5, v38
	v_cmp_ne_u16_sdwa s[34:35], v1, v15 src0_sel:BYTE_3 src1_sel:DWORD
	v_bfe_i32 v26, v26, 0, 1
	v_lshrrev_b32_e32 v33, 22, v33
	v_cndmask_b32_e64 v1, 0, -1, s[34:35]
	v_bfe_i32 v33, v33, 0, 1
	v_lshlrev_b16_e32 v1, 8, v1
	v_lshlrev_b16_e32 v26, 8, v26
	v_or_b32_sdwa v36, v33, v1 dst_sel:WORD_1 dst_unused:UNUSED_PAD src0_sel:BYTE_0 src1_sel:DWORD
	v_or_b32_sdwa v37, v59, v26 dst_sel:DWORD dst_unused:UNUSED_PAD src0_sel:BYTE_0 src1_sel:DWORD
	v_or_b32_sdwa v36, v37, v36 dst_sel:DWORD dst_unused:UNUSED_PAD src0_sel:WORD_0 src1_sel:DWORD
	v_xor_b32_e32 v27, v27, v36
	v_and_b32_e32 v36, 0xffffff00, v27
	v_sub_i16 v26, v36, v26 clamp
	v_lshlrev_b16_e32 v36, 8, v27
	v_and_b32_e32 v26, 0xffffff00, v26
	v_sub_i16 v36, v36, v58 clamp
	v_or_b32_sdwa v26, v36, v26 dst_sel:DWORD dst_unused:UNUSED_PAD src0_sel:BYTE_1 src1_sel:DWORD
	v_and_b32_sdwa v36, v27, s31 dst_sel:DWORD dst_unused:UNUSED_PAD src0_sel:WORD_1 src1_sel:DWORD
	v_sub_i16 v1, v36, v1 clamp
	v_lshlrev_b16_sdwa v27, v43, v27 dst_sel:DWORD dst_unused:UNUSED_PAD src0_sel:DWORD src1_sel:WORD_1
	v_lshlrev_b16_e32 v33, 8, v33
	v_and_b32_e32 v1, 0xffffff00, v1
	v_sub_i16 v27, v27, v33 clamp
	v_or_b32_sdwa v1, v27, v1 dst_sel:WORD_1 dst_unused:UNUSED_PAD src0_sel:BYTE_1 src1_sel:DWORD
	v_bfe_i32 v27, v41, 5, 1
	v_or_b32_sdwa v75, v26, v1 dst_sel:DWORD dst_unused:UNUSED_PAD src0_sel:WORD_0 src1_sel:DWORD
	global_load_dwordx2 v[0:1], v0, s[20:21]
	v_dot4c_i32_i8_e32 v32, v75, v2
	v_bfe_u32 v2, v41, 5, 8
	v_bcnt_u32_b32 v26, v2, 0
	v_and_b32_e32 v26, 1, v26
	v_lshlrev_b32_e32 v26, 7, v26
	v_xor_b32_e32 v2, v26, v2
	v_mul_lo_u32 v2, v2, s30
	v_and_b32_e32 v26, 0x8000000, v2
	v_lshrrev_b32_e32 v33, 8, v2
	v_lshrrev_b16_e32 v36, 1, v33
	v_cmp_ne_u16_sdwa s[34:35], v26, v15 src0_sel:BYTE_3 src1_sel:DWORD
	v_bfe_i32 v36, v36, 0, 1
	v_lshrrev_b32_e32 v37, 18, v2
	v_cndmask_b32_e64 v26, 0, -1, s[34:35]
	v_bfe_i32 v37, v37, 0, 1
	v_lshlrev_b16_e32 v52, 8, v26
	v_lshlrev_b16_e32 v54, 8, v36
	v_or_b32_sdwa v26, v37, v52 dst_sel:WORD_1 dst_unused:UNUSED_PAD src0_sel:BYTE_0 src1_sel:DWORD
	v_or_b32_sdwa v36, v27, v54 dst_sel:DWORD dst_unused:UNUSED_PAD src0_sel:BYTE_0 src1_sel:DWORD
	v_or_b32_sdwa v56, v36, v26 dst_sel:DWORD dst_unused:UNUSED_PAD src0_sel:WORD_0 src1_sel:DWORD
	v_lshlrev_b16_e32 v55, 8, v27
	v_lshlrev_b16_e32 v53, 8, v37
	s_waitcnt vmcnt(0)
	v_xor_b32_e32 v0, v0, v56
	v_and_b32_e32 v26, 0xffffff00, v0
	v_sub_i16 v26, v26, v54 clamp
	v_lshlrev_b16_e32 v36, 8, v0
	v_and_b32_e32 v26, 0xffffff00, v26
	v_sub_i16 v27, v36, v55 clamp
	v_or_b32_sdwa v26, v27, v26 dst_sel:DWORD dst_unused:UNUSED_PAD src0_sel:BYTE_1 src1_sel:DWORD
	v_and_b32_sdwa v27, v0, s31 dst_sel:DWORD dst_unused:UNUSED_PAD src0_sel:WORD_1 src1_sel:DWORD
	v_sub_i16 v27, v27, v52 clamp
	v_lshlrev_b16_sdwa v0, v43, v0 dst_sel:DWORD dst_unused:UNUSED_PAD src0_sel:DWORD src1_sel:WORD_1
	v_and_b32_e32 v27, 0xffffff00, v27
	v_sub_i16 v0, v0, v53 clamp
	v_or_b32_sdwa v0, v0, v27 dst_sel:WORD_1 dst_unused:UNUSED_PAD src0_sel:BYTE_1 src1_sel:DWORD
	s_nop 0
	v_or_b32_sdwa v80, v26, v0 dst_sel:DWORD dst_unused:UNUSED_PAD src0_sel:WORD_0 src1_sel:DWORD
	v_and_b32_e32 v0, 0x80000000, v2
	v_lshrrev_b16_e32 v26, 5, v33
	v_cmp_ne_u16_sdwa s[34:35], v0, v15 src0_sel:BYTE_3 src1_sel:DWORD
	v_bfe_i32 v26, v26, 0, 1
	v_lshrrev_b32_e32 v2, 22, v2
	v_cndmask_b32_e64 v0, 0, -1, s[34:35]
	v_dot4c_i32_i8_e32 v32, v80, v3
	v_bfe_i32 v3, v41, 9, 1
	v_bfe_i32 v2, v2, 0, 1
	v_lshlrev_b16_e32 v36, 8, v0
	v_lshlrev_b16_e32 v37, 8, v26
	v_or_b32_sdwa v0, v2, v36 dst_sel:WORD_1 dst_unused:UNUSED_PAD src0_sel:BYTE_0 src1_sel:DWORD
	v_or_b32_sdwa v26, v3, v37 dst_sel:DWORD dst_unused:UNUSED_PAD src0_sel:BYTE_0 src1_sel:DWORD
	v_or_b32_sdwa v38, v26, v0 dst_sel:DWORD dst_unused:UNUSED_PAD src0_sel:WORD_0 src1_sel:DWORD
	v_xor_b32_e32 v0, v1, v38
	v_and_b32_e32 v1, 0xffffff00, v0
	v_sub_i16 v1, v1, v37 clamp
	v_lshlrev_b16_e32 v26, 8, v0
	v_lshlrev_b16_e32 v39, 8, v3
	v_and_b32_e32 v1, 0xffffff00, v1
	v_sub_i16 v3, v26, v39 clamp
	v_or_b32_sdwa v1, v3, v1 dst_sel:DWORD dst_unused:UNUSED_PAD src0_sel:BYTE_1 src1_sel:DWORD
	v_and_b32_sdwa v3, v0, s31 dst_sel:DWORD dst_unused:UNUSED_PAD src0_sel:WORD_1 src1_sel:DWORD
	v_sub_i16 v3, v3, v36 clamp
	v_lshlrev_b16_sdwa v0, v43, v0 dst_sel:DWORD dst_unused:UNUSED_PAD src0_sel:DWORD src1_sel:WORD_1
	v_lshlrev_b16_e32 v40, 8, v2
	v_and_b32_e32 v3, 0xffffff00, v3
	v_sub_i16 v0, v0, v40 clamp
	v_or_b32_sdwa v0, v0, v3 dst_sel:WORD_1 dst_unused:UNUSED_PAD src0_sel:BYTE_1 src1_sel:DWORD
	s_nop 0
	v_or_b32_sdwa v81, v1, v0 dst_sel:DWORD dst_unused:UNUSED_PAD src0_sel:WORD_0 src1_sel:DWORD
	v_lshrrev_b32_e32 v1, 11, v51
	v_or_b32_e32 v51, 1, v1
	v_lshrrev_b32_e32 v0, 11, v41
	v_mul_lo_u32 v1, v30, v51
	v_dot4c_i32_i8_e32 v32, v81, v11
	v_or_b32_e32 v41, 1, v0
	v_ashrrev_i32_e32 v2, 31, v1
	v_lshrrev_b32_e32 v2, 29, v2
	v_mul_lo_u32 v0, v32, v41
	v_add_u32_e32 v1, v1, v2
	v_ashrrev_i32_e32 v2, 31, v0
	v_lshrrev_b32_e32 v2, 29, v2
	v_add_u32_e32 v0, v0, v2
	global_load_ushort v2, v[22:23], off
	global_load_ushort v3, v[24:25], off
	v_ashrrev_i32_e32 v1, 3, v1
	v_ashrrev_i32_e32 v0, 3, v0
	v_cvt_f32_i32_e32 v27, v0
	v_cvt_f32_i32_e32 v26, v1
	v_mov_b32_e32 v30, 0
	s_waitcnt vmcnt(1)
	v_cvt_f32_f16_e32 v22, v2
	s_waitcnt vmcnt(0)
	v_cvt_f32_f16_e32 v23, v3
	scratch_load_dwordx4 v[0:3], off, off offset:16
	v_pk_mul_f32 v[24:25], v[4:5], v[22:23] op_sel_hi:[0,1]
	v_add_u32_e32 v4, s23, v42
	s_waitcnt vmcnt(0)
	v_pk_fma_f32 v[0:1], v[24:25], v[26:27], v[0:1]
	v_mad_u64_u32 v[24:25], s[34:35], v4, 36, s[24:25]
	v_mad_u64_u32 v[32:33], s[34:35], v16, 36, v[24:25]
	global_load_dword v11, v[32:33], off offset:32
	global_load_dwordx4 v[24:27], v[32:33], off offset:16
	global_load_dwordx4 v[76:79], v[32:33], off
	v_mov_b32_e32 v32, 0
	s_waitcnt vmcnt(0)
	v_dot4c_i32_i8_e32 v30, v8, v77
	v_dot4c_i32_i8_e32 v30, v9, v78
	;; [unrolled: 1-line block ×15, first 2 shown]
	v_mul_lo_u32 v24, v30, v51
	v_ashrrev_i32_e32 v25, 31, v24
	v_dot4c_i32_i8_e32 v32, v81, v11
	v_lshrrev_b32_e32 v25, 29, v25
	v_add_u32_e32 v24, v24, v25
	v_ashrrev_i32_e32 v26, 3, v24
	v_mul_lo_u32 v11, v32, v41
	v_ashrrev_i32_e32 v24, 31, v11
	v_lshrrev_b32_e32 v24, 29, v24
	v_add_u32_e32 v11, v11, v24
	v_cvt_f32_f16_e32 v4, v76
	v_ashrrev_i32_e32 v11, 3, v11
	v_cvt_f32_i32_e32 v27, v11
	v_cvt_f32_i32_e32 v26, v26
	v_pk_mul_f32 v[24:25], v[4:5], v[22:23] op_sel_hi:[0,1]
	v_mov_b32_e32 v30, 0
	v_pk_fma_f32 v[2:3], v[24:25], v[26:27], v[2:3]
	scratch_store_dwordx4 off, v[0:3], off offset:16
	s_nop 1
	v_add_u32_e32 v0, s27, v42
	v_mad_u64_u32 v[0:1], s[34:35], v0, 36, s[24:25]
	v_mad_u64_u32 v[32:33], s[34:35], v16, 36, v[0:1]
	global_load_dword v11, v[32:33], off offset:32
	global_load_dwordx4 v[0:3], v[32:33], off offset:16
	global_load_dwordx4 v[24:27], v[32:33], off
	s_waitcnt vmcnt(0)
	v_cvt_f32_f16_e32 v4, v24
	v_mov_b32_e32 v24, 0
	v_dot4c_i32_i8_e32 v24, v8, v25
	v_dot4c_i32_i8_e32 v24, v9, v26
	v_dot4c_i32_i8_e32 v30, v10, v25
	v_dot4c_i32_i8_e32 v24, v6, v27
	v_dot4c_i32_i8_e32 v30, v5, v26
	v_dot4c_i32_i8_e32 v24, v31, v0
	v_dot4c_i32_i8_e32 v24, v28, v1
	v_dot4c_i32_i8_e32 v30, v34, v27
	v_dot4c_i32_i8_e32 v24, v29, v2
	v_dot4c_i32_i8_e32 v30, v7, v0
	v_dot4c_i32_i8_e32 v24, v35, v3
	v_dot4c_i32_i8_e32 v30, v72, v1
	v_dot4c_i32_i8_e32 v24, v57, v11
	v_dot4c_i32_i8_e32 v30, v75, v2
	v_dot4c_i32_i8_e32 v30, v80, v3
	v_dot4c_i32_i8_e32 v30, v81, v11
	v_mul_lo_u32 v1, v24, v51
	v_ashrrev_i32_e32 v2, 31, v1
	v_lshrrev_b32_e32 v2, 29, v2
	v_mul_lo_u32 v0, v30, v41
	v_add_u32_e32 v1, v1, v2
	v_ashrrev_i32_e32 v2, 31, v0
	v_lshrrev_b32_e32 v2, 29, v2
	v_add_u32_e32 v0, v0, v2
	v_ashrrev_i32_e32 v1, 3, v1
	v_ashrrev_i32_e32 v0, 3, v0
	v_cvt_f32_i32_e32 v27, v0
	v_cvt_f32_i32_e32 v26, v1
	scratch_load_dwordx4 v[0:3], off, off offset:32
	v_pk_mul_f32 v[24:25], v[4:5], v[22:23] op_sel_hi:[0,1]
	v_add_u32_e32 v4, s26, v42
	v_mov_b32_e32 v30, 0
	s_waitcnt vmcnt(0)
	v_pk_fma_f32 v[0:1], v[24:25], v[26:27], v[0:1]
	v_mad_u64_u32 v[24:25], s[34:35], v4, 36, s[24:25]
	v_mad_u64_u32 v[32:33], s[34:35], v16, 36, v[24:25]
	global_load_dword v11, v[32:33], off offset:32
	global_load_dwordx4 v[24:27], v[32:33], off offset:16
	global_load_dwordx4 v[76:79], v[32:33], off
	v_mov_b32_e32 v32, 0
	s_waitcnt vmcnt(0)
	v_dot4c_i32_i8_e32 v30, v8, v77
	v_dot4c_i32_i8_e32 v30, v9, v78
	;; [unrolled: 1-line block ×15, first 2 shown]
	v_mul_lo_u32 v24, v30, v51
	v_ashrrev_i32_e32 v25, 31, v24
	v_dot4c_i32_i8_e32 v32, v81, v11
	v_lshrrev_b32_e32 v25, 29, v25
	v_add_u32_e32 v24, v24, v25
	v_ashrrev_i32_e32 v26, 3, v24
	v_mul_lo_u32 v11, v32, v41
	v_ashrrev_i32_e32 v24, 31, v11
	v_lshrrev_b32_e32 v24, 29, v24
	v_add_u32_e32 v11, v11, v24
	v_cvt_f32_f16_e32 v4, v76
	v_ashrrev_i32_e32 v11, 3, v11
	v_cvt_f32_i32_e32 v27, v11
	v_cvt_f32_i32_e32 v26, v26
	v_pk_mul_f32 v[24:25], v[4:5], v[22:23] op_sel_hi:[0,1]
	v_pk_fma_f32 v[2:3], v[24:25], v[26:27], v[2:3]
	scratch_store_dwordx4 off, v[0:3], off offset:32
	s_nop 1
	v_add_u32_e32 v0, s19, v42
	v_mad_u64_u32 v[0:1], s[34:35], v0, 36, s[24:25]
	v_mad_u64_u32 v[32:33], s[34:35], v16, 36, v[0:1]
	global_load_dword v11, v[32:33], off offset:32
	global_load_dwordx4 v[0:3], v[32:33], off offset:16
	global_load_dwordx4 v[24:27], v[32:33], off
	s_waitcnt vmcnt(0)
	v_cvt_f32_f16_e32 v4, v24
	v_mov_b32_e32 v24, 0
	v_dot4c_i32_i8_e32 v24, v8, v25
	v_dot4c_i32_i8_e32 v24, v9, v26
	v_mov_b32_e32 v8, 0
	v_dot4c_i32_i8_e32 v8, v10, v25
	v_dot4c_i32_i8_e32 v24, v6, v27
	;; [unrolled: 1-line block ×14, first 2 shown]
	v_mul_lo_u32 v1, v24, v51
	v_ashrrev_i32_e32 v2, 31, v1
	v_lshrrev_b32_e32 v2, 29, v2
	v_mul_lo_u32 v0, v8, v41
	v_add_u32_e32 v1, v1, v2
	v_ashrrev_i32_e32 v2, 31, v0
	v_lshrrev_b32_e32 v2, 29, v2
	v_add_u32_e32 v0, v0, v2
	v_ashrrev_i32_e32 v1, 3, v1
	v_ashrrev_i32_e32 v0, 3, v0
	v_cvt_f32_i32_e32 v7, v0
	v_cvt_f32_i32_e32 v6, v1
	scratch_load_dwordx4 v[0:3], off, off offset:48
	v_pk_mul_f32 v[4:5], v[4:5], v[22:23] op_sel_hi:[0,1]
	v_and_b32_e32 v26, 0xff, v46
	v_bcnt_u32_b32 v27, v26, 0
	v_and_b32_e32 v27, 1, v27
	v_lshlrev_b32_e32 v27, 7, v27
	v_xor_b32_e32 v26, v27, v26
	v_mul_lo_u32 v26, v26, s30
	v_and_b32_e32 v27, 0x8000000, v26
	v_lshrrev_b32_e32 v29, 8, v26
	v_lshrrev_b16_e32 v30, 1, v29
	v_and_b32_e32 v28, 1, v46
	v_bfe_i32 v30, v30, 0, 1
	v_lshrrev_b32_e32 v31, 18, v26
	v_sub_u16_e32 v28, 0, v28
	v_bfe_i32 v31, v31, 0, 1
	v_lshlrev_b16_e32 v30, 8, v30
	v_or_b32_sdwa v33, v28, v30 dst_sel:DWORD dst_unused:UNUSED_PAD src0_sel:BYTE_0 src1_sel:DWORD
	v_lshlrev_b16_e32 v28, 8, v28
	v_mov_b32_e32 v72, 0
	v_bfe_i32 v75, v46, 7, 1
	s_waitcnt vmcnt(0)
	v_pk_fma_f32 v[0:1], v[4:5], v[6:7], v[0:1]
	v_add_u32_e32 v4, s15, v42
	v_mad_u64_u32 v[4:5], s[34:35], v4, 36, s[24:25]
	v_mad_u64_u32 v[24:25], s[34:35], v16, 36, v[4:5]
	global_load_dword v57, v[24:25], off offset:32
	global_load_dwordx4 v[4:7], v[24:25], off offset:16
	global_load_dwordx4 v[8:11], v[24:25], off
	v_lshlrev_b32_sdwa v24, v44, v48 dst_sel:DWORD dst_unused:UNUSED_PAD src0_sel:DWORD src1_sel:BYTE_0
	global_load_dwordx2 v[24:25], v24, s[20:21]
	v_cmp_ne_u16_sdwa s[34:35], v27, v15 src0_sel:BYTE_3 src1_sel:DWORD
	v_add_u32_e32 v42, 64, v42
	s_waitcnt vmcnt(1)
	v_cvt_f32_f16_e32 v8, v8
	v_cndmask_b32_e64 v27, 0, -1, s[34:35]
	v_lshlrev_b16_e32 v27, 8, v27
	v_or_b32_sdwa v32, v31, v27 dst_sel:WORD_1 dst_unused:UNUSED_PAD src0_sel:BYTE_0 src1_sel:DWORD
	s_nop 0
	v_or_b32_sdwa v32, v33, v32 dst_sel:DWORD dst_unused:UNUSED_PAD src0_sel:WORD_0 src1_sel:DWORD
	s_waitcnt vmcnt(0)
	v_xor_b32_e32 v24, v24, v32
	v_and_b32_e32 v32, 0xffffff00, v24
	v_sub_i16 v30, v32, v30 clamp
	v_lshlrev_b16_e32 v32, 8, v24
	v_and_b32_e32 v30, 0xffffff00, v30
	v_sub_i16 v28, v32, v28 clamp
	v_or_b32_sdwa v28, v28, v30 dst_sel:DWORD dst_unused:UNUSED_PAD src0_sel:BYTE_1 src1_sel:DWORD
	v_and_b32_sdwa v30, v24, s31 dst_sel:DWORD dst_unused:UNUSED_PAD src0_sel:WORD_1 src1_sel:DWORD
	v_sub_i16 v27, v30, v27 clamp
	v_lshlrev_b16_sdwa v24, v43, v24 dst_sel:DWORD dst_unused:UNUSED_PAD src0_sel:DWORD src1_sel:WORD_1
	v_lshlrev_b16_e32 v30, 8, v31
	v_and_b32_e32 v27, 0xffffff00, v27
	v_sub_i16 v24, v24, v30 clamp
	v_or_b32_sdwa v24, v24, v27 dst_sel:WORD_1 dst_unused:UNUSED_PAD src0_sel:BYTE_1 src1_sel:DWORD
	v_bfe_i32 v27, v46, 4, 1
	v_or_b32_sdwa v24, v28, v24 dst_sel:DWORD dst_unused:UNUSED_PAD src0_sel:WORD_0 src1_sel:DWORD
	v_dot4c_i32_i8_e32 v72, v24, v9
	v_and_b32_e32 v24, 0x80000000, v26
	v_lshrrev_b16_e32 v28, 5, v29
	v_cmp_ne_u16_sdwa s[34:35], v24, v15 src0_sel:BYTE_3 src1_sel:DWORD
	v_bfe_i32 v28, v28, 0, 1
	v_lshrrev_b32_e32 v26, 22, v26
	v_cndmask_b32_e64 v24, 0, -1, s[34:35]
	v_bfe_i32 v26, v26, 0, 1
	v_lshlrev_b16_e32 v24, 8, v24
	v_lshlrev_b16_e32 v28, 8, v28
	v_or_b32_sdwa v29, v26, v24 dst_sel:WORD_1 dst_unused:UNUSED_PAD src0_sel:BYTE_0 src1_sel:DWORD
	v_or_b32_sdwa v30, v27, v28 dst_sel:DWORD dst_unused:UNUSED_PAD src0_sel:BYTE_0 src1_sel:DWORD
	v_or_b32_sdwa v29, v30, v29 dst_sel:DWORD dst_unused:UNUSED_PAD src0_sel:WORD_0 src1_sel:DWORD
	v_xor_b32_e32 v25, v25, v29
	v_and_b32_e32 v29, 0xffffff00, v25
	v_sub_i16 v28, v29, v28 clamp
	v_lshlrev_b16_e32 v29, 8, v25
	v_lshlrev_b16_e32 v27, 8, v27
	v_and_b32_e32 v28, 0xffffff00, v28
	v_sub_i16 v27, v29, v27 clamp
	v_or_b32_sdwa v27, v27, v28 dst_sel:DWORD dst_unused:UNUSED_PAD src0_sel:BYTE_1 src1_sel:DWORD
	v_and_b32_sdwa v28, v25, s31 dst_sel:DWORD dst_unused:UNUSED_PAD src0_sel:WORD_1 src1_sel:DWORD
	v_sub_i16 v24, v28, v24 clamp
	v_lshlrev_b16_sdwa v25, v43, v25 dst_sel:DWORD dst_unused:UNUSED_PAD src0_sel:DWORD src1_sel:WORD_1
	v_lshlrev_b16_e32 v26, 8, v26
	v_and_b32_e32 v24, 0xffffff00, v24
	v_sub_i16 v25, v25, v26 clamp
	v_or_b32_sdwa v24, v25, v24 dst_sel:WORD_1 dst_unused:UNUSED_PAD src0_sel:BYTE_1 src1_sel:DWORD
	v_and_b32_e32 v26, 0xff, v45
	v_or_b32_sdwa v24, v27, v24 dst_sel:DWORD dst_unused:UNUSED_PAD src0_sel:WORD_0 src1_sel:DWORD
	v_dot4c_i32_i8_e32 v72, v24, v10
	v_lshlrev_b32_sdwa v24, v44, v48 dst_sel:DWORD dst_unused:UNUSED_PAD src0_sel:DWORD src1_sel:BYTE_1
	global_load_dwordx2 v[34:35], v24, s[20:21]
	v_lshlrev_b32_sdwa v24, v44, v47 dst_sel:DWORD dst_unused:UNUSED_PAD src0_sel:DWORD src1_sel:BYTE_0
	global_load_dwordx2 v[32:33], v24, s[20:21]
	v_lshlrev_b32_sdwa v24, v44, v47 dst_sel:DWORD dst_unused:UNUSED_PAD src0_sel:DWORD src1_sel:BYTE_1
	global_load_dwordx2 v[30:31], v24, s[20:21]
	v_lshlrev_b32_sdwa v24, v44, v50 dst_sel:DWORD dst_unused:UNUSED_PAD src0_sel:DWORD src1_sel:BYTE_0
	global_load_dwordx2 v[24:25], v24, s[20:21]
	v_bcnt_u32_b32 v27, v26, 0
	v_and_b32_e32 v27, 1, v27
	v_lshlrev_b32_e32 v27, 7, v27
	v_xor_b32_e32 v26, v27, v26
	v_mul_lo_u32 v26, v26, s30
	v_and_b32_e32 v27, 0x8000000, v26
	v_lshrrev_b32_e32 v29, 8, v26
	v_lshrrev_b16_e32 v47, 1, v29
	v_cmp_ne_u16_sdwa s[34:35], v27, v15 src0_sel:BYTE_3 src1_sel:DWORD
	v_and_b32_e32 v28, 1, v45
	v_bfe_i32 v47, v47, 0, 1
	v_lshrrev_b32_e32 v76, 18, v26
	v_cndmask_b32_e64 v27, 0, -1, s[34:35]
	v_sub_u16_e32 v28, 0, v28
	v_bfe_i32 v76, v76, 0, 1
	v_lshlrev_b16_e32 v27, 8, v27
	v_lshlrev_b16_e32 v47, 8, v47
	v_or_b32_sdwa v77, v76, v27 dst_sel:WORD_1 dst_unused:UNUSED_PAD src0_sel:BYTE_0 src1_sel:DWORD
	v_or_b32_sdwa v78, v28, v47 dst_sel:DWORD dst_unused:UNUSED_PAD src0_sel:BYTE_0 src1_sel:DWORD
	v_or_b32_sdwa v77, v78, v77 dst_sel:DWORD dst_unused:UNUSED_PAD src0_sel:WORD_0 src1_sel:DWORD
	v_lshlrev_b16_e32 v28, 8, v28
	v_bfe_i32 v48, v46, 14, 1
	s_waitcnt vmcnt(1)
	v_xor_b32_e32 v30, v30, v64
	s_waitcnt vmcnt(0)
	v_xor_b32_e32 v24, v24, v77
	v_and_b32_e32 v77, 0xffffff00, v24
	v_sub_i16 v47, v77, v47 clamp
	v_lshlrev_b16_e32 v77, 8, v24
	v_and_b32_e32 v47, 0xffffff00, v47
	v_sub_i16 v28, v77, v28 clamp
	v_or_b32_sdwa v28, v28, v47 dst_sel:DWORD dst_unused:UNUSED_PAD src0_sel:BYTE_1 src1_sel:DWORD
	v_and_b32_sdwa v47, v24, s31 dst_sel:DWORD dst_unused:UNUSED_PAD src0_sel:WORD_1 src1_sel:DWORD
	v_sub_i16 v27, v47, v27 clamp
	v_lshlrev_b16_sdwa v24, v43, v24 dst_sel:DWORD dst_unused:UNUSED_PAD src0_sel:DWORD src1_sel:WORD_1
	v_lshlrev_b16_e32 v47, 8, v76
	v_and_b32_e32 v27, 0xffffff00, v27
	v_sub_i16 v24, v24, v47 clamp
	v_or_b32_sdwa v24, v24, v27 dst_sel:WORD_1 dst_unused:UNUSED_PAD src0_sel:BYTE_1 src1_sel:DWORD
	v_mov_b32_e32 v47, 0
	v_or_b32_sdwa v24, v28, v24 dst_sel:DWORD dst_unused:UNUSED_PAD src0_sel:WORD_0 src1_sel:DWORD
	v_dot4c_i32_i8_e32 v47, v24, v9
	v_and_b32_e32 v9, 0x80000000, v26
	v_lshrrev_b16_e32 v27, 5, v29
	v_cmp_ne_u16_sdwa s[34:35], v9, v15 src0_sel:BYTE_3 src1_sel:DWORD
	v_bfe_i32 v27, v27, 0, 1
	v_lshrrev_b32_e32 v26, 22, v26
	v_cndmask_b32_e64 v9, 0, -1, s[34:35]
	v_bfe_i32 v24, v45, 4, 1
	v_bfe_i32 v26, v26, 0, 1
	v_lshlrev_b16_e32 v9, 8, v9
	v_lshlrev_b16_e32 v27, 8, v27
	v_or_b32_sdwa v28, v26, v9 dst_sel:WORD_1 dst_unused:UNUSED_PAD src0_sel:BYTE_0 src1_sel:DWORD
	v_or_b32_sdwa v29, v24, v27 dst_sel:DWORD dst_unused:UNUSED_PAD src0_sel:BYTE_0 src1_sel:DWORD
	v_or_b32_sdwa v28, v29, v28 dst_sel:DWORD dst_unused:UNUSED_PAD src0_sel:WORD_0 src1_sel:DWORD
	v_xor_b32_e32 v25, v25, v28
	v_and_b32_e32 v28, 0xffffff00, v25
	v_sub_i16 v27, v28, v27 clamp
	v_lshlrev_b16_e32 v28, 8, v25
	v_lshlrev_b16_e32 v24, 8, v24
	v_and_b32_e32 v27, 0xffffff00, v27
	v_sub_i16 v24, v28, v24 clamp
	v_or_b32_sdwa v24, v24, v27 dst_sel:DWORD dst_unused:UNUSED_PAD src0_sel:BYTE_1 src1_sel:DWORD
	v_and_b32_sdwa v27, v25, s31 dst_sel:DWORD dst_unused:UNUSED_PAD src0_sel:WORD_1 src1_sel:DWORD
	v_sub_i16 v9, v27, v9 clamp
	v_lshlrev_b16_sdwa v25, v43, v25 dst_sel:DWORD dst_unused:UNUSED_PAD src0_sel:DWORD src1_sel:WORD_1
	v_lshlrev_b16_e32 v26, 8, v26
	v_and_b32_e32 v9, 0xffffff00, v9
	v_sub_i16 v25, v25, v26 clamp
	v_or_b32_sdwa v9, v25, v9 dst_sel:WORD_1 dst_unused:UNUSED_PAD src0_sel:BYTE_1 src1_sel:DWORD
	s_nop 0
	v_or_b32_sdwa v9, v24, v9 dst_sel:DWORD dst_unused:UNUSED_PAD src0_sel:WORD_0 src1_sel:DWORD
	v_dot4c_i32_i8_e32 v47, v9, v10
	v_lshlrev_b32_sdwa v9, v44, v50 dst_sel:DWORD dst_unused:UNUSED_PAD src0_sel:DWORD src1_sel:BYTE_1
	v_lshlrev_b32_sdwa v24, v44, v49 dst_sel:DWORD dst_unused:UNUSED_PAD src0_sel:DWORD src1_sel:BYTE_1
	v_bfe_u32 v50, v46, 7, 8
	global_load_dwordx2 v[28:29], v9, s[20:21]
	v_bfe_i32 v10, v45, 7, 1
	global_load_dwordx2 v[24:25], v24, s[20:21]
	v_lshlrev_b32_sdwa v9, v44, v49 dst_sel:DWORD dst_unused:UNUSED_PAD src0_sel:DWORD src1_sel:BYTE_0
	v_and_or_b32 v49, v46, s29, v73
	v_bcnt_u32_b32 v73, v50, 0
	v_and_b32_e32 v73, 1, v73
	v_lshlrev_b32_e32 v73, 7, v73
	v_xor_b32_e32 v50, v73, v50
	v_mul_lo_u32 v50, v50, s30
	v_and_b32_e32 v73, 0x8000000, v50
	v_lshrrev_b32_e32 v76, 8, v50
	global_load_dwordx2 v[26:27], v9, s[20:21]
	v_lshrrev_b16_e32 v77, 1, v76
	v_cmp_ne_u16_sdwa s[20:21], v73, v15 src0_sel:BYTE_3 src1_sel:DWORD
	v_bfe_i32 v77, v77, 0, 1
	v_lshrrev_b32_e32 v78, 18, v50
	v_cndmask_b32_e64 v73, 0, -1, s[20:21]
	v_bfe_i32 v78, v78, 0, 1
	v_lshlrev_b16_e32 v73, 8, v73
	v_lshlrev_b16_e32 v77, 8, v77
	v_or_b32_sdwa v79, v78, v73 dst_sel:WORD_1 dst_unused:UNUSED_PAD src0_sel:BYTE_0 src1_sel:DWORD
	v_or_b32_sdwa v80, v75, v77 dst_sel:DWORD dst_unused:UNUSED_PAD src0_sel:BYTE_0 src1_sel:DWORD
	v_or_b32_sdwa v79, v80, v79 dst_sel:DWORD dst_unused:UNUSED_PAD src0_sel:WORD_0 src1_sel:DWORD
	v_xor_b32_e32 v34, v34, v79
	v_and_b32_e32 v79, 0xffffff00, v34
	v_sub_i16 v77, v79, v77 clamp
	v_lshlrev_b16_e32 v79, 8, v34
	v_lshlrev_b16_e32 v75, 8, v75
	v_and_b32_e32 v77, 0xffffff00, v77
	v_sub_i16 v75, v79, v75 clamp
	v_or_b32_sdwa v75, v75, v77 dst_sel:DWORD dst_unused:UNUSED_PAD src0_sel:BYTE_1 src1_sel:DWORD
	v_and_b32_sdwa v77, v34, s31 dst_sel:DWORD dst_unused:UNUSED_PAD src0_sel:WORD_1 src1_sel:DWORD
	v_sub_i16 v73, v77, v73 clamp
	v_lshlrev_b16_sdwa v34, v43, v34 dst_sel:DWORD dst_unused:UNUSED_PAD src0_sel:DWORD src1_sel:WORD_1
	v_lshlrev_b16_e32 v77, 8, v78
	v_and_b32_e32 v73, 0xffffff00, v73
	v_sub_i16 v34, v34, v77 clamp
	v_or_b32_sdwa v34, v34, v73 dst_sel:WORD_1 dst_unused:UNUSED_PAD src0_sel:BYTE_1 src1_sel:DWORD
	v_lshrrev_b16_e32 v73, 5, v76
	v_or_b32_sdwa v34, v75, v34 dst_sel:DWORD dst_unused:UNUSED_PAD src0_sel:WORD_0 src1_sel:DWORD
	v_dot4c_i32_i8_e32 v72, v34, v11
	v_and_b32_e32 v34, 0x80000000, v50
	v_cmp_ne_u16_sdwa s[20:21], v34, v15 src0_sel:BYTE_3 src1_sel:DWORD
	v_bfe_i32 v73, v73, 0, 1
	v_lshrrev_b32_e32 v50, 22, v50
	v_cndmask_b32_e64 v34, 0, -1, s[20:21]
	v_bfe_i32 v46, v46, 11, 1
	v_bfe_i32 v50, v50, 0, 1
	v_lshlrev_b16_e32 v34, 8, v34
	v_lshlrev_b16_e32 v73, 8, v73
	v_or_b32_sdwa v75, v50, v34 dst_sel:WORD_1 dst_unused:UNUSED_PAD src0_sel:BYTE_0 src1_sel:DWORD
	v_or_b32_sdwa v76, v46, v73 dst_sel:DWORD dst_unused:UNUSED_PAD src0_sel:BYTE_0 src1_sel:DWORD
	v_or_b32_sdwa v75, v76, v75 dst_sel:DWORD dst_unused:UNUSED_PAD src0_sel:WORD_0 src1_sel:DWORD
	v_xor_b32_e32 v35, v35, v75
	v_and_b32_e32 v75, 0xffffff00, v35
	v_sub_i16 v73, v75, v73 clamp
	v_lshlrev_b16_e32 v75, 8, v35
	v_lshlrev_b16_e32 v46, 8, v46
	v_and_b32_e32 v73, 0xffffff00, v73
	v_sub_i16 v46, v75, v46 clamp
	v_or_b32_sdwa v46, v46, v73 dst_sel:DWORD dst_unused:UNUSED_PAD src0_sel:BYTE_1 src1_sel:DWORD
	v_and_b32_sdwa v73, v35, s31 dst_sel:DWORD dst_unused:UNUSED_PAD src0_sel:WORD_1 src1_sel:DWORD
	v_sub_i16 v34, v73, v34 clamp
	v_lshlrev_b16_sdwa v35, v43, v35 dst_sel:DWORD dst_unused:UNUSED_PAD src0_sel:DWORD src1_sel:WORD_1
	v_lshlrev_b16_e32 v50, 8, v50
	v_and_b32_e32 v34, 0xffffff00, v34
	v_sub_i16 v35, v35, v50 clamp
	v_or_b32_sdwa v34, v35, v34 dst_sel:WORD_1 dst_unused:UNUSED_PAD src0_sel:BYTE_1 src1_sel:DWORD
	v_bfe_i32 v9, v45, 14, 1
	v_or_b32_sdwa v34, v46, v34 dst_sel:DWORD dst_unused:UNUSED_PAD src0_sel:WORD_0 src1_sel:DWORD
	v_dot4c_i32_i8_e32 v72, v34, v4
	v_bfe_u32 v34, v49, 14, 8
	v_bcnt_u32_b32 v35, v34, 0
	v_and_b32_e32 v35, 1, v35
	v_lshlrev_b32_e32 v35, 7, v35
	v_xor_b32_e32 v34, v35, v34
	v_mul_lo_u32 v34, v34, s30
	v_and_b32_e32 v35, 0x8000000, v34
	v_lshrrev_b32_e32 v46, 8, v34
	v_lshrrev_b16_e32 v49, 1, v46
	v_cmp_ne_u16_sdwa s[20:21], v35, v15 src0_sel:BYTE_3 src1_sel:DWORD
	v_bfe_i32 v49, v49, 0, 1
	v_lshrrev_b32_e32 v50, 18, v34
	v_cndmask_b32_e64 v35, 0, -1, s[20:21]
	v_bfe_i32 v50, v50, 0, 1
	v_lshlrev_b16_e32 v35, 8, v35
	v_lshlrev_b16_e32 v49, 8, v49
	v_or_b32_sdwa v73, v50, v35 dst_sel:WORD_1 dst_unused:UNUSED_PAD src0_sel:BYTE_0 src1_sel:DWORD
	v_or_b32_sdwa v75, v48, v49 dst_sel:DWORD dst_unused:UNUSED_PAD src0_sel:BYTE_0 src1_sel:DWORD
	v_or_b32_sdwa v73, v75, v73 dst_sel:DWORD dst_unused:UNUSED_PAD src0_sel:WORD_0 src1_sel:DWORD
	v_xor_b32_e32 v32, v32, v73
	v_and_b32_e32 v73, 0xffffff00, v32
	v_sub_i16 v49, v73, v49 clamp
	v_lshlrev_b16_e32 v73, 8, v32
	v_lshlrev_b16_e32 v48, 8, v48
	v_and_b32_e32 v49, 0xffffff00, v49
	v_sub_i16 v48, v73, v48 clamp
	v_or_b32_sdwa v48, v48, v49 dst_sel:DWORD dst_unused:UNUSED_PAD src0_sel:BYTE_1 src1_sel:DWORD
	v_and_b32_sdwa v49, v32, s31 dst_sel:DWORD dst_unused:UNUSED_PAD src0_sel:WORD_1 src1_sel:DWORD
	v_sub_i16 v35, v49, v35 clamp
	v_lshlrev_b16_sdwa v32, v43, v32 dst_sel:DWORD dst_unused:UNUSED_PAD src0_sel:DWORD src1_sel:WORD_1
	v_lshlrev_b16_e32 v49, 8, v50
	v_and_b32_e32 v35, 0xffffff00, v35
	v_sub_i16 v32, v32, v49 clamp
	v_or_b32_sdwa v32, v32, v35 dst_sel:WORD_1 dst_unused:UNUSED_PAD src0_sel:BYTE_1 src1_sel:DWORD
	v_lshrrev_b16_e32 v35, 5, v46
	v_or_b32_sdwa v32, v48, v32 dst_sel:DWORD dst_unused:UNUSED_PAD src0_sel:WORD_0 src1_sel:DWORD
	v_dot4c_i32_i8_e32 v72, v32, v5
	v_and_b32_e32 v32, 0x80000000, v34
	v_cmp_ne_u16_sdwa s[20:21], v32, v15 src0_sel:BYTE_3 src1_sel:DWORD
	v_bfe_i32 v35, v35, 0, 1
	v_lshrrev_b32_e32 v34, 22, v34
	v_cndmask_b32_e64 v32, 0, -1, s[20:21]
	v_bfe_i32 v34, v34, 0, 1
	v_lshlrev_b16_e32 v32, 8, v32
	v_lshlrev_b16_e32 v35, 8, v35
	v_or_b32_sdwa v46, v34, v32 dst_sel:WORD_1 dst_unused:UNUSED_PAD src0_sel:BYTE_0 src1_sel:DWORD
	v_or_b32_sdwa v48, v60, v35 dst_sel:DWORD dst_unused:UNUSED_PAD src0_sel:BYTE_0 src1_sel:DWORD
	v_or_b32_sdwa v46, v48, v46 dst_sel:DWORD dst_unused:UNUSED_PAD src0_sel:WORD_0 src1_sel:DWORD
	v_xor_b32_e32 v33, v33, v46
	v_and_b32_e32 v46, 0xffffff00, v33
	v_sub_i16 v35, v46, v35 clamp
	v_lshlrev_b16_e32 v46, 8, v33
	v_and_b32_e32 v35, 0xffffff00, v35
	v_sub_i16 v46, v46, v61 clamp
	v_or_b32_sdwa v35, v46, v35 dst_sel:DWORD dst_unused:UNUSED_PAD src0_sel:BYTE_1 src1_sel:DWORD
	v_and_b32_sdwa v46, v33, s31 dst_sel:DWORD dst_unused:UNUSED_PAD src0_sel:WORD_1 src1_sel:DWORD
	v_sub_i16 v32, v46, v32 clamp
	v_lshlrev_b16_sdwa v33, v43, v33 dst_sel:DWORD dst_unused:UNUSED_PAD src0_sel:DWORD src1_sel:WORD_1
	v_lshlrev_b16_e32 v34, 8, v34
	v_and_b32_e32 v32, 0xffffff00, v32
	v_sub_i16 v33, v33, v34 clamp
	v_or_b32_sdwa v32, v33, v32 dst_sel:WORD_1 dst_unused:UNUSED_PAD src0_sel:BYTE_1 src1_sel:DWORD
	v_lshlrev_b16_e32 v33, 8, v30
	v_or_b32_sdwa v32, v35, v32 dst_sel:DWORD dst_unused:UNUSED_PAD src0_sel:WORD_0 src1_sel:DWORD
	v_dot4c_i32_i8_e32 v72, v32, v6
	v_and_b32_e32 v32, 0xffffff00, v30
	v_sub_i16 v32, v32, v63 clamp
	v_and_b32_e32 v32, 0xffffff00, v32
	v_sub_i16 v33, v33, v65 clamp
	v_or_b32_sdwa v32, v33, v32 dst_sel:DWORD dst_unused:UNUSED_PAD src0_sel:BYTE_1 src1_sel:DWORD
	v_and_b32_sdwa v33, v30, s31 dst_sel:DWORD dst_unused:UNUSED_PAD src0_sel:WORD_1 src1_sel:DWORD
	v_sub_i16 v33, v33, v62 clamp
	v_lshlrev_b16_sdwa v30, v43, v30 dst_sel:DWORD dst_unused:UNUSED_PAD src0_sel:DWORD src1_sel:WORD_1
	v_and_b32_e32 v33, 0xffffff00, v33
	v_sub_i16 v30, v30, v66 clamp
	v_or_b32_sdwa v30, v30, v33 dst_sel:WORD_1 dst_unused:UNUSED_PAD src0_sel:BYTE_1 src1_sel:DWORD
	s_nop 0
	v_or_b32_sdwa v30, v32, v30 dst_sel:DWORD dst_unused:UNUSED_PAD src0_sel:WORD_0 src1_sel:DWORD
	v_dot4c_i32_i8_e32 v72, v30, v7
	v_xor_b32_e32 v30, v31, v69
	v_and_b32_e32 v31, 0xffffff00, v30
	v_sub_i16 v31, v31, v68 clamp
	v_lshlrev_b16_e32 v32, 8, v30
	v_and_b32_e32 v31, 0xffffff00, v31
	v_sub_i16 v32, v32, v70 clamp
	v_or_b32_sdwa v31, v32, v31 dst_sel:DWORD dst_unused:UNUSED_PAD src0_sel:BYTE_1 src1_sel:DWORD
	v_and_b32_sdwa v32, v30, s31 dst_sel:DWORD dst_unused:UNUSED_PAD src0_sel:WORD_1 src1_sel:DWORD
	v_sub_i16 v32, v32, v67 clamp
	v_lshlrev_b16_sdwa v30, v43, v30 dst_sel:DWORD dst_unused:UNUSED_PAD src0_sel:DWORD src1_sel:WORD_1
	v_and_b32_e32 v32, 0xffffff00, v32
	v_sub_i16 v30, v30, v71 clamp
	v_or_b32_sdwa v30, v30, v32 dst_sel:WORD_1 dst_unused:UNUSED_PAD src0_sel:BYTE_1 src1_sel:DWORD
	s_nop 0
	v_or_b32_sdwa v30, v31, v30 dst_sel:DWORD dst_unused:UNUSED_PAD src0_sel:WORD_0 src1_sel:DWORD
	v_bfe_u32 v31, v45, 7, 8
	v_bcnt_u32_b32 v32, v31, 0
	v_and_b32_e32 v32, 1, v32
	v_lshlrev_b32_e32 v32, 7, v32
	v_xor_b32_e32 v31, v32, v31
	v_mul_lo_u32 v31, v31, s30
	v_and_b32_e32 v32, 0x8000000, v31
	v_lshrrev_b32_e32 v33, 8, v31
	v_lshrrev_b16_e32 v34, 1, v33
	v_cmp_ne_u16_sdwa s[20:21], v32, v15 src0_sel:BYTE_3 src1_sel:DWORD
	v_bfe_i32 v34, v34, 0, 1
	v_lshrrev_b32_e32 v35, 18, v31
	v_cndmask_b32_e64 v32, 0, -1, s[20:21]
	v_bfe_i32 v35, v35, 0, 1
	v_lshlrev_b16_e32 v32, 8, v32
	v_lshlrev_b16_e32 v34, 8, v34
	v_or_b32_sdwa v46, v35, v32 dst_sel:WORD_1 dst_unused:UNUSED_PAD src0_sel:BYTE_0 src1_sel:DWORD
	v_or_b32_sdwa v48, v10, v34 dst_sel:DWORD dst_unused:UNUSED_PAD src0_sel:BYTE_0 src1_sel:DWORD
	v_or_b32_sdwa v46, v48, v46 dst_sel:DWORD dst_unused:UNUSED_PAD src0_sel:WORD_0 src1_sel:DWORD
	s_waitcnt vmcnt(2)
	v_xor_b32_e32 v28, v28, v46
	v_and_b32_e32 v46, 0xffffff00, v28
	v_sub_i16 v34, v46, v34 clamp
	v_lshlrev_b16_e32 v46, 8, v28
	v_lshlrev_b16_e32 v10, 8, v10
	v_and_b32_e32 v34, 0xffffff00, v34
	v_sub_i16 v10, v46, v10 clamp
	v_or_b32_sdwa v10, v10, v34 dst_sel:DWORD dst_unused:UNUSED_PAD src0_sel:BYTE_1 src1_sel:DWORD
	v_and_b32_sdwa v34, v28, s31 dst_sel:DWORD dst_unused:UNUSED_PAD src0_sel:WORD_1 src1_sel:DWORD
	v_sub_i16 v32, v34, v32 clamp
	v_lshlrev_b16_sdwa v28, v43, v28 dst_sel:DWORD dst_unused:UNUSED_PAD src0_sel:DWORD src1_sel:WORD_1
	v_lshlrev_b16_e32 v34, 8, v35
	v_and_b32_e32 v32, 0xffffff00, v32
	v_sub_i16 v28, v28, v34 clamp
	v_or_b32_sdwa v28, v28, v32 dst_sel:WORD_1 dst_unused:UNUSED_PAD src0_sel:BYTE_1 src1_sel:DWORD
	v_dot4c_i32_i8_e32 v72, v30, v57
	v_or_b32_sdwa v10, v10, v28 dst_sel:DWORD dst_unused:UNUSED_PAD src0_sel:WORD_0 src1_sel:DWORD
	v_dot4c_i32_i8_e32 v47, v10, v11
	v_and_b32_e32 v10, 0x80000000, v31
	v_lshrrev_b16_e32 v28, 5, v33
	v_cmp_ne_u16_sdwa s[20:21], v10, v15 src0_sel:BYTE_3 src1_sel:DWORD
	v_bfe_i32 v28, v28, 0, 1
	v_lshrrev_b32_e32 v31, 22, v31
	v_cndmask_b32_e64 v10, 0, -1, s[20:21]
	v_bfe_i32 v11, v45, 11, 1
	v_bfe_i32 v31, v31, 0, 1
	v_lshlrev_b16_e32 v10, 8, v10
	v_lshlrev_b16_e32 v28, 8, v28
	v_or_b32_sdwa v32, v31, v10 dst_sel:WORD_1 dst_unused:UNUSED_PAD src0_sel:BYTE_0 src1_sel:DWORD
	v_or_b32_sdwa v33, v11, v28 dst_sel:DWORD dst_unused:UNUSED_PAD src0_sel:BYTE_0 src1_sel:DWORD
	v_or_b32_sdwa v32, v33, v32 dst_sel:DWORD dst_unused:UNUSED_PAD src0_sel:WORD_0 src1_sel:DWORD
	v_xor_b32_e32 v29, v29, v32
	v_and_b32_e32 v32, 0xffffff00, v29
	v_sub_i16 v28, v32, v28 clamp
	v_lshlrev_b16_e32 v32, 8, v29
	v_lshlrev_b16_e32 v11, 8, v11
	v_and_b32_e32 v28, 0xffffff00, v28
	v_sub_i16 v11, v32, v11 clamp
	v_or_b32_sdwa v11, v11, v28 dst_sel:DWORD dst_unused:UNUSED_PAD src0_sel:BYTE_1 src1_sel:DWORD
	v_and_b32_sdwa v28, v29, s31 dst_sel:DWORD dst_unused:UNUSED_PAD src0_sel:WORD_1 src1_sel:DWORD
	v_sub_i16 v10, v28, v10 clamp
	v_lshlrev_b16_sdwa v28, v43, v29 dst_sel:DWORD dst_unused:UNUSED_PAD src0_sel:DWORD src1_sel:WORD_1
	v_lshlrev_b16_e32 v29, 8, v31
	v_and_b32_e32 v10, 0xffffff00, v10
	v_sub_i16 v28, v28, v29 clamp
	v_or_b32_sdwa v10, v28, v10 dst_sel:WORD_1 dst_unused:UNUSED_PAD src0_sel:BYTE_1 src1_sel:DWORD
	v_and_or_b32 v30, v45, s29, v74
	v_or_b32_sdwa v10, v11, v10 dst_sel:DWORD dst_unused:UNUSED_PAD src0_sel:WORD_0 src1_sel:DWORD
	v_dot4c_i32_i8_e32 v47, v10, v4
	v_bfe_u32 v4, v30, 14, 8
	v_bcnt_u32_b32 v10, v4, 0
	v_and_b32_e32 v10, 1, v10
	v_lshlrev_b32_e32 v10, 7, v10
	v_xor_b32_e32 v4, v10, v4
	v_mul_lo_u32 v4, v4, s30
	v_and_b32_e32 v10, 0x8000000, v4
	v_lshrrev_b32_e32 v11, 8, v4
	v_lshrrev_b16_e32 v28, 1, v11
	v_cmp_ne_u16_sdwa s[20:21], v10, v15 src0_sel:BYTE_3 src1_sel:DWORD
	v_bfe_i32 v28, v28, 0, 1
	v_lshrrev_b32_e32 v29, 18, v4
	v_cndmask_b32_e64 v10, 0, -1, s[20:21]
	v_bfe_i32 v29, v29, 0, 1
	v_lshlrev_b16_e32 v10, 8, v10
	v_lshlrev_b16_e32 v28, 8, v28
	v_or_b32_sdwa v30, v29, v10 dst_sel:WORD_1 dst_unused:UNUSED_PAD src0_sel:BYTE_0 src1_sel:DWORD
	v_or_b32_sdwa v31, v9, v28 dst_sel:DWORD dst_unused:UNUSED_PAD src0_sel:BYTE_0 src1_sel:DWORD
	v_or_b32_sdwa v30, v31, v30 dst_sel:DWORD dst_unused:UNUSED_PAD src0_sel:WORD_0 src1_sel:DWORD
	s_waitcnt vmcnt(0)
	v_xor_b32_e32 v26, v26, v30
	v_and_b32_e32 v30, 0xffffff00, v26
	v_sub_i16 v28, v30, v28 clamp
	v_lshlrev_b16_e32 v30, 8, v26
	v_lshlrev_b16_e32 v9, 8, v9
	v_and_b32_e32 v28, 0xffffff00, v28
	v_sub_i16 v9, v30, v9 clamp
	v_or_b32_sdwa v9, v9, v28 dst_sel:DWORD dst_unused:UNUSED_PAD src0_sel:BYTE_1 src1_sel:DWORD
	v_and_b32_sdwa v28, v26, s31 dst_sel:DWORD dst_unused:UNUSED_PAD src0_sel:WORD_1 src1_sel:DWORD
	v_sub_i16 v10, v28, v10 clamp
	v_lshlrev_b16_sdwa v26, v43, v26 dst_sel:DWORD dst_unused:UNUSED_PAD src0_sel:DWORD src1_sel:WORD_1
	v_lshlrev_b16_e32 v28, 8, v29
	v_and_b32_e32 v10, 0xffffff00, v10
	v_sub_i16 v26, v26, v28 clamp
	v_or_b32_sdwa v10, v26, v10 dst_sel:WORD_1 dst_unused:UNUSED_PAD src0_sel:BYTE_1 src1_sel:DWORD
	s_nop 0
	v_or_b32_sdwa v9, v9, v10 dst_sel:DWORD dst_unused:UNUSED_PAD src0_sel:WORD_0 src1_sel:DWORD
	v_dot4c_i32_i8_e32 v47, v9, v5
	v_and_b32_e32 v5, 0x80000000, v4
	v_lshrrev_b16_e32 v9, 5, v11
	v_cmp_ne_u16_sdwa s[20:21], v5, v15 src0_sel:BYTE_3 src1_sel:DWORD
	v_bfe_i32 v9, v9, 0, 1
	v_lshrrev_b32_e32 v4, 22, v4
	v_cndmask_b32_e64 v5, 0, -1, s[20:21]
	v_bfe_i32 v4, v4, 0, 1
	v_lshlrev_b16_e32 v5, 8, v5
	v_lshlrev_b16_e32 v9, 8, v9
	v_or_b32_sdwa v10, v4, v5 dst_sel:WORD_1 dst_unused:UNUSED_PAD src0_sel:BYTE_0 src1_sel:DWORD
	v_or_b32_sdwa v11, v59, v9 dst_sel:DWORD dst_unused:UNUSED_PAD src0_sel:BYTE_0 src1_sel:DWORD
	v_or_b32_sdwa v10, v11, v10 dst_sel:DWORD dst_unused:UNUSED_PAD src0_sel:WORD_0 src1_sel:DWORD
	v_xor_b32_e32 v10, v27, v10
	v_and_b32_e32 v11, 0xffffff00, v10
	v_sub_i16 v9, v11, v9 clamp
	v_lshlrev_b16_e32 v11, 8, v10
	v_and_b32_e32 v9, 0xffffff00, v9
	v_sub_i16 v11, v11, v58 clamp
	v_or_b32_sdwa v9, v11, v9 dst_sel:DWORD dst_unused:UNUSED_PAD src0_sel:BYTE_1 src1_sel:DWORD
	v_and_b32_sdwa v11, v10, s31 dst_sel:DWORD dst_unused:UNUSED_PAD src0_sel:WORD_1 src1_sel:DWORD
	v_sub_i16 v5, v11, v5 clamp
	v_lshlrev_b16_sdwa v10, v43, v10 dst_sel:DWORD dst_unused:UNUSED_PAD src0_sel:DWORD src1_sel:WORD_1
	v_lshlrev_b16_e32 v4, 8, v4
	v_and_b32_e32 v5, 0xffffff00, v5
	v_sub_i16 v4, v10, v4 clamp
	v_or_b32_sdwa v4, v4, v5 dst_sel:WORD_1 dst_unused:UNUSED_PAD src0_sel:BYTE_1 src1_sel:DWORD
	s_nop 0
	v_or_b32_sdwa v4, v9, v4 dst_sel:DWORD dst_unused:UNUSED_PAD src0_sel:WORD_0 src1_sel:DWORD
	v_dot4c_i32_i8_e32 v47, v4, v6
	v_xor_b32_e32 v4, v24, v56
	v_and_b32_e32 v5, 0xffffff00, v4
	v_sub_i16 v5, v5, v54 clamp
	v_lshlrev_b16_e32 v6, 8, v4
	v_and_b32_e32 v5, 0xffffff00, v5
	v_sub_i16 v6, v6, v55 clamp
	v_or_b32_sdwa v5, v6, v5 dst_sel:DWORD dst_unused:UNUSED_PAD src0_sel:BYTE_1 src1_sel:DWORD
	v_and_b32_sdwa v6, v4, s31 dst_sel:DWORD dst_unused:UNUSED_PAD src0_sel:WORD_1 src1_sel:DWORD
	v_sub_i16 v6, v6, v52 clamp
	v_lshlrev_b16_sdwa v4, v43, v4 dst_sel:DWORD dst_unused:UNUSED_PAD src0_sel:DWORD src1_sel:WORD_1
	v_and_b32_e32 v6, 0xffffff00, v6
	v_sub_i16 v4, v4, v53 clamp
	v_or_b32_sdwa v4, v4, v6 dst_sel:WORD_1 dst_unused:UNUSED_PAD src0_sel:BYTE_1 src1_sel:DWORD
	s_nop 0
	v_or_b32_sdwa v4, v5, v4 dst_sel:DWORD dst_unused:UNUSED_PAD src0_sel:WORD_0 src1_sel:DWORD
	v_dot4c_i32_i8_e32 v47, v4, v7
	v_xor_b32_e32 v4, v25, v38
	v_and_b32_e32 v5, 0xffffff00, v4
	v_sub_i16 v5, v5, v37 clamp
	v_lshlrev_b16_e32 v6, 8, v4
	v_and_b32_e32 v5, 0xffffff00, v5
	v_sub_i16 v6, v6, v39 clamp
	v_or_b32_sdwa v5, v6, v5 dst_sel:DWORD dst_unused:UNUSED_PAD src0_sel:BYTE_1 src1_sel:DWORD
	v_and_b32_sdwa v6, v4, s31 dst_sel:DWORD dst_unused:UNUSED_PAD src0_sel:WORD_1 src1_sel:DWORD
	v_sub_i16 v6, v6, v36 clamp
	v_lshlrev_b16_sdwa v4, v43, v4 dst_sel:DWORD dst_unused:UNUSED_PAD src0_sel:DWORD src1_sel:WORD_1
	v_and_b32_e32 v6, 0xffffff00, v6
	v_sub_i16 v4, v4, v40 clamp
	v_or_b32_sdwa v4, v4, v6 dst_sel:WORD_1 dst_unused:UNUSED_PAD src0_sel:BYTE_1 src1_sel:DWORD
	s_nop 0
	v_or_b32_sdwa v4, v5, v4 dst_sel:DWORD dst_unused:UNUSED_PAD src0_sel:WORD_0 src1_sel:DWORD
	v_dot4c_i32_i8_e32 v47, v4, v57
	v_mul_lo_u32 v4, v72, v51
	v_ashrrev_i32_e32 v6, 31, v4
	v_lshrrev_b32_e32 v6, 29, v6
	v_mul_lo_u32 v5, v47, v41
	v_add_u32_e32 v4, v4, v6
	v_ashrrev_i32_e32 v6, 31, v5
	v_lshrrev_b32_e32 v6, 29, v6
	v_add_u32_e32 v5, v5, v6
	v_ashrrev_i32_e32 v4, 3, v4
	v_ashrrev_i32_e32 v5, 3, v5
	v_cvt_f32_i32_e32 v5, v5
	v_cvt_f32_i32_e32 v4, v4
	v_pk_mul_f32 v[6:7], v[8:9], v[22:23] op_sel_hi:[0,1]
	v_pk_fma_f32 v[2:3], v[6:7], v[4:5], v[2:3]
	scratch_store_dwordx4 off, v[0:3], off offset:48
	s_andn2_b64 exec, exec, s[12:13]
	s_cbranch_execnz .LBB167_2
.LBB167_3:
	s_or_b64 exec, exec, s[6:7]
	s_mov_b32 s5, 0
	v_cmp_eq_u32_e32 vcc, 0, v13
	s_waitcnt lgkmcnt(0)
	; wave barrier
	s_and_saveexec_b64 s[6:7], vcc
	s_cbranch_execz .LBB167_20
; %bb.4:
	scratch_load_dwordx2 v[2:3], off, off
	v_mbcnt_lo_u32_b32 v0, -1, 0
	v_mbcnt_hi_u32_b32 v13, -1, v0
	s_load_dwordx2 s[6:7], s[0:1], 0x38
	s_mul_i32 s0, s3, s14
	v_or_b32_e32 v1, s2, v12
	v_and_b32_e32 v0, 64, v13
	s_mul_i32 s4, s4, s18
	s_add_i32 s2, s0, s2
	v_cmp_gt_u32_e64 s[0:1], s10, v1
	v_xor_b32_e32 v1, 32, v13
	v_add_u32_e32 v14, 64, v0
	s_add_i32 s4, s2, s4
	v_cmp_lt_i32_e64 s[2:3], v1, v14
	v_cmp_gt_u32_e32 vcc, 2, v12
	s_nop 0
	v_cndmask_b32_e64 v0, v13, v1, s[2:3]
	v_lshlrev_b32_e32 v0, 2, v0
	v_xor_b32_e32 v1, 16, v13
	v_cmp_lt_i32_e64 s[2:3], v1, v14
	s_waitcnt vmcnt(0)
	ds_bpermute_b32 v4, v0, v2
	ds_bpermute_b32 v5, v0, v3
	v_cndmask_b32_e64 v1, v13, v1, s[2:3]
	v_lshlrev_b32_e32 v1, 2, v1
	s_waitcnt lgkmcnt(0)
	v_pk_add_f32 v[4:5], v[2:3], v[4:5]
	ds_bpermute_b32 v6, v1, v4
	ds_bpermute_b32 v7, v1, v5
	v_xor_b32_e32 v2, 8, v13
	v_cmp_lt_i32_e64 s[2:3], v2, v14
	v_xor_b32_e32 v3, 4, v13
	s_waitcnt lgkmcnt(0)
	v_pk_add_f32 v[4:5], v[4:5], v[6:7]
	v_cndmask_b32_e64 v2, v13, v2, s[2:3]
	v_lshlrev_b32_e32 v2, 2, v2
	ds_bpermute_b32 v6, v2, v4
	ds_bpermute_b32 v7, v2, v5
	v_cmp_lt_i32_e64 s[2:3], v3, v14
	s_waitcnt lgkmcnt(0)
	v_pk_add_f32 v[6:7], v[4:5], v[6:7]
	v_cndmask_b32_e64 v3, v13, v3, s[2:3]
	v_lshlrev_b32_e32 v3, 2, v3
	ds_bpermute_b32 v8, v3, v6
	ds_bpermute_b32 v9, v3, v7
	v_xor_b32_e32 v4, 2, v13
	v_cmp_lt_i32_e64 s[2:3], v4, v14
	v_xor_b32_e32 v5, 1, v13
	s_waitcnt lgkmcnt(0)
	v_pk_add_f32 v[8:9], v[6:7], v[8:9]
	v_cndmask_b32_e64 v4, v13, v4, s[2:3]
	v_lshlrev_b32_e32 v4, 2, v4
	ds_bpermute_b32 v10, v4, v8
	ds_bpermute_b32 v11, v4, v9
	v_cmp_lt_i32_e64 s[2:3], v5, v14
	s_waitcnt lgkmcnt(0)
	v_pk_add_f32 v[8:9], v[8:9], v[10:11]
	v_cndmask_b32_e64 v5, v13, v5, s[2:3]
	v_lshlrev_b32_e32 v6, 2, v5
	ds_bpermute_b32 v10, v6, v8
	ds_bpermute_b32 v11, v6, v9
	s_lshl_b64 s[2:3], s[4:5], 2
	s_add_u32 s2, s6, s2
	s_addc_u32 s3, s7, s3
	s_and_b64 s[0:1], vcc, s[0:1]
	s_waitcnt lgkmcnt(0)
	v_pk_add_f32 v[8:9], v[8:9], v[10:11]
	v_lshlrev_b32_e32 v5, 2, v12
	scratch_store_dwordx2 off, v[8:9], off
	s_and_saveexec_b64 s[4:5], s[0:1]
	s_cbranch_execz .LBB167_6
; %bb.5:
	scratch_load_dword v7, v5, off
	s_waitcnt vmcnt(0)
	global_store_dword v5, v7, s[2:3]
.LBB167_6:
	s_or_b64 exec, exec, s[4:5]
	scratch_load_dwordx2 v[8:9], off, off offset:8
	s_waitcnt vmcnt(0)
	ds_bpermute_b32 v10, v0, v8
	ds_bpermute_b32 v11, v0, v9
	s_waitcnt lgkmcnt(0)
	v_pk_add_f32 v[8:9], v[8:9], v[10:11]
	ds_bpermute_b32 v10, v1, v8
	ds_bpermute_b32 v11, v1, v9
	s_waitcnt lgkmcnt(0)
	v_pk_add_f32 v[8:9], v[8:9], v[10:11]
	;; [unrolled: 4-line block ×6, first 2 shown]
	scratch_store_dwordx2 off, v[8:9], off offset:8
	s_and_saveexec_b64 s[4:5], s[0:1]
	s_cbranch_execz .LBB167_8
; %bb.7:
	scratch_load_dword v7, v5, off offset:8
	v_add_u32_e32 v8, s10, v12
	v_mov_b32_e32 v9, 0
	v_lshl_add_u64 v[8:9], v[8:9], 2, s[2:3]
	s_waitcnt vmcnt(0)
	global_store_dword v[8:9], v7, off
.LBB167_8:
	s_or_b64 exec, exec, s[4:5]
	scratch_load_dwordx2 v[8:9], off, off offset:16
	s_waitcnt vmcnt(0)
	ds_bpermute_b32 v10, v0, v8
	ds_bpermute_b32 v11, v0, v9
	s_waitcnt lgkmcnt(0)
	v_pk_add_f32 v[8:9], v[8:9], v[10:11]
	ds_bpermute_b32 v10, v1, v8
	ds_bpermute_b32 v11, v1, v9
	s_waitcnt lgkmcnt(0)
	v_pk_add_f32 v[8:9], v[8:9], v[10:11]
	;; [unrolled: 4-line block ×6, first 2 shown]
	scratch_store_dwordx2 off, v[8:9], off offset:16
	s_and_saveexec_b64 s[4:5], s[0:1]
	s_cbranch_execz .LBB167_10
; %bb.9:
	scratch_load_dword v7, v5, off offset:16
	v_lshl_or_b32 v8, s10, 1, v12
	v_mov_b32_e32 v9, 0
	v_lshl_add_u64 v[8:9], v[8:9], 2, s[2:3]
	s_waitcnt vmcnt(0)
	global_store_dword v[8:9], v7, off
.LBB167_10:
	s_or_b64 exec, exec, s[4:5]
	scratch_load_dwordx2 v[8:9], off, off offset:24
	s_waitcnt vmcnt(0)
	ds_bpermute_b32 v10, v0, v8
	ds_bpermute_b32 v11, v0, v9
	s_waitcnt lgkmcnt(0)
	v_pk_add_f32 v[8:9], v[8:9], v[10:11]
	ds_bpermute_b32 v10, v1, v8
	ds_bpermute_b32 v11, v1, v9
	s_waitcnt lgkmcnt(0)
	v_pk_add_f32 v[8:9], v[8:9], v[10:11]
	;; [unrolled: 4-line block ×6, first 2 shown]
	scratch_store_dwordx2 off, v[8:9], off offset:24
	s_and_saveexec_b64 s[4:5], s[0:1]
	s_cbranch_execz .LBB167_12
; %bb.11:
	scratch_load_dword v7, v5, off offset:24
	v_mad_u64_u32 v[8:9], s[6:7], s10, 3, v[12:13]
	v_mov_b32_e32 v9, 0
	v_lshl_add_u64 v[8:9], v[8:9], 2, s[2:3]
	s_waitcnt vmcnt(0)
	global_store_dword v[8:9], v7, off
.LBB167_12:
	s_or_b64 exec, exec, s[4:5]
	scratch_load_dwordx2 v[8:9], off, off offset:32
	s_waitcnt vmcnt(0)
	ds_bpermute_b32 v10, v0, v8
	ds_bpermute_b32 v11, v0, v9
	s_waitcnt lgkmcnt(0)
	v_pk_add_f32 v[8:9], v[8:9], v[10:11]
	ds_bpermute_b32 v10, v1, v8
	ds_bpermute_b32 v11, v1, v9
	s_waitcnt lgkmcnt(0)
	v_pk_add_f32 v[8:9], v[8:9], v[10:11]
	;; [unrolled: 4-line block ×6, first 2 shown]
	scratch_store_dwordx2 off, v[8:9], off offset:32
	s_and_saveexec_b64 s[4:5], s[0:1]
	s_cbranch_execz .LBB167_14
; %bb.13:
	scratch_load_dword v7, v5, off offset:32
	v_lshl_or_b32 v8, s10, 2, v12
	v_mov_b32_e32 v9, 0
	v_lshl_add_u64 v[8:9], v[8:9], 2, s[2:3]
	s_waitcnt vmcnt(0)
	global_store_dword v[8:9], v7, off
.LBB167_14:
	s_or_b64 exec, exec, s[4:5]
	scratch_load_dwordx2 v[8:9], off, off offset:40
	s_waitcnt vmcnt(0)
	ds_bpermute_b32 v10, v0, v8
	ds_bpermute_b32 v11, v0, v9
	s_waitcnt lgkmcnt(0)
	v_pk_add_f32 v[8:9], v[8:9], v[10:11]
	ds_bpermute_b32 v10, v1, v8
	ds_bpermute_b32 v11, v1, v9
	s_waitcnt lgkmcnt(0)
	v_pk_add_f32 v[8:9], v[8:9], v[10:11]
	;; [unrolled: 4-line block ×6, first 2 shown]
	scratch_store_dwordx2 off, v[8:9], off offset:40
	s_and_saveexec_b64 s[4:5], s[0:1]
	s_cbranch_execz .LBB167_16
; %bb.15:
	scratch_load_dword v7, v5, off offset:40
	v_mad_u64_u32 v[8:9], s[6:7], s10, 5, v[12:13]
	v_mov_b32_e32 v9, 0
	v_lshl_add_u64 v[8:9], v[8:9], 2, s[2:3]
	s_waitcnt vmcnt(0)
	global_store_dword v[8:9], v7, off
.LBB167_16:
	s_or_b64 exec, exec, s[4:5]
	scratch_load_dwordx2 v[8:9], off, off offset:48
	s_waitcnt vmcnt(0)
	ds_bpermute_b32 v10, v0, v8
	ds_bpermute_b32 v11, v0, v9
	s_waitcnt lgkmcnt(0)
	v_pk_add_f32 v[8:9], v[8:9], v[10:11]
	ds_bpermute_b32 v10, v1, v8
	ds_bpermute_b32 v11, v1, v9
	s_waitcnt lgkmcnt(0)
	v_pk_add_f32 v[8:9], v[8:9], v[10:11]
	;; [unrolled: 4-line block ×6, first 2 shown]
	scratch_store_dwordx2 off, v[8:9], off offset:48
	s_and_saveexec_b64 s[4:5], s[0:1]
	s_cbranch_execz .LBB167_18
; %bb.17:
	scratch_load_dword v7, v5, off offset:48
	s_mul_i32 s6, s10, 6
	v_or_b32_e32 v8, s6, v12
	v_mov_b32_e32 v9, 0
	v_lshl_add_u64 v[8:9], v[8:9], 2, s[2:3]
	s_waitcnt vmcnt(0)
	global_store_dword v[8:9], v7, off
.LBB167_18:
	s_or_b64 exec, exec, s[4:5]
	scratch_load_dwordx2 v[8:9], off, off offset:56
	s_waitcnt vmcnt(0)
	ds_bpermute_b32 v10, v0, v8
	ds_bpermute_b32 v11, v0, v9
	s_waitcnt lgkmcnt(0)
	v_pk_add_f32 v[8:9], v[8:9], v[10:11]
	ds_bpermute_b32 v0, v1, v8
	ds_bpermute_b32 v1, v1, v9
	s_waitcnt lgkmcnt(0)
	v_pk_add_f32 v[0:1], v[8:9], v[0:1]
	;; [unrolled: 4-line block ×6, first 2 shown]
	scratch_store_dwordx2 off, v[0:1], off offset:56
	s_and_b64 exec, exec, s[0:1]
	s_cbranch_execz .LBB167_20
; %bb.19:
	scratch_load_dword v2, v5, off offset:56
	v_mad_u64_u32 v[0:1], s[0:1], s10, 7, v[12:13]
	v_mov_b32_e32 v1, 0
	v_lshl_add_u64 v[0:1], v[0:1], 2, s[2:3]
	s_waitcnt vmcnt(0)
	global_store_dword v[0:1], v2, off
.LBB167_20:
	s_endpgm
	.section	.rodata,"a",@progbits
	.p2align	6, 0x0
	.amdhsa_kernel _ZL13mul_mat_vec_qIL9ggml_type16ELi8ELb0ELb0EEvPKvS2_PKi31ggml_cuda_mm_fusion_args_devicePfj15HIP_vector_typeIjLj3EEjjjS8_jjjS8_jjjj
		.amdhsa_group_segment_fixed_size 0
		.amdhsa_private_segment_fixed_size 80
		.amdhsa_kernarg_size 144
		.amdhsa_user_sgpr_count 2
		.amdhsa_user_sgpr_dispatch_ptr 0
		.amdhsa_user_sgpr_queue_ptr 0
		.amdhsa_user_sgpr_kernarg_segment_ptr 1
		.amdhsa_user_sgpr_dispatch_id 0
		.amdhsa_user_sgpr_kernarg_preload_length 0
		.amdhsa_user_sgpr_kernarg_preload_offset 0
		.amdhsa_user_sgpr_private_segment_size 0
		.amdhsa_uses_dynamic_stack 0
		.amdhsa_enable_private_segment 1
		.amdhsa_system_sgpr_workgroup_id_x 1
		.amdhsa_system_sgpr_workgroup_id_y 1
		.amdhsa_system_sgpr_workgroup_id_z 1
		.amdhsa_system_sgpr_workgroup_info 0
		.amdhsa_system_vgpr_workitem_id 1
		.amdhsa_next_free_vgpr 82
		.amdhsa_next_free_sgpr 36
		.amdhsa_accum_offset 84
		.amdhsa_reserve_vcc 1
		.amdhsa_float_round_mode_32 0
		.amdhsa_float_round_mode_16_64 0
		.amdhsa_float_denorm_mode_32 3
		.amdhsa_float_denorm_mode_16_64 3
		.amdhsa_dx10_clamp 1
		.amdhsa_ieee_mode 1
		.amdhsa_fp16_overflow 0
		.amdhsa_tg_split 0
		.amdhsa_exception_fp_ieee_invalid_op 0
		.amdhsa_exception_fp_denorm_src 0
		.amdhsa_exception_fp_ieee_div_zero 0
		.amdhsa_exception_fp_ieee_overflow 0
		.amdhsa_exception_fp_ieee_underflow 0
		.amdhsa_exception_fp_ieee_inexact 0
		.amdhsa_exception_int_div_zero 0
	.end_amdhsa_kernel
	.section	.text._ZL13mul_mat_vec_qIL9ggml_type16ELi8ELb0ELb0EEvPKvS2_PKi31ggml_cuda_mm_fusion_args_devicePfj15HIP_vector_typeIjLj3EEjjjS8_jjjS8_jjjj,"axG",@progbits,_ZL13mul_mat_vec_qIL9ggml_type16ELi8ELb0ELb0EEvPKvS2_PKi31ggml_cuda_mm_fusion_args_devicePfj15HIP_vector_typeIjLj3EEjjjS8_jjjS8_jjjj,comdat
.Lfunc_end167:
	.size	_ZL13mul_mat_vec_qIL9ggml_type16ELi8ELb0ELb0EEvPKvS2_PKi31ggml_cuda_mm_fusion_args_devicePfj15HIP_vector_typeIjLj3EEjjjS8_jjjS8_jjjj, .Lfunc_end167-_ZL13mul_mat_vec_qIL9ggml_type16ELi8ELb0ELb0EEvPKvS2_PKi31ggml_cuda_mm_fusion_args_devicePfj15HIP_vector_typeIjLj3EEjjjS8_jjjS8_jjjj
                                        ; -- End function
	.section	.AMDGPU.csdata,"",@progbits
; Kernel info:
; codeLenInByte = 18996
; NumSgprs: 42
; NumVgprs: 82
; NumAgprs: 0
; TotalNumVgprs: 82
; ScratchSize: 80
; MemoryBound: 0
; FloatMode: 240
; IeeeMode: 1
; LDSByteSize: 0 bytes/workgroup (compile time only)
; SGPRBlocks: 5
; VGPRBlocks: 10
; NumSGPRsForWavesPerEU: 42
; NumVGPRsForWavesPerEU: 82
; AccumOffset: 84
; Occupancy: 5
; WaveLimiterHint : 0
; COMPUTE_PGM_RSRC2:SCRATCH_EN: 1
; COMPUTE_PGM_RSRC2:USER_SGPR: 2
; COMPUTE_PGM_RSRC2:TRAP_HANDLER: 0
; COMPUTE_PGM_RSRC2:TGID_X_EN: 1
; COMPUTE_PGM_RSRC2:TGID_Y_EN: 1
; COMPUTE_PGM_RSRC2:TGID_Z_EN: 1
; COMPUTE_PGM_RSRC2:TIDIG_COMP_CNT: 1
; COMPUTE_PGM_RSRC3_GFX90A:ACCUM_OFFSET: 20
; COMPUTE_PGM_RSRC3_GFX90A:TG_SPLIT: 0
	.section	.text._ZL17mul_mat_vec_q_moeIL9ggml_type17ELi2EEvPKvS2_PKiPfj15HIP_vector_typeIjLj3EEjjjjjjjjj,"axG",@progbits,_ZL17mul_mat_vec_q_moeIL9ggml_type17ELi2EEvPKvS2_PKiPfj15HIP_vector_typeIjLj3EEjjjjjjjjj,comdat
	.globl	_ZL17mul_mat_vec_q_moeIL9ggml_type17ELi2EEvPKvS2_PKiPfj15HIP_vector_typeIjLj3EEjjjjjjjjj ; -- Begin function _ZL17mul_mat_vec_q_moeIL9ggml_type17ELi2EEvPKvS2_PKiPfj15HIP_vector_typeIjLj3EEjjjjjjjjj
	.p2align	8
	.type	_ZL17mul_mat_vec_q_moeIL9ggml_type17ELi2EEvPKvS2_PKiPfj15HIP_vector_typeIjLj3EEjjjjjjjjj,@function
_ZL17mul_mat_vec_q_moeIL9ggml_type17ELi2EEvPKvS2_PKiPfj15HIP_vector_typeIjLj3EEjjjjjjjjj: ; @_ZL17mul_mat_vec_q_moeIL9ggml_type17ELi2EEvPKvS2_PKiPfj15HIP_vector_typeIjLj3EEjjjjjjjjj
; %bb.0:
	s_load_dwordx8 s[4:11], s[0:1], 0x30
	v_bfe_u32 v18, v0, 10, 10
	s_waitcnt lgkmcnt(0)
	v_cmp_gt_u32_e32 vcc, s11, v18
	s_and_saveexec_b64 s[12:13], vcc
	s_cbranch_execz .LBB168_7
; %bb.1:
	s_load_dword s11, s[0:1], 0x20
	s_load_dword s20, s[0:1], 0x50
	s_load_dwordx8 s[12:19], s[0:1], 0x0
	v_and_b32_e32 v19, 0x3ff, v0
	v_lshrrev_b32_e32 v20, 3, v19
	s_waitcnt lgkmcnt(0)
	s_lshr_b32 s11, s11, 8
	s_lshl_b32 s2, s2, 1
	v_cmp_gt_u32_e32 vcc, s11, v20
	v_mov_b32_e32 v11, 0
	v_mov_b32_e32 v10, 0
	s_and_saveexec_b64 s[24:25], vcc
	s_cbranch_execz .LBB168_5
; %bb.2:
	v_mul_lo_u32 v2, v18, s20
	v_mov_b32_e32 v0, s16
	v_mov_b32_e32 v1, s17
	v_add_u32_e32 v8, s3, v2
	v_mov_b32_e32 v9, 0
	v_lshl_add_u64 v[0:1], v[8:9], 2, v[0:1]
	global_load_dword v3, v[0:1], off
	s_load_dwordx4 s[20:23], s[0:1], 0x24
	v_mul_lo_u32 v0, v18, s6
	v_lshlrev_b32_e32 v1, 1, v19
	s_add_i32 s26, s2, 1
	s_waitcnt lgkmcnt(0)
	s_mul_i32 s23, s2, s5
	s_mul_hi_u32 s20, s20, s3
	s_add_i32 s20, s3, s20
	s_lshr_b32 s20, s20, s21
	s_mul_i32 s20, s20, s22
	v_lshrrev_b32_e32 v4, 3, v19
	s_movk_i32 s28, 0x120
	v_and_b32_e32 v2, 14, v1
	s_mul_i32 s5, s5, s26
	v_mad_u64_u32 v[0:1], s[26:27], v0, 36, 0
	s_sub_i32 s20, s3, s20
	v_mad_u64_u32 v[0:1], s[26:27], v4, s28, v[0:1]
	s_mul_i32 s20, s20, s9
	v_and_b32_e32 v8, 7, v19
	v_mad_u64_u32 v[0:1], s[20:21], s20, 36, v[0:1]
	v_mad_u64_u32 v[0:1], s[20:21], v8, 36, v[0:1]
	v_lshl_add_u64 v[0:1], v[0:1], 0, s[14:15]
	v_lshlrev_b32_e32 v2, 1, v2
	v_lshl_add_u64 v[16:17], v[0:1], 0, 16
	s_mov_b64 s[0:1], 0
	s_movk_i32 s6, 0x4a
	v_mov_b64_e32 v[12:13], s[12:13]
	s_mov_b32 s16, 0x1010101
	s_movk_i32 s17, 0xff00
	s_mov_b64 s[12:13], 0x900
	v_mov_b32_e32 v21, 8
	v_mov_b32_e32 v22, 6
	;; [unrolled: 1-line block ×4, first 2 shown]
	v_lshlrev_b32_e32 v14, 1, v2
	v_mov_b32_e32 v11, v9
	s_waitcnt vmcnt(0)
	v_mul_lo_u32 v0, v3, s8
	v_add_u32_e32 v23, s23, v0
	v_add_u32_e32 v24, s5, v0
.LBB168_3:                              ; =>This Inner Loop Header: Depth=1
	v_add_u32_e32 v25, v23, v20
	v_add_u32_e32 v26, v24, v20
	v_mad_i64_i32 v[32:33], s[14:15], v25, s6, v[12:13]
	v_mad_i64_i32 v[34:35], s[14:15], v26, s6, v[12:13]
	v_lshl_add_u64 v[36:37], v[32:33], 0, v[14:15]
	global_load_dwordx4 v[0:3], v[16:17], off offset:-16
	global_load_dwordx4 v[4:7], v[16:17], off
	global_load_dword v27, v[16:17], off offset:16
	v_lshl_add_u64 v[38:39], v[34:35], 0, v[14:15]
	v_lshl_add_u64 v[40:41], v[32:33], 0, v[8:9]
	;; [unrolled: 1-line block ×3, first 2 shown]
	global_load_dwordx2 v[44:45], v[36:37], off offset:2
	global_load_dwordx2 v[46:47], v[38:39], off offset:2
	global_load_ubyte v48, v[40:41], off offset:66
	global_load_ushort v26, v[34:35], off
	global_load_ushort v25, v[32:33], off
	global_load_ubyte v49, v[42:43], off offset:66
	s_getpc_b64 s[8:9]
	s_add_u32 s8, s8, _ZL10iq2xs_grid@rel32@lo+4
	s_addc_u32 s9, s9, _ZL10iq2xs_grid@rel32@hi+12
	v_mov_b32_e32 v28, 0
	v_mov_b32_e32 v29, 0
	;; [unrolled: 1-line block ×4, first 2 shown]
	v_add_u32_e32 v20, 8, v20
	v_cmp_le_u32_e32 vcc, s11, v20
	v_lshl_add_u64 v[16:17], v[16:17], 0, s[12:13]
	s_or_b64 s[0:1], vcc, s[0:1]
	s_waitcnt vmcnt(8)
	v_cvt_f32_f16_e32 v0, v0
	s_waitcnt vmcnt(5)
	v_and_b32_e32 v36, 0x1ff01ff, v44
	v_lshlrev_b16_e32 v37, 6, v44
	v_lshrrev_b32_e32 v38, 25, v44
	v_lshlrev_b16_sdwa v39, v22, v44 dst_sel:DWORD dst_unused:UNUSED_PAD src0_sel:DWORD src1_sel:WORD_1
	v_and_b32_e32 v40, 0x1ff01ff, v45
	v_lshrrev_b16_e32 v53, 9, v45
	v_lshrrev_b32_e32 v42, 25, v45
	v_lshlrev_b16_e32 v41, 6, v45
	v_lshlrev_b16_sdwa v43, v22, v45 dst_sel:DWORD dst_unused:UNUSED_PAD src0_sel:DWORD src1_sel:WORD_1
	s_waitcnt vmcnt(4)
	v_and_b32_e32 v50, 0x1ff01ff, v46
	v_and_b32_e32 v51, 0x1ff01ff, v47
	s_waitcnt vmcnt(3)
	v_lshrrev_b32_e32 v32, 4, v48
	v_and_b32_e32 v34, 15, v48
	v_and_b32_e32 v48, 0x1ff, v36
	v_ashrrev_i16_e32 v62, 15, v37
	v_lshrrev_b32_e32 v64, 13, v36
	v_bcnt_u32_b32 v36, v38, 0
	v_ashrrev_i16_e32 v65, 15, v39
	v_bfe_i32 v66, v38, 4, 1
	v_and_b32_e32 v37, 0x1ff, v40
	v_bcnt_u32_b32 v38, v53, 0
	v_bcnt_u32_b32 v39, v42, 0
	v_ashrrev_i16_e32 v67, 15, v41
	v_lshrrev_b32_e32 v69, 13, v40
	v_ashrrev_i16_e32 v70, 15, v43
	v_bfe_i32 v71, v42, 4, 1
	v_lshrrev_b32_e32 v42, 13, v50
	v_lshrrev_b32_e32 v43, 13, v51
	v_and_b32_e32 v80, 1, v36
	v_lshlrev_b32_e32 v81, 3, v37
	v_and_b32_e32 v82, 1, v38
	v_and_b32_e32 v83, 1, v39
	global_load_dwordx2 v[36:37], v64, s[8:9]
	global_load_dwordx2 v[38:39], v42, s[8:9]
	;; [unrolled: 1-line block ×3, first 2 shown]
	v_lshrrev_b16_e32 v52, 9, v44
	v_lshrrev_b32_e32 v54, 25, v46
	v_lshrrev_b32_e32 v56, 25, v47
	v_lshrrev_b16_e32 v58, 9, v46
	s_waitcnt vmcnt(3)
	v_lshrrev_b32_e32 v33, 4, v49
	v_and_b32_e32 v35, 15, v49
	v_bcnt_u32_b32 v49, v52, 0
	v_bcnt_u32_b32 v72, v54, 0
	;; [unrolled: 1-line block ×4, first 2 shown]
	v_and_b32_e32 v50, 0x1ff, v50
	v_and_b32_e32 v51, 0x1ff, v51
	v_lshlrev_b32_e32 v78, 3, v48
	v_and_b32_e32 v79, 1, v49
	v_and_b32_e32 v64, 1, v72
	;; [unrolled: 1-line block ×4, first 2 shown]
	v_lshlrev_b32_e32 v74, 3, v50
	v_lshlrev_b32_e32 v84, 3, v51
	global_load_dwordx2 v[42:43], v69, s[8:9]
	global_load_dwordx2 v[48:49], v81, s[8:9]
	;; [unrolled: 1-line block ×3, first 2 shown]
	v_lshlrev_b16_sdwa v55, v22, v46 dst_sel:DWORD dst_unused:UNUSED_PAD src0_sel:DWORD src1_sel:WORD_1
	v_lshlrev_b16_sdwa v57, v22, v47 dst_sel:DWORD dst_unused:UNUSED_PAD src0_sel:DWORD src1_sel:WORD_1
	v_lshlrev_b16_e32 v59, 6, v46
	v_lshrrev_b16_e32 v60, 9, v47
	v_lshlrev_b16_e32 v61, 6, v47
	v_alignbit_b32 v69, v80, v44, 25
	v_alignbit_b32 v78, v83, v45, 25
	;; [unrolled: 1-line block ×4, first 2 shown]
	global_load_dwordx2 v[44:45], v84, s[8:9]
	global_load_dwordx2 v[46:47], v74, s[8:9]
	v_mul_lo_u32 v69, v69, s16
	v_and_b32_e32 v80, 0x8000000, v69
	v_bfe_i32 v75, v58, 4, 1
	v_lshl_or_b32 v58, v73, 7, v58
	v_mul_lo_u32 v73, v78, s16
	v_lshrrev_b32_e32 v81, 8, v69
	v_and_b32_e32 v83, 0x80000000, v69
	v_cmp_ne_u16_sdwa s[14:15], v80, v9 src0_sel:BYTE_3 src1_sel:DWORD
	v_and_b32_e32 v104, 0x8000000, v73
	v_lshrrev_b16_e32 v124, 1, v81
	v_cndmask_b32_e64 v80, 0, -1, s[14:15]
	v_cmp_ne_u16_sdwa s[14:15], v83, v9 src0_sel:BYTE_3 src1_sel:DWORD
	v_bfe_i32 v68, v53, 4, 1
	v_lshl_or_b32 v53, v82, 7, v53
	v_lshrrev_b32_e32 v82, 18, v69
	v_lshrrev_b16_e32 v81, 5, v81
	v_cndmask_b32_e64 v83, 0, -1, s[14:15]
	v_cmp_ne_u16_sdwa s[14:15], v104, v9 src0_sel:BYTE_3 src1_sel:DWORD
	v_bfe_i32 v104, v124, 0, 1
	v_lshrrev_b32_e32 v69, 22, v69
	v_bfe_i32 v82, v82, 0, 1
	v_bfe_i32 v81, v81, 0, 1
	v_lshlrev_b16_e32 v80, 8, v80
	v_lshlrev_b16_e32 v104, 8, v104
	;; [unrolled: 1-line block ×3, first 2 shown]
	v_bfe_i32 v69, v69, 0, 1
	v_lshlrev_b16_e32 v83, 8, v83
	v_lshlrev_b16_e32 v81, 8, v81
	v_or_b32_sdwa v124, v82, v80 dst_sel:WORD_1 dst_unused:UNUSED_PAD src0_sel:BYTE_0 src1_sel:DWORD
	v_or_b32_sdwa v65, v65, v104 dst_sel:DWORD dst_unused:UNUSED_PAD src0_sel:BYTE_0 src1_sel:DWORD
	v_bfe_i32 v63, v52, 4, 1
	v_lshlrev_b16_e32 v86, 8, v66
	v_lshl_or_b32 v52, v79, 7, v52
	v_lshrrev_b32_e32 v105, 8, v73
	v_and_b32_e32 v107, 0x80000000, v73
	v_or_b32_sdwa v65, v65, v124 dst_sel:DWORD dst_unused:UNUSED_PAD src0_sel:WORD_0 src1_sel:DWORD
	v_or_b32_sdwa v124, v69, v83 dst_sel:WORD_1 dst_unused:UNUSED_PAD src0_sel:BYTE_0 src1_sel:DWORD
	v_or_b32_sdwa v66, v66, v81 dst_sel:DWORD dst_unused:UNUSED_PAD src0_sel:BYTE_0 src1_sel:DWORD
	v_mul_lo_u32 v52, v52, s16
	v_cmp_ne_u16_sdwa s[8:9], v107, v9 src0_sel:BYTE_3 src1_sel:DWORD
	v_lshrrev_b16_e32 v107, 1, v105
	v_or_b32_sdwa v66, v66, v124 dst_sel:DWORD dst_unused:UNUSED_PAD src0_sel:WORD_0 src1_sel:DWORD
	v_and_b32_e32 v74, 0x8000000, v52
	v_lshrrev_b32_e32 v106, 18, v73
	v_lshrrev_b16_e32 v105, 5, v105
	v_cndmask_b32_e64 v124, 0, -1, s[14:15]
	v_mul_lo_u32 v53, v53, s16
	s_waitcnt vmcnt(7)
	v_xor_b32_e32 v37, v37, v66
	v_bfe_i32 v66, v107, 0, 1
	v_and_b32_e32 v79, 0x80000000, v52
	v_lshrrev_b32_e32 v73, 22, v73
	v_bfe_i32 v106, v106, 0, 1
	v_xor_b32_e32 v36, v36, v65
	v_cndmask_b32_e64 v65, 0, -1, s[8:9]
	v_bfe_i32 v105, v105, 0, 1
	v_lshlrev_b16_e32 v107, 8, v124
	v_lshlrev_b16_e32 v66, 8, v66
	v_cmp_ne_u16_sdwa s[14:15], v74, v9 src0_sel:BYTE_3 src1_sel:DWORD
	v_lshlrev_b16_e32 v87, 8, v70
	v_and_b32_e32 v84, 0x8000000, v53
	v_bfe_i32 v73, v73, 0, 1
	v_lshlrev_b16_e32 v65, 8, v65
	v_lshlrev_b16_e32 v105, 8, v105
	v_or_b32_sdwa v124, v106, v107 dst_sel:WORD_1 dst_unused:UNUSED_PAD src0_sel:BYTE_0 src1_sel:DWORD
	v_or_b32_sdwa v70, v70, v66 dst_sel:DWORD dst_unused:UNUSED_PAD src0_sel:BYTE_0 src1_sel:DWORD
	v_cndmask_b32_e64 v74, 0, -1, s[14:15]
	v_cmp_ne_u16_sdwa s[14:15], v79, v9 src0_sel:BYTE_3 src1_sel:DWORD
	v_lshlrev_b16_e32 v88, 8, v71
	v_mul_lo_u32 v64, v64, s16
	v_and_b32_e32 v103, 0x80000000, v53
	v_or_b32_sdwa v70, v70, v124 dst_sel:DWORD dst_unused:UNUSED_PAD src0_sel:WORD_0 src1_sel:DWORD
	v_or_b32_sdwa v124, v73, v65 dst_sel:WORD_1 dst_unused:UNUSED_PAD src0_sel:BYTE_0 src1_sel:DWORD
	v_or_b32_sdwa v71, v71, v105 dst_sel:DWORD dst_unused:UNUSED_PAD src0_sel:BYTE_0 src1_sel:DWORD
	v_cndmask_b32_e64 v79, 0, -1, s[14:15]
	v_cmp_ne_u16_sdwa s[14:15], v84, v9 src0_sel:BYTE_3 src1_sel:DWORD
	v_lshrrev_b32_e32 v102, 18, v53
	v_and_b32_e32 v109, 0x8000000, v64
	v_lshrrev_b32_e32 v110, 18, v64
	v_lshrrev_b32_e32 v111, 8, v64
	v_or_b32_sdwa v71, v71, v124 dst_sel:DWORD dst_unused:UNUSED_PAD src0_sel:WORD_0 src1_sel:DWORD
	v_cndmask_b32_e64 v84, 0, -1, s[14:15]
	v_cmp_ne_u16_sdwa s[14:15], v103, v9 src0_sel:BYTE_3 src1_sel:DWORD
	v_and_b32_e32 v108, 0x80000000, v64
	s_waitcnt vmcnt(4)
	v_xor_b32_e32 v43, v43, v71
	v_bfe_i32 v71, v102, 0, 1
	v_bfe_i32 v102, v110, 0, 1
	v_lshrrev_b16_e32 v110, 1, v111
	v_cndmask_b32_e64 v103, 0, -1, s[14:15]
	v_cmp_ne_u16_sdwa s[14:15], v109, v9 src0_sel:BYTE_3 src1_sel:DWORD
	v_mul_lo_u32 v72, v72, s16
	v_lshrrev_b16_e32 v111, 5, v111
	v_cndmask_b32_e64 v109, 0, -1, s[14:15]
	v_cmp_ne_u16_sdwa s[14:15], v108, v9 src0_sel:BYTE_3 src1_sel:DWORD
	v_bfe_i32 v110, v110, 0, 1
	v_ashrrev_i16_e32 v55, 15, v55
	v_bcnt_u32_b32 v76, v60, 0
	v_lshrrev_b32_e32 v64, 22, v64
	v_and_b32_e32 v113, 0x8000000, v72
	v_cndmask_b32_e64 v108, 0, -1, s[14:15]
	v_bfe_i32 v111, v111, 0, 1
	v_lshlrev_b16_e32 v109, 8, v109
	v_lshlrev_b16_e32 v110, 8, v110
	v_bfe_i32 v54, v54, 4, 1
	v_and_b32_e32 v76, 1, v76
	v_lshlrev_b16_e32 v89, 8, v55
	v_and_b32_e32 v112, 0x80000000, v72
	v_lshrrev_b32_e32 v114, 18, v72
	v_lshrrev_b32_e32 v115, 8, v72
	v_bfe_i32 v64, v64, 0, 1
	v_cmp_ne_u16_sdwa s[14:15], v113, v9 src0_sel:BYTE_3 src1_sel:DWORD
	v_lshlrev_b16_e32 v108, 8, v108
	v_lshlrev_b16_e32 v111, 8, v111
	v_or_b32_sdwa v113, v102, v109 dst_sel:WORD_1 dst_unused:UNUSED_PAD src0_sel:BYTE_0 src1_sel:DWORD
	v_or_b32_sdwa v55, v55, v110 dst_sel:DWORD dst_unused:UNUSED_PAD src0_sel:BYTE_0 src1_sel:DWORD
	v_bfe_i32 v77, v60, 4, 1
	v_lshlrev_b16_e32 v90, 8, v54
	v_lshl_or_b32 v60, v76, 7, v60
	v_cmp_ne_u16_sdwa s[8:9], v112, v9 src0_sel:BYTE_3 src1_sel:DWORD
	v_bfe_i32 v112, v114, 0, 1
	v_lshrrev_b16_e32 v114, 1, v115
	v_or_b32_sdwa v55, v55, v113 dst_sel:DWORD dst_unused:UNUSED_PAD src0_sel:WORD_0 src1_sel:DWORD
	v_or_b32_sdwa v113, v64, v108 dst_sel:WORD_1 dst_unused:UNUSED_PAD src0_sel:BYTE_0 src1_sel:DWORD
	v_or_b32_sdwa v54, v54, v111 dst_sel:DWORD dst_unused:UNUSED_PAD src0_sel:BYTE_0 src1_sel:DWORD
	v_mul_lo_u32 v60, v60, s16
	v_or_b32_sdwa v54, v54, v113 dst_sel:DWORD dst_unused:UNUSED_PAD src0_sel:WORD_0 src1_sel:DWORD
	v_cndmask_b32_e64 v113, 0, -1, s[14:15]
	v_bfe_i32 v114, v114, 0, 1
	v_ashrrev_i16_e32 v57, 15, v57
	v_and_b32_e32 v121, 0x8000000, v60
	v_lshlrev_b16_e32 v113, 8, v113
	v_lshlrev_b16_e32 v114, 8, v114
	;; [unrolled: 1-line block ×3, first 2 shown]
	v_lshrrev_b32_e32 v76, 8, v52
	v_cmp_ne_u16_sdwa s[14:15], v121, v9 src0_sel:BYTE_3 src1_sel:DWORD
	v_or_b32_sdwa v121, v112, v113 dst_sel:WORD_1 dst_unused:UNUSED_PAD src0_sel:BYTE_0 src1_sel:DWORD
	v_or_b32_sdwa v57, v57, v114 dst_sel:DWORD dst_unused:UNUSED_PAD src0_sel:BYTE_0 src1_sel:DWORD
	v_lshrrev_b16_e32 v124, 1, v76
	v_or_b32_sdwa v57, v57, v121 dst_sel:DWORD dst_unused:UNUSED_PAD src0_sel:WORD_0 src1_sel:DWORD
	v_lshrrev_b32_e32 v78, 18, v52
	v_lshrrev_b32_e32 v101, 8, v53
	v_lshrrev_b16_e32 v76, 5, v76
	v_xor_b32_e32 v40, v40, v57
	v_bfe_i32 v57, v124, 0, 1
	v_mul_lo_u32 v58, v58, s16
	v_lshrrev_b32_e32 v52, 22, v52
	v_bfe_i32 v78, v78, 0, 1
	v_xor_b32_e32 v42, v42, v70
	v_lshrrev_b16_e32 v70, 1, v101
	v_bfe_i32 v76, v76, 0, 1
	v_lshlrev_b16_e32 v74, 8, v74
	v_lshlrev_b16_e32 v57, 8, v57
	v_lshlrev_b16_e32 v93, 8, v62
	v_and_b32_e32 v117, 0x8000000, v58
	v_lshrrev_b32_e32 v118, 18, v58
	v_lshrrev_b32_e32 v119, 8, v58
	v_bfe_i32 v52, v52, 0, 1
	v_lshrrev_b16_e32 v101, 5, v101
	v_lshrrev_b16_e32 v115, 5, v115
	v_bfe_i32 v70, v70, 0, 1
	v_lshlrev_b16_e32 v79, 8, v79
	v_lshlrev_b16_e32 v124, 8, v78
	v_or_b32_sdwa v78, v78, v74 dst_sel:WORD_1 dst_unused:UNUSED_PAD src0_sel:BYTE_0 src1_sel:DWORD
	v_or_b32_sdwa v62, v62, v57 dst_sel:DWORD dst_unused:UNUSED_PAD src0_sel:BYTE_0 src1_sel:DWORD
	v_lshlrev_b16_e32 v76, 8, v76
	v_lshlrev_b16_e32 v94, 8, v63
	v_lshrrev_b32_e32 v53, 22, v53
	v_lshrrev_b32_e32 v72, 22, v72
	v_and_b32_e32 v116, 0x80000000, v58
	v_xor_b32_e32 v38, v38, v55
	v_xor_b32_e32 v39, v39, v54
	v_cndmask_b32_e64 v54, 0, -1, s[8:9]
	v_bfe_i32 v55, v118, 0, 1
	v_lshrrev_b16_e32 v118, 1, v119
	v_cmp_ne_u16_sdwa s[8:9], v117, v9 src0_sel:BYTE_3 src1_sel:DWORD
	v_bfe_i32 v115, v115, 0, 1
	v_bfe_i32 v101, v101, 0, 1
	v_lshlrev_b16_e32 v84, 8, v84
	v_or_b32_sdwa v62, v62, v78 dst_sel:DWORD dst_unused:UNUSED_PAD src0_sel:WORD_0 src1_sel:DWORD
	v_lshlrev_b16_e32 v78, 8, v52
	v_or_b32_sdwa v52, v52, v79 dst_sel:WORD_1 dst_unused:UNUSED_PAD src0_sel:BYTE_0 src1_sel:DWORD
	v_or_b32_sdwa v63, v63, v76 dst_sel:DWORD dst_unused:UNUSED_PAD src0_sel:BYTE_0 src1_sel:DWORD
	v_lshlrev_b16_e32 v70, 8, v70
	v_bfe_i32 v56, v56, 4, 1
	v_lshlrev_b16_e32 v95, 8, v67
	v_and_b32_e32 v120, 0x80000000, v60
	v_lshrrev_b32_e32 v122, 18, v60
	v_lshrrev_b32_e32 v123, 8, v60
	v_bfe_i32 v53, v53, 0, 1
	v_bfe_i32 v72, v72, 0, 1
	v_cndmask_b32_e64 v117, 0, -1, s[8:9]
	v_lshrrev_b16_e32 v119, 5, v119
	v_cmp_ne_u16_sdwa s[8:9], v116, v9 src0_sel:BYTE_3 src1_sel:DWORD
	v_lshlrev_b16_e32 v54, 8, v54
	v_lshlrev_b16_e32 v115, 8, v115
	;; [unrolled: 1-line block ×3, first 2 shown]
	v_bfe_i32 v118, v118, 0, 1
	v_or_b32_sdwa v52, v63, v52 dst_sel:DWORD dst_unused:UNUSED_PAD src0_sel:WORD_0 src1_sel:DWORD
	v_lshlrev_b16_e32 v63, 8, v71
	v_or_b32_sdwa v71, v71, v84 dst_sel:WORD_1 dst_unused:UNUSED_PAD src0_sel:BYTE_0 src1_sel:DWORD
	v_or_b32_sdwa v67, v67, v70 dst_sel:DWORD dst_unused:UNUSED_PAD src0_sel:BYTE_0 src1_sel:DWORD
	v_lshlrev_b16_e32 v101, 8, v101
	v_ashrrev_i16_e32 v59, 15, v59
	v_lshlrev_b16_e32 v92, 8, v56
	v_lshlrev_b16_e32 v96, 8, v68
	v_lshrrev_b32_e32 v58, 22, v58
	v_cndmask_b32_e64 v116, 0, -1, s[8:9]
	v_cmp_ne_u16_sdwa s[8:9], v120, v9 src0_sel:BYTE_3 src1_sel:DWORD
	v_bfe_i32 v120, v122, 0, 1
	v_lshrrev_b16_e32 v122, 1, v123
	v_or_b32_sdwa v121, v72, v54 dst_sel:WORD_1 dst_unused:UNUSED_PAD src0_sel:BYTE_0 src1_sel:DWORD
	v_or_b32_sdwa v56, v56, v115 dst_sel:DWORD dst_unused:UNUSED_PAD src0_sel:BYTE_0 src1_sel:DWORD
	v_lshlrev_b16_e32 v117, 8, v117
	v_bfe_i32 v119, v119, 0, 1
	v_or_b32_sdwa v67, v67, v71 dst_sel:DWORD dst_unused:UNUSED_PAD src0_sel:WORD_0 src1_sel:DWORD
	v_lshlrev_b16_e32 v71, 8, v53
	v_or_b32_sdwa v53, v53, v103 dst_sel:WORD_1 dst_unused:UNUSED_PAD src0_sel:BYTE_0 src1_sel:DWORD
	v_or_b32_sdwa v68, v68, v101 dst_sel:DWORD dst_unused:UNUSED_PAD src0_sel:BYTE_0 src1_sel:DWORD
	v_lshlrev_b16_e32 v118, 8, v118
	v_lshlrev_b16_e32 v97, 8, v59
	v_bfe_i32 v58, v58, 0, 1
	v_or_b32_sdwa v56, v56, v121 dst_sel:DWORD dst_unused:UNUSED_PAD src0_sel:WORD_0 src1_sel:DWORD
	v_cndmask_b32_e64 v121, 0, -1, s[14:15]
	v_lshrrev_b16_e32 v123, 5, v123
	v_lshlrev_b16_e32 v116, 8, v116
	v_bfe_i32 v122, v122, 0, 1
	v_or_b32_sdwa v53, v68, v53 dst_sel:DWORD dst_unused:UNUSED_PAD src0_sel:WORD_0 src1_sel:DWORD
	v_lshlrev_b16_e32 v68, 8, v55
	v_or_b32_sdwa v55, v55, v117 dst_sel:WORD_1 dst_unused:UNUSED_PAD src0_sel:BYTE_0 src1_sel:DWORD
	v_or_b32_sdwa v59, v59, v118 dst_sel:DWORD dst_unused:UNUSED_PAD src0_sel:BYTE_0 src1_sel:DWORD
	v_lshlrev_b16_e32 v119, 8, v119
	v_ashrrev_i16_e32 v61, 15, v61
	v_lshlrev_b16_e32 v98, 8, v75
	v_lshrrev_b32_e32 v60, 22, v60
	v_xor_b32_e32 v41, v41, v56
	v_cndmask_b32_e64 v56, 0, -1, s[8:9]
	v_lshlrev_b16_e32 v121, 8, v121
	v_bfe_i32 v123, v123, 0, 1
	v_or_b32_sdwa v55, v59, v55 dst_sel:DWORD dst_unused:UNUSED_PAD src0_sel:WORD_0 src1_sel:DWORD
	v_lshlrev_b16_e32 v59, 8, v58
	v_or_b32_sdwa v58, v58, v116 dst_sel:WORD_1 dst_unused:UNUSED_PAD src0_sel:BYTE_0 src1_sel:DWORD
	v_or_b32_sdwa v75, v75, v119 dst_sel:DWORD dst_unused:UNUSED_PAD src0_sel:BYTE_0 src1_sel:DWORD
	v_lshlrev_b16_e32 v122, 8, v122
	v_lshlrev_b16_e32 v99, 8, v61
	v_bfe_i32 v60, v60, 0, 1
	v_lshlrev_b16_e32 v56, 8, v56
	v_or_b32_sdwa v58, v75, v58 dst_sel:DWORD dst_unused:UNUSED_PAD src0_sel:WORD_0 src1_sel:DWORD
	v_lshlrev_b16_e32 v75, 8, v120
	v_or_b32_sdwa v120, v120, v121 dst_sel:WORD_1 dst_unused:UNUSED_PAD src0_sel:BYTE_0 src1_sel:DWORD
	v_or_b32_sdwa v61, v61, v122 dst_sel:DWORD dst_unused:UNUSED_PAD src0_sel:BYTE_0 src1_sel:DWORD
	v_lshlrev_b16_e32 v123, 8, v123
	v_lshlrev_b16_e32 v100, 8, v77
	v_or_b32_sdwa v61, v61, v120 dst_sel:DWORD dst_unused:UNUSED_PAD src0_sel:WORD_0 src1_sel:DWORD
	v_lshlrev_b16_e32 v120, 8, v60
	v_or_b32_sdwa v60, v60, v56 dst_sel:WORD_1 dst_unused:UNUSED_PAD src0_sel:BYTE_0 src1_sel:DWORD
	v_or_b32_sdwa v77, v77, v123 dst_sel:DWORD dst_unused:UNUSED_PAD src0_sel:BYTE_0 src1_sel:DWORD
	v_or_b32_sdwa v60, v77, v60 dst_sel:DWORD dst_unused:UNUSED_PAD src0_sel:WORD_0 src1_sel:DWORD
	s_waitcnt vmcnt(2)
	v_xor_b32_e32 v51, v51, v52
	v_xor_b32_e32 v49, v49, v53
	s_waitcnt vmcnt(0)
	v_xor_b32_e32 v46, v46, v55
	v_and_b32_e32 v52, 0xffffff00, v36
	v_lshlrev_b16_e32 v53, 8, v36
	v_and_b32_sdwa v55, v36, s17 dst_sel:DWORD dst_unused:UNUSED_PAD src0_sel:WORD_1 src1_sel:DWORD
	v_lshlrev_b16_e32 v69, 8, v69
	v_xor_b32_e32 v47, v47, v58
	v_xor_b32_e32 v44, v44, v61
	;; [unrolled: 1-line block ×3, first 2 shown]
	v_and_b32_e32 v58, 0xffffff00, v37
	v_lshlrev_b16_e32 v60, 8, v37
	v_and_b32_sdwa v61, v37, s17 dst_sel:DWORD dst_unused:UNUSED_PAD src0_sel:WORD_1 src1_sel:DWORD
	v_lshlrev_b16_sdwa v37, v21, v37 dst_sel:DWORD dst_unused:UNUSED_PAD src0_sel:DWORD src1_sel:WORD_1
	v_sub_i16 v52, v52, v104 clamp
	v_and_b32_e32 v104, 0xffffff00, v43
	v_sub_i16 v53, v53, v85 clamp
	v_lshlrev_b16_e32 v85, 8, v43
	v_sub_i16 v55, v55, v80 clamp
	v_and_b32_sdwa v80, v43, s17 dst_sel:DWORD dst_unused:UNUSED_PAD src0_sel:WORD_1 src1_sel:DWORD
	v_lshlrev_b16_e32 v82, 8, v82
	v_lshlrev_b16_e32 v106, 8, v106
	;; [unrolled: 1-line block ×3, first 2 shown]
	v_xor_b32_e32 v50, v50, v62
	v_xor_b32_e32 v48, v48, v67
	v_lshlrev_b16_sdwa v36, v21, v36 dst_sel:DWORD dst_unused:UNUSED_PAD src0_sel:DWORD src1_sel:WORD_1
	v_and_b32_e32 v62, 0xffffff00, v42
	v_lshlrev_b16_e32 v67, 8, v42
	v_and_b32_sdwa v77, v42, s17 dst_sel:DWORD dst_unused:UNUSED_PAD src0_sel:WORD_1 src1_sel:DWORD
	v_lshlrev_b16_sdwa v42, v21, v42 dst_sel:DWORD dst_unused:UNUSED_PAD src0_sel:DWORD src1_sel:WORD_1
	v_sub_i16 v37, v37, v69 clamp
	v_lshlrev_b16_e32 v69, 8, v39
	v_sub_i16 v104, v104, v105 clamp
	v_and_b32_e32 v105, 0xffffff00, v41
	v_sub_i16 v85, v85, v88 clamp
	v_lshlrev_b16_e32 v88, 8, v41
	v_sub_i16 v65, v80, v65 clamp
	v_and_b32_sdwa v80, v41, s17 dst_sel:DWORD dst_unused:UNUSED_PAD src0_sel:WORD_1 src1_sel:DWORD
	v_lshlrev_b16_sdwa v41, v21, v41 dst_sel:DWORD dst_unused:UNUSED_PAD src0_sel:DWORD src1_sel:WORD_1
	v_lshlrev_b16_e32 v73, 8, v73
	v_lshlrev_b16_e32 v102, 8, v102
	;; [unrolled: 1-line block ×3, first 2 shown]
	v_lshlrev_b16_sdwa v43, v21, v43 dst_sel:DWORD dst_unused:UNUSED_PAD src0_sel:DWORD src1_sel:WORD_1
	v_sub_i16 v36, v36, v82 clamp
	v_and_b32_e32 v82, 0xffffff00, v38
	v_sub_i16 v58, v58, v81 clamp
	v_lshlrev_b16_e32 v81, 8, v38
	v_sub_i16 v60, v60, v86 clamp
	v_and_b32_sdwa v86, v38, s17 dst_sel:DWORD dst_unused:UNUSED_PAD src0_sel:WORD_1 src1_sel:DWORD
	v_lshlrev_b16_sdwa v38, v21, v38 dst_sel:DWORD dst_unused:UNUSED_PAD src0_sel:DWORD src1_sel:WORD_1
	v_sub_i16 v61, v61, v83 clamp
	v_and_b32_e32 v83, 0xffffff00, v39
	v_sub_i16 v62, v62, v66 clamp
	v_and_b32_sdwa v66, v39, s17 dst_sel:DWORD dst_unused:UNUSED_PAD src0_sel:WORD_1 src1_sel:DWORD
	v_lshlrev_b16_sdwa v39, v21, v39 dst_sel:DWORD dst_unused:UNUSED_PAD src0_sel:DWORD src1_sel:WORD_1
	v_sub_i16 v67, v67, v87 clamp
	v_and_b32_e32 v87, 0xffffff00, v40
	v_sub_i16 v77, v77, v107 clamp
	v_lshlrev_b16_e32 v107, 8, v40
	v_sub_i16 v42, v42, v106 clamp
	v_and_b32_sdwa v106, v40, s17 dst_sel:DWORD dst_unused:UNUSED_PAD src0_sel:WORD_1 src1_sel:DWORD
	v_sub_i16 v69, v69, v90 clamp
	v_sub_i16 v54, v80, v54 clamp
	;; [unrolled: 1-line block ×3, first 2 shown]
	v_and_b32_e32 v72, 0xffffff00, v50
	v_lshlrev_b16_e32 v80, 8, v50
	v_and_b32_sdwa v90, v50, s17 dst_sel:DWORD dst_unused:UNUSED_PAD src0_sel:WORD_1 src1_sel:DWORD
	v_lshlrev_b16_sdwa v50, v21, v50 dst_sel:DWORD dst_unused:UNUSED_PAD src0_sel:DWORD src1_sel:WORD_1
	v_lshlrev_b16_e32 v112, 8, v112
	v_lshlrev_b16_sdwa v40, v21, v40 dst_sel:DWORD dst_unused:UNUSED_PAD src0_sel:DWORD src1_sel:WORD_1
	v_sub_i16 v43, v43, v73 clamp
	v_sub_i16 v73, v82, v110 clamp
	;; [unrolled: 1-line block ×12, first 2 shown]
	v_and_b32_e32 v91, 0xffffff00, v51
	v_and_b32_sdwa v102, v51, s17 dst_sel:DWORD dst_unused:UNUSED_PAD src0_sel:WORD_1 src1_sel:DWORD
	v_and_b32_e32 v105, 0xffffff00, v48
	v_lshlrev_b16_e32 v106, 8, v48
	v_and_b32_sdwa v107, v48, s17 dst_sel:DWORD dst_unused:UNUSED_PAD src0_sel:WORD_1 src1_sel:DWORD
	v_lshlrev_b16_sdwa v48, v21, v48 dst_sel:DWORD dst_unused:UNUSED_PAD src0_sel:DWORD src1_sel:WORD_1
	v_and_b32_e32 v108, 0xffffff00, v49
	v_lshlrev_b16_e32 v109, 8, v49
	v_and_b32_sdwa v110, v49, s17 dst_sel:DWORD dst_unused:UNUSED_PAD src0_sel:WORD_1 src1_sel:DWORD
	v_lshlrev_b16_sdwa v49, v21, v49 dst_sel:DWORD dst_unused:UNUSED_PAD src0_sel:DWORD src1_sel:WORD_1
	v_and_b32_e32 v111, 0xffffff00, v46
	v_and_b32_sdwa v113, v46, s17 dst_sel:DWORD dst_unused:UNUSED_PAD src0_sel:WORD_1 src1_sel:DWORD
	v_and_b32_e32 v114, 0xffffff00, v47
	v_lshlrev_b16_e32 v115, 8, v47
	v_sub_i16 v57, v72, v57 clamp
	v_and_b32_sdwa v72, v47, s17 dst_sel:DWORD dst_unused:UNUSED_PAD src0_sel:WORD_1 src1_sel:DWORD
	v_lshlrev_b16_sdwa v47, v21, v47 dst_sel:DWORD dst_unused:UNUSED_PAD src0_sel:DWORD src1_sel:WORD_1
	v_sub_i16 v80, v80, v93 clamp
	v_and_b32_e32 v93, 0xffffff00, v44
	v_sub_i16 v50, v50, v124 clamp
	v_and_b32_sdwa v124, v44, s17 dst_sel:DWORD dst_unused:UNUSED_PAD src0_sel:WORD_1 src1_sel:DWORD
	v_sub_i16 v40, v40, v112 clamp
	v_sub_i16 v88, v88, v92 clamp
	v_lshlrev_b16_e32 v92, 8, v51
	v_lshlrev_b16_sdwa v51, v21, v51 dst_sel:DWORD dst_unused:UNUSED_PAD src0_sel:DWORD src1_sel:WORD_1
	v_lshlrev_b16_e32 v112, 8, v46
	v_lshlrev_b16_sdwa v46, v21, v46 dst_sel:DWORD dst_unused:UNUSED_PAD src0_sel:DWORD src1_sel:WORD_1
	v_sub_i16 v74, v90, v74 clamp
	v_lshlrev_b16_e32 v90, 8, v44
	v_lshlrev_b16_sdwa v44, v21, v44 dst_sel:DWORD dst_unused:UNUSED_PAD src0_sel:DWORD src1_sel:WORD_1
	v_sub_i16 v76, v91, v76 clamp
	v_and_b32_e32 v91, 0xffffff00, v45
	v_sub_i16 v79, v102, v79 clamp
	v_and_b32_sdwa v102, v45, s17 dst_sel:DWORD dst_unused:UNUSED_PAD src0_sel:WORD_1 src1_sel:DWORD
	v_sub_i16 v70, v105, v70 clamp
	v_sub_i16 v84, v107, v84 clamp
	;; [unrolled: 1-line block ×10, first 2 shown]
	v_and_b32_e32 v52, 0xffffff00, v52
	v_and_b32_e32 v55, 0xffffff00, v55
	v_and_b32_e32 v58, 0xffffff00, v58
	v_and_b32_e32 v61, 0xffffff00, v61
	v_and_b32_e32 v62, 0xffffff00, v62
	v_and_b32_e32 v65, 0xffffff00, v65
	v_and_b32_e32 v73, 0xffffff00, v73
	v_and_b32_e32 v83, 0xffffff00, v83
	v_and_b32_e32 v64, 0xffffff00, v64
	v_sub_i16 v92, v92, v94 clamp
	v_lshlrev_b16_e32 v94, 8, v45
	v_lshlrev_b16_sdwa v45, v21, v45 dst_sel:DWORD dst_unused:UNUSED_PAD src0_sel:DWORD src1_sel:WORD_1
	v_sub_i16 v51, v51, v78 clamp
	v_sub_i16 v78, v106, v95 clamp
	;; [unrolled: 1-line block ×12, first 2 shown]
	v_and_b32_e32 v66, 0xffffff00, v66
	v_and_b32_e32 v54, 0xffffff00, v54
	v_or_b32_sdwa v52, v53, v52 dst_sel:DWORD dst_unused:UNUSED_PAD src0_sel:BYTE_1 src1_sel:DWORD
	v_or_b32_sdwa v36, v36, v55 dst_sel:WORD_1 dst_unused:UNUSED_PAD src0_sel:BYTE_1 src1_sel:DWORD
	v_or_b32_sdwa v53, v60, v58 dst_sel:DWORD dst_unused:UNUSED_PAD src0_sel:BYTE_1 src1_sel:DWORD
	v_or_b32_sdwa v37, v37, v61 dst_sel:WORD_1 dst_unused:UNUSED_PAD src0_sel:BYTE_1 src1_sel:DWORD
	;; [unrolled: 2-line block ×3, first 2 shown]
	v_or_b32_sdwa v60, v81, v73 dst_sel:DWORD dst_unused:UNUSED_PAD src0_sel:BYTE_1 src1_sel:DWORD
	v_or_b32_sdwa v61, v69, v83 dst_sel:DWORD dst_unused:UNUSED_PAD src0_sel:BYTE_1 src1_sel:DWORD
	;; [unrolled: 1-line block ×3, first 2 shown]
	v_and_b32_e32 v57, 0xffffff00, v57
	v_and_b32_e32 v64, 0xffffff00, v74
	;; [unrolled: 1-line block ×9, first 2 shown]
	v_sub_i16 v98, v115, v98 clamp
	v_sub_i16 v91, v94, v100 clamp
	;; [unrolled: 1-line block ×3, first 2 shown]
	v_or_b32_sdwa v39, v39, v66 dst_sel:WORD_1 dst_unused:UNUSED_PAD src0_sel:BYTE_1 src1_sel:DWORD
	v_and_b32_e32 v66, 0xffffff00, v79
	v_and_b32_e32 v63, 0xffffff00, v63
	;; [unrolled: 1-line block ×7, first 2 shown]
	v_or_b32_sdwa v41, v41, v54 dst_sel:WORD_1 dst_unused:UNUSED_PAD src0_sel:BYTE_1 src1_sel:DWORD
	v_or_b32_sdwa v54, v80, v57 dst_sel:DWORD dst_unused:UNUSED_PAD src0_sel:BYTE_1 src1_sel:DWORD
	v_or_b32_sdwa v50, v50, v64 dst_sel:WORD_1 dst_unused:UNUSED_PAD src0_sel:BYTE_1 src1_sel:DWORD
	v_or_b32_sdwa v57, v92, v65 dst_sel:DWORD dst_unused:UNUSED_PAD src0_sel:BYTE_1 src1_sel:DWORD
	v_or_b32_sdwa v64, v78, v67 dst_sel:DWORD dst_unused:UNUSED_PAD src0_sel:BYTE_1 src1_sel:DWORD
	v_or_b32_sdwa v48, v48, v69 dst_sel:WORD_1 dst_unused:UNUSED_PAD src0_sel:BYTE_1 src1_sel:DWORD
	v_or_b32_sdwa v65, v97, v71 dst_sel:DWORD dst_unused:UNUSED_PAD src0_sel:BYTE_1 src1_sel:DWORD
	v_or_b32_sdwa v46, v46, v73 dst_sel:WORD_1 dst_unused:UNUSED_PAD src0_sel:BYTE_1 src1_sel:DWORD
	;; [unrolled: 2-line block ×3, first 2 shown]
	v_and_b32_e32 v77, 0xffffff00, v77
	v_and_b32_e32 v82, 0xffffff00, v82
	;; [unrolled: 1-line block ×3, first 2 shown]
	v_or_b32_sdwa v51, v51, v66 dst_sel:WORD_1 dst_unused:UNUSED_PAD src0_sel:BYTE_1 src1_sel:DWORD
	v_or_b32_sdwa v63, v95, v63 dst_sel:DWORD dst_unused:UNUSED_PAD src0_sel:BYTE_1 src1_sel:DWORD
	v_or_b32_sdwa v49, v49, v70 dst_sel:WORD_1 dst_unused:UNUSED_PAD src0_sel:BYTE_1 src1_sel:DWORD
	v_or_b32_sdwa v66, v98, v68 dst_sel:DWORD dst_unused:UNUSED_PAD src0_sel:BYTE_1 src1_sel:DWORD
	;; [unrolled: 2-line block ×3, first 2 shown]
	v_or_b32_sdwa v45, v45, v56 dst_sel:WORD_1 dst_unused:UNUSED_PAD src0_sel:BYTE_1 src1_sel:DWORD
	v_or_b32_sdwa v50, v54, v50 dst_sel:DWORD dst_unused:UNUSED_PAD src0_sel:WORD_0 src1_sel:DWORD
	v_or_b32_sdwa v48, v64, v48 dst_sel:DWORD dst_unused:UNUSED_PAD src0_sel:WORD_0 src1_sel:DWORD
	;; [unrolled: 1-line block ×4, first 2 shown]
	v_and_b32_e32 v94, 0xffffff00, v104
	v_and_b32_e32 v89, 0xffffff00, v89
	v_or_b32_sdwa v42, v42, v77 dst_sel:WORD_1 dst_unused:UNUSED_PAD src0_sel:BYTE_1 src1_sel:DWORD
	v_or_b32_sdwa v38, v38, v82 dst_sel:WORD_1 dst_unused:UNUSED_PAD src0_sel:BYTE_1 src1_sel:DWORD
	;; [unrolled: 1-line block ×3, first 2 shown]
	v_or_b32_sdwa v51, v57, v51 dst_sel:DWORD dst_unused:UNUSED_PAD src0_sel:WORD_0 src1_sel:DWORD
	v_or_b32_sdwa v49, v63, v49 dst_sel:DWORD dst_unused:UNUSED_PAD src0_sel:WORD_0 src1_sel:DWORD
	v_or_b32_sdwa v47, v66, v47 dst_sel:DWORD dst_unused:UNUSED_PAD src0_sel:WORD_0 src1_sel:DWORD
	v_or_b32_sdwa v45, v67, v45 dst_sel:DWORD dst_unused:UNUSED_PAD src0_sel:WORD_0 src1_sel:DWORD
	v_dot4c_i32_i8_e32 v28, v50, v1
	v_dot4c_i32_i8_e32 v29, v48, v5
	;; [unrolled: 1-line block ×4, first 2 shown]
	v_or_b32_sdwa v58, v85, v94 dst_sel:DWORD dst_unused:UNUSED_PAD src0_sel:BYTE_1 src1_sel:DWORD
	v_or_b32_sdwa v76, v88, v89 dst_sel:DWORD dst_unused:UNUSED_PAD src0_sel:BYTE_1 src1_sel:DWORD
	v_or_b32_sdwa v36, v52, v36 dst_sel:DWORD dst_unused:UNUSED_PAD src0_sel:WORD_0 src1_sel:DWORD
	v_or_b32_sdwa v42, v55, v42 dst_sel:DWORD dst_unused:UNUSED_PAD src0_sel:WORD_0 src1_sel:DWORD
	v_or_b32_sdwa v38, v60, v38 dst_sel:DWORD dst_unused:UNUSED_PAD src0_sel:WORD_0 src1_sel:DWORD
	v_or_b32_sdwa v40, v62, v40 dst_sel:DWORD dst_unused:UNUSED_PAD src0_sel:WORD_0 src1_sel:DWORD
	v_dot4c_i32_i8_e32 v28, v51, v2
	v_dot4c_i32_i8_e32 v29, v49, v6
	;; [unrolled: 1-line block ×4, first 2 shown]
	v_or_b32_sdwa v37, v53, v37 dst_sel:DWORD dst_unused:UNUSED_PAD src0_sel:WORD_0 src1_sel:DWORD
	v_or_b32_sdwa v43, v58, v43 dst_sel:DWORD dst_unused:UNUSED_PAD src0_sel:WORD_0 src1_sel:DWORD
	;; [unrolled: 1-line block ×4, first 2 shown]
	v_dot4c_i32_i8_e32 v28, v36, v3
	v_dot4c_i32_i8_e32 v29, v42, v7
	;; [unrolled: 1-line block ×8, first 2 shown]
	v_mul_lo_u32 v1, v28, v34
	v_add_u32_e32 v3, v29, v28
	v_lshrrev_b32_e32 v7, 31, v3
	v_add_u32_e32 v6, v31, v30
	v_lshrrev_b32_e32 v27, 31, v6
	v_add_u32_e32 v3, v3, v7
	v_add_u32_e32 v6, v6, v27
	v_mul_lo_u32 v2, v29, v32
	v_mul_lo_u32 v4, v30, v35
	;; [unrolled: 1-line block ×3, first 2 shown]
	v_ashrrev_i32_e32 v3, 1, v3
	v_ashrrev_i32_e32 v6, 1, v6
	v_add3_u32 v1, v2, v1, v3
	v_add3_u32 v2, v5, v4, v6
	v_ashrrev_i32_e32 v3, 31, v1
	v_ashrrev_i32_e32 v4, 31, v2
	v_lshrrev_b32_e32 v3, 30, v3
	v_lshrrev_b32_e32 v4, 30, v4
	v_add_u32_e32 v1, v1, v3
	v_add_u32_e32 v2, v2, v4
	v_cvt_f32_f16_e32 v25, v25
	v_cvt_f32_f16_e32 v26, v26
	v_ashrrev_i32_e32 v1, 2, v1
	v_ashrrev_i32_e32 v2, 2, v2
	v_cvt_f32_i32_e32 v1, v1
	v_cvt_f32_i32_e32 v2, v2
	v_mul_f32_e32 v3, v25, v0
	v_mul_f32_e32 v0, v26, v0
	v_fmac_f32_e32 v10, v3, v1
	v_fmac_f32_e32 v11, v0, v2
	s_andn2_b64 exec, exec, s[0:1]
	s_cbranch_execnz .LBB168_3
; %bb.4:
	s_or_b64 exec, exec, s[0:1]
.LBB168_5:
	s_or_b64 exec, exec, s[24:25]
	v_mbcnt_lo_u32_b32 v0, -1, 0
	v_mbcnt_hi_u32_b32 v4, -1, v0
	v_and_b32_e32 v0, 64, v4
	v_add_u32_e32 v5, 64, v0
	v_xor_b32_e32 v0, 32, v4
	v_cmp_lt_i32_e32 vcc, v0, v5
	v_xor_b32_e32 v2, 16, v4
	v_xor_b32_e32 v6, 8, v4
	v_cndmask_b32_e32 v0, v4, v0, vcc
	v_lshlrev_b32_e32 v1, 2, v0
	ds_bpermute_b32 v0, v1, v10
	ds_bpermute_b32 v1, v1, v11
	v_cmp_lt_i32_e32 vcc, v2, v5
	s_waitcnt lgkmcnt(0)
	v_pk_add_f32 v[0:1], v[10:11], v[0:1]
	v_cndmask_b32_e32 v2, v4, v2, vcc
	v_lshlrev_b32_e32 v3, 2, v2
	ds_bpermute_b32 v2, v3, v0
	ds_bpermute_b32 v3, v3, v1
	v_cmp_lt_i32_e32 vcc, v6, v5
	s_waitcnt lgkmcnt(0)
	v_pk_add_f32 v[0:1], v[0:1], v[2:3]
	v_cndmask_b32_e32 v6, v4, v6, vcc
	v_lshlrev_b32_e32 v6, 2, v6
	ds_bpermute_b32 v2, v6, v0
	ds_bpermute_b32 v3, v6, v1
	v_xor_b32_e32 v6, 4, v4
	v_cmp_lt_i32_e32 vcc, v6, v5
	s_waitcnt lgkmcnt(0)
	v_pk_add_f32 v[0:1], v[0:1], v[2:3]
	v_cndmask_b32_e32 v6, v4, v6, vcc
	v_lshlrev_b32_e32 v6, 2, v6
	ds_bpermute_b32 v2, v6, v0
	ds_bpermute_b32 v3, v6, v1
	v_xor_b32_e32 v6, 2, v4
	;; [unrolled: 8-line block ×3, first 2 shown]
	v_cmp_lt_i32_e32 vcc, v6, v5
	s_waitcnt lgkmcnt(0)
	v_pk_add_f32 v[0:1], v[0:1], v[2:3]
	v_cndmask_b32_e32 v4, v4, v6, vcc
	v_lshlrev_b32_e32 v4, 2, v4
	ds_bpermute_b32 v2, v4, v0
	ds_bpermute_b32 v3, v4, v1
	v_add_u32_e32 v4, s2, v19
	v_cmp_gt_u32_e32 vcc, 2, v19
	v_cmp_gt_u32_e64 s[0:1], s4, v4
	s_and_b64 s[0:1], vcc, s[0:1]
	s_and_b64 exec, exec, s[0:1]
	s_cbranch_execz .LBB168_7
; %bb.6:
	v_cmp_eq_u32_e32 vcc, 1, v19
	s_mul_i32 s3, s3, s10
	v_mov_b32_e32 v4, s18
	s_waitcnt lgkmcnt(0)
	v_cndmask_b32_e32 v2, v2, v3, vcc
	v_cndmask_b32_e32 v0, v0, v1, vcc
	v_add_f32_e32 v2, v0, v2
	v_mul_lo_u32 v0, v18, s7
	v_or_b32_e32 v1, s2, v19
	v_mov_b32_e32 v5, s19
	v_add3_u32 v0, v1, v0, s3
	v_mov_b32_e32 v1, 0
	v_lshl_add_u64 v[0:1], v[0:1], 2, v[4:5]
	global_store_dword v[0:1], v2, off
.LBB168_7:
	s_endpgm
	.section	.rodata,"a",@progbits
	.p2align	6, 0x0
	.amdhsa_kernel _ZL17mul_mat_vec_q_moeIL9ggml_type17ELi2EEvPKvS2_PKiPfj15HIP_vector_typeIjLj3EEjjjjjjjjj
		.amdhsa_group_segment_fixed_size 0
		.amdhsa_private_segment_fixed_size 0
		.amdhsa_kernarg_size 84
		.amdhsa_user_sgpr_count 2
		.amdhsa_user_sgpr_dispatch_ptr 0
		.amdhsa_user_sgpr_queue_ptr 0
		.amdhsa_user_sgpr_kernarg_segment_ptr 1
		.amdhsa_user_sgpr_dispatch_id 0
		.amdhsa_user_sgpr_kernarg_preload_length 0
		.amdhsa_user_sgpr_kernarg_preload_offset 0
		.amdhsa_user_sgpr_private_segment_size 0
		.amdhsa_uses_dynamic_stack 0
		.amdhsa_enable_private_segment 0
		.amdhsa_system_sgpr_workgroup_id_x 1
		.amdhsa_system_sgpr_workgroup_id_y 1
		.amdhsa_system_sgpr_workgroup_id_z 0
		.amdhsa_system_sgpr_workgroup_info 0
		.amdhsa_system_vgpr_workitem_id 1
		.amdhsa_next_free_vgpr 125
		.amdhsa_next_free_sgpr 29
		.amdhsa_accum_offset 128
		.amdhsa_reserve_vcc 1
		.amdhsa_float_round_mode_32 0
		.amdhsa_float_round_mode_16_64 0
		.amdhsa_float_denorm_mode_32 3
		.amdhsa_float_denorm_mode_16_64 3
		.amdhsa_dx10_clamp 1
		.amdhsa_ieee_mode 1
		.amdhsa_fp16_overflow 0
		.amdhsa_tg_split 0
		.amdhsa_exception_fp_ieee_invalid_op 0
		.amdhsa_exception_fp_denorm_src 0
		.amdhsa_exception_fp_ieee_div_zero 0
		.amdhsa_exception_fp_ieee_overflow 0
		.amdhsa_exception_fp_ieee_underflow 0
		.amdhsa_exception_fp_ieee_inexact 0
		.amdhsa_exception_int_div_zero 0
	.end_amdhsa_kernel
	.section	.text._ZL17mul_mat_vec_q_moeIL9ggml_type17ELi2EEvPKvS2_PKiPfj15HIP_vector_typeIjLj3EEjjjjjjjjj,"axG",@progbits,_ZL17mul_mat_vec_q_moeIL9ggml_type17ELi2EEvPKvS2_PKiPfj15HIP_vector_typeIjLj3EEjjjjjjjjj,comdat
.Lfunc_end168:
	.size	_ZL17mul_mat_vec_q_moeIL9ggml_type17ELi2EEvPKvS2_PKiPfj15HIP_vector_typeIjLj3EEjjjjjjjjj, .Lfunc_end168-_ZL17mul_mat_vec_q_moeIL9ggml_type17ELi2EEvPKvS2_PKiPfj15HIP_vector_typeIjLj3EEjjjjjjjjj
                                        ; -- End function
	.section	.AMDGPU.csdata,"",@progbits
; Kernel info:
; codeLenInByte = 4852
; NumSgprs: 35
; NumVgprs: 125
; NumAgprs: 0
; TotalNumVgprs: 125
; ScratchSize: 0
; MemoryBound: 0
; FloatMode: 240
; IeeeMode: 1
; LDSByteSize: 0 bytes/workgroup (compile time only)
; SGPRBlocks: 4
; VGPRBlocks: 15
; NumSGPRsForWavesPerEU: 35
; NumVGPRsForWavesPerEU: 125
; AccumOffset: 128
; Occupancy: 4
; WaveLimiterHint : 1
; COMPUTE_PGM_RSRC2:SCRATCH_EN: 0
; COMPUTE_PGM_RSRC2:USER_SGPR: 2
; COMPUTE_PGM_RSRC2:TRAP_HANDLER: 0
; COMPUTE_PGM_RSRC2:TGID_X_EN: 1
; COMPUTE_PGM_RSRC2:TGID_Y_EN: 1
; COMPUTE_PGM_RSRC2:TGID_Z_EN: 0
; COMPUTE_PGM_RSRC2:TIDIG_COMP_CNT: 1
; COMPUTE_PGM_RSRC3_GFX90A:ACCUM_OFFSET: 31
; COMPUTE_PGM_RSRC3_GFX90A:TG_SPLIT: 0
	.section	.text._ZL13mul_mat_vec_qIL9ggml_type17ELi1ELb1ELb1EEvPKvS2_PKi31ggml_cuda_mm_fusion_args_devicePfj15HIP_vector_typeIjLj3EEjjjS8_jjjS8_jjjj,"axG",@progbits,_ZL13mul_mat_vec_qIL9ggml_type17ELi1ELb1ELb1EEvPKvS2_PKi31ggml_cuda_mm_fusion_args_devicePfj15HIP_vector_typeIjLj3EEjjjS8_jjjS8_jjjj,comdat
	.globl	_ZL13mul_mat_vec_qIL9ggml_type17ELi1ELb1ELb1EEvPKvS2_PKi31ggml_cuda_mm_fusion_args_devicePfj15HIP_vector_typeIjLj3EEjjjS8_jjjS8_jjjj ; -- Begin function _ZL13mul_mat_vec_qIL9ggml_type17ELi1ELb1ELb1EEvPKvS2_PKi31ggml_cuda_mm_fusion_args_devicePfj15HIP_vector_typeIjLj3EEjjjS8_jjjS8_jjjj
	.p2align	8
	.type	_ZL13mul_mat_vec_qIL9ggml_type17ELi1ELb1ELb1EEvPKvS2_PKi31ggml_cuda_mm_fusion_args_devicePfj15HIP_vector_typeIjLj3EEjjjS8_jjjS8_jjjj,@function
_ZL13mul_mat_vec_qIL9ggml_type17ELi1ELb1ELb1EEvPKvS2_PKi31ggml_cuda_mm_fusion_args_devicePfj15HIP_vector_typeIjLj3EEjjjS8_jjjS8_jjjj: ; @_ZL13mul_mat_vec_qIL9ggml_type17ELi1ELb1ELb1EEvPKvS2_PKi31ggml_cuda_mm_fusion_args_devicePfj15HIP_vector_typeIjLj3EEjjjS8_jjjS8_jjjj
; %bb.0:
	s_load_dwordx8 s[16:23], s[2:3], 0x0
	s_load_dwordx4 s[36:39], s[2:3], 0x20
	s_load_dwordx4 s[40:43], s[2:3], 0x40
	s_load_dwordx4 s[24:27], s[2:3], 0x68
	s_mov_b32 s14, s5
	s_waitcnt lgkmcnt(0)
	s_cmp_lg_u64 s[20:21], 0
	s_cselect_b64 s[8:9], -1, 0
	s_cmp_eq_u64 s[20:21], 0
	s_mov_b64 s[10:11], 0
	s_cbranch_scc1 .LBB169_5
; %bb.1:
	s_mov_b32 s15, 0
	s_lshl_b64 s[12:13], s[14:15], 2
	s_add_u32 s12, s20, s12
	s_addc_u32 s13, s21, s13
	s_load_dword s44, s[12:13], 0x0
	s_load_dword s33, s[2:3], 0x50
	s_load_dword s45, s[2:3], 0x78
	s_andn2_b64 vcc, exec, s[10:11]
	s_cbranch_vccnz .LBB169_3
.LBB169_2:
	s_load_dwordx2 s[10:11], s[2:3], 0x5c
	s_waitcnt lgkmcnt(0)
	s_mul_hi_u32 s5, s10, s14
	s_add_i32 s5, s14, s5
	s_lshr_b32 s44, s5, s11
.LBB169_3:
	s_andn2_b64 vcc, exec, s[8:9]
	s_cbranch_vccnz .LBB169_6
; %bb.4:
	s_mul_hi_u32 s5, s41, s14
	s_add_i32 s5, s14, s5
	s_lshr_b32 s5, s5, s42
	s_mul_i32 s5, s5, s43
	s_sub_i32 s41, s14, s5
	s_waitcnt lgkmcnt(0)
	s_mov_b32 s15, s44
	s_branch .LBB169_7
.LBB169_5:
                                        ; implicit-def: $sgpr44
	s_load_dword s33, s[2:3], 0x50
	s_load_dword s45, s[2:3], 0x78
	s_branch .LBB169_2
.LBB169_6:
	s_mov_b32 s15, s14
	s_mov_b32 s41, s14
.LBB169_7:
	s_load_dword s7, s[2:3], 0x58
	s_load_dwordx4 s[28:31], s[2:3], 0x80
	s_lshl_b32 s20, s4, 1
	s_cmp_eq_u64 s[22:23], 0
	v_and_b32_e32 v40, 0x3ff, v0
	v_bfe_u32 v45, v0, 10, 10
	s_cselect_b64 s[8:9], -1, 0
	s_and_b64 vcc, exec, s[8:9]
	v_mov_b32_e32 v41, 0
	v_cmp_gt_u32_e64 s[4:5], 2, v40
	v_cmp_eq_u32_e64 s[10:11], 0, v45
	v_or_b32_e32 v1, s20, v40
	v_mov_b32_e32 v42, 0
	s_cbranch_vccnz .LBB169_11
; %bb.8:
	s_waitcnt lgkmcnt(0)
	v_cmp_gt_u32_e32 vcc, s7, v1
	s_and_b64 s[4:5], s[4:5], vcc
	s_mov_b32 s13, 0
	s_and_b64 s[10:11], s[4:5], s[10:11]
	v_mov_b32_e32 v42, 0
	s_and_saveexec_b64 s[4:5], s[10:11]
	s_cbranch_execz .LBB169_10
; %bb.9:
	s_mul_i32 s12, s6, s30
	s_lshl_b64 s[10:11], s[12:13], 2
	s_add_u32 s21, s22, s10
	s_mul_i32 s12, s15, s26
	s_addc_u32 s22, s23, s11
	s_lshl_b64 s[10:11], s[12:13], 2
	s_add_u32 s12, s21, s10
	s_addc_u32 s13, s22, s11
	s_ashr_i32 s21, s20, 31
	s_lshl_b64 s[10:11], s[20:21], 2
	s_add_u32 s10, s12, s10
	s_addc_u32 s11, s13, s11
	v_lshlrev_b32_e32 v2, 2, v40
	global_load_dword v42, v2, s[10:11]
.LBB169_10:
	s_or_b64 exec, exec, s[4:5]
.LBB169_11:
	s_cmp_lg_u64 s[36:37], 0
	s_cselect_b64 s[34:35], -1, 0
	s_cmp_eq_u64 s[36:37], 0
	s_cselect_b64 s[22:23], -1, 0
	s_cmp_lg_u64 s[38:39], 0
	s_cselect_b64 s[4:5], -1, 0
	s_and_b64 s[10:11], s[4:5], s[34:35]
	s_andn2_b64 vcc, exec, s[10:11]
	s_cbranch_vccnz .LBB169_15
; %bb.12:
	v_cmp_gt_u32_e32 vcc, 2, v40
	s_waitcnt lgkmcnt(0)
	v_cmp_gt_u32_e64 s[12:13], s7, v1
	v_cmp_eq_u32_e64 s[10:11], 0, v45
	s_and_b64 s[12:13], vcc, s[12:13]
	s_mov_b32 s43, 0
	s_and_b64 s[12:13], s[12:13], s[10:11]
	v_mov_b32_e32 v41, 0
	s_and_saveexec_b64 s[10:11], s[12:13]
	s_cbranch_execz .LBB169_14
; %bb.13:
	s_mul_i32 s42, s6, s30
	s_lshl_b64 s[12:13], s[42:43], 2
	s_add_u32 s21, s38, s12
	s_mul_i32 s42, s15, s26
	s_addc_u32 s31, s39, s13
	s_lshl_b64 s[12:13], s[42:43], 2
	s_add_u32 s15, s21, s12
	s_addc_u32 s31, s31, s13
	s_ashr_i32 s21, s20, 31
	s_lshl_b64 s[12:13], s[20:21], 2
	s_add_u32 s12, s15, s12
	s_addc_u32 s13, s31, s13
	v_lshlrev_b32_e32 v1, 2, v40
	global_load_dword v41, v1, s[12:13]
.LBB169_14:
	s_or_b64 exec, exec, s[10:11]
.LBB169_15:
	s_load_dwordx2 s[0:1], s[0:1], 0x4
	v_bfe_u32 v1, v0, 20, 10
	v_lshl_add_u32 v0, v45, 6, v40
	s_lshr_b32 s15, s40, 8
	v_lshrrev_b32_e32 v46, 3, v0
	s_waitcnt lgkmcnt(0)
	s_lshr_b32 s0, s0, 16
	v_mul_u32_u24_e32 v2, s1, v45
	s_mul_i32 s0, s0, s1
	v_mad_u32_u24 v2, s0, v40, v2
	v_add_lshl_u32 v1, v2, v1, 3
	v_add_u32_e32 v44, 0x800, v1
	v_add_u32_e32 v43, 0x400, v1
	v_cndmask_b32_e64 v1, 0, 1, s[34:35]
	v_mov_b32_e32 v50, 0
	v_cmp_gt_u32_e32 vcc, s15, v46
	v_cmp_ne_u32_e64 s[10:11], 1, v1
	v_mov_b32_e32 v47, 0
	v_mov_b32_e32 v49, 0
	;; [unrolled: 1-line block ×3, first 2 shown]
	ds_write2_b32 v44, v50, v50 offset1:1
	ds_write2_b32 v43, v50, v50 offset1:1
	s_and_saveexec_b64 s[0:1], vcc
	s_cbranch_execz .LBB169_23
; %bb.16:
	s_mul_hi_u32 s13, s27, s6
	s_add_i32 s13, s6, s13
	s_lshr_b32 s13, s13, s45
	s_mul_i32 s21, s44, s24
	s_mul_i32 s13, s13, s28
	;; [unrolled: 1-line block ×3, first 2 shown]
	v_lshlrev_b32_e32 v1, 1, v40
	s_add_i32 s27, s13, s21
	s_add_i32 s13, s20, 1
	v_and_b32_e32 v1, 14, v1
	s_mul_i32 s24, s20, s33
	s_mul_i32 s33, s33, s13
	s_mul_hi_u32 s13, s12, 36
	s_mul_i32 s12, s12, 36
	v_lshlrev_b32_e32 v2, 1, v1
	v_lshrrev_b32_e32 v3, 3, v0
	v_mov_b32_e32 v0, s12
	v_mov_b32_e32 v1, s13
	s_movk_i32 s12, 0x120
	s_mul_i32 s29, s6, s29
	v_mad_u64_u32 v[0:1], s[12:13], v3, s12, v[0:1]
	v_and_b32_e32 v10, 7, v40
	v_mad_u64_u32 v[0:1], s[12:13], s29, 36, v[0:1]
	v_mad_u64_u32 v[0:1], s[12:13], v10, 36, v[0:1]
	v_mov_b32_e32 v9, 0
	v_lshl_add_u64 v[0:1], v[0:1], 0, s[18:19]
	v_mov_b32_e32 v11, v9
	s_add_i32 s21, s27, s24
	s_add_i32 s27, s27, s33
	v_lshl_add_u64 v[12:13], v[0:1], 0, 16
	s_mov_b64 s[12:13], 0
	s_movk_i32 s28, 0x4a
	v_mov_b64_e32 v[14:15], s[16:17]
	v_lshlrev_b32_e32 v8, 1, v2
	s_mov_b32 s29, 0x1010101
	s_movk_i32 s31, 0xff00
	s_mov_b64 s[18:19], 0x1200
	v_mov_b32_e32 v51, 8
	v_mov_b32_e32 v52, 6
	;; [unrolled: 1-line block ×6, first 2 shown]
	s_branch .LBB169_18
.LBB169_17:                             ;   in Loop: Header=BB169_18 Depth=1
	v_lshrrev_b16_e32 v36, 9, v28
	v_bcnt_u32_b32 v37, v36, 0
	v_and_b32_e32 v37, 1, v37
	v_lshl_or_b32 v37, v37, 7, v36
	v_mul_lo_u32 v37, v37, s29
	v_and_b32_e32 v38, 0x8000000, v37
	v_lshrrev_b32_e32 v58, 8, v37
	v_lshrrev_b16_e32 v59, 1, v58
	v_cmp_ne_u16_sdwa s[24:25], v38, v9 src0_sel:BYTE_3 src1_sel:DWORD
	v_lshlrev_b16_e32 v39, 6, v28
	v_bfe_i32 v59, v59, 0, 1
	v_lshrrev_b32_e32 v60, 18, v37
	v_cndmask_b32_e64 v38, 0, -1, s[24:25]
	v_ashrrev_i16_e32 v39, 15, v39
	v_bfe_i32 v60, v60, 0, 1
	v_lshlrev_b16_e32 v38, 8, v38
	v_lshlrev_b16_e32 v59, 8, v59
	v_or_b32_sdwa v61, v60, v38 dst_sel:WORD_1 dst_unused:UNUSED_PAD src0_sel:BYTE_0 src1_sel:DWORD
	v_or_b32_sdwa v62, v39, v59 dst_sel:DWORD dst_unused:UNUSED_PAD src0_sel:BYTE_0 src1_sel:DWORD
	v_or_b32_sdwa v61, v62, v61 dst_sel:DWORD dst_unused:UNUSED_PAD src0_sel:WORD_0 src1_sel:DWORD
	s_waitcnt vmcnt(3)
	v_xor_b32_e32 v34, v34, v61
	v_and_b32_e32 v61, 0xffffff00, v34
	v_sub_i16 v59, v61, v59 clamp
	v_lshlrev_b16_e32 v61, 8, v34
	v_lshlrev_b16_e32 v39, 8, v39
	v_and_b32_e32 v59, 0xffffff00, v59
	v_sub_i16 v39, v61, v39 clamp
	v_or_b32_sdwa v39, v39, v59 dst_sel:DWORD dst_unused:UNUSED_PAD src0_sel:BYTE_1 src1_sel:DWORD
	v_and_b32_sdwa v59, v34, s31 dst_sel:DWORD dst_unused:UNUSED_PAD src0_sel:WORD_1 src1_sel:DWORD
	v_sub_i16 v38, v59, v38 clamp
	v_lshlrev_b16_sdwa v34, v51, v34 dst_sel:DWORD dst_unused:UNUSED_PAD src0_sel:DWORD src1_sel:WORD_1
	v_lshlrev_b16_e32 v59, 8, v60
	v_and_b32_e32 v38, 0xffffff00, v38
	v_sub_i16 v34, v34, v59 clamp
	v_or_b32_sdwa v34, v34, v38 dst_sel:WORD_1 dst_unused:UNUSED_PAD src0_sel:BYTE_1 src1_sel:DWORD
	v_and_b32_e32 v38, 0x80000000, v37
	v_or_b32_sdwa v34, v39, v34 dst_sel:DWORD dst_unused:UNUSED_PAD src0_sel:WORD_0 src1_sel:DWORD
	v_lshrrev_b16_e32 v39, 5, v58
	v_cmp_ne_u16_sdwa s[24:25], v38, v9 src0_sel:BYTE_3 src1_sel:DWORD
	v_bfe_i32 v39, v39, 0, 1
	v_lshrrev_b32_e32 v37, 22, v37
	v_cndmask_b32_e64 v38, 0, -1, s[24:25]
	v_bfe_i32 v36, v36, 4, 1
	v_bfe_i32 v37, v37, 0, 1
	v_lshlrev_b16_e32 v38, 8, v38
	v_lshlrev_b16_e32 v39, 8, v39
	v_or_b32_sdwa v58, v37, v38 dst_sel:WORD_1 dst_unused:UNUSED_PAD src0_sel:BYTE_0 src1_sel:DWORD
	v_or_b32_sdwa v59, v36, v39 dst_sel:DWORD dst_unused:UNUSED_PAD src0_sel:BYTE_0 src1_sel:DWORD
	v_or_b32_sdwa v58, v59, v58 dst_sel:DWORD dst_unused:UNUSED_PAD src0_sel:WORD_0 src1_sel:DWORD
	v_xor_b32_e32 v35, v35, v58
	v_and_b32_e32 v58, 0xffffff00, v35
	v_sub_i16 v39, v58, v39 clamp
	v_lshlrev_b16_e32 v58, 8, v35
	v_lshlrev_b16_e32 v36, 8, v36
	v_and_b32_e32 v39, 0xffffff00, v39
	v_sub_i16 v36, v58, v36 clamp
	v_or_b32_sdwa v36, v36, v39 dst_sel:DWORD dst_unused:UNUSED_PAD src0_sel:BYTE_1 src1_sel:DWORD
	v_and_b32_sdwa v39, v35, s31 dst_sel:DWORD dst_unused:UNUSED_PAD src0_sel:WORD_1 src1_sel:DWORD
	v_sub_i16 v38, v39, v38 clamp
	v_lshlrev_b16_sdwa v35, v51, v35 dst_sel:DWORD dst_unused:UNUSED_PAD src0_sel:DWORD src1_sel:WORD_1
	v_lshlrev_b16_e32 v37, 8, v37
	v_and_b32_e32 v38, 0xffffff00, v38
	v_sub_i16 v35, v35, v37 clamp
	v_or_b32_sdwa v35, v35, v38 dst_sel:WORD_1 dst_unused:UNUSED_PAD src0_sel:BYTE_1 src1_sel:DWORD
	v_add_u32_e32 v46, 16, v46
	v_or_b32_sdwa v35, v36, v35 dst_sel:DWORD dst_unused:UNUSED_PAD src0_sel:WORD_0 src1_sel:DWORD
	v_mov_b32_e32 v36, v9
	v_dot4c_i32_i8_e32 v36, v34, v5
	v_lshrrev_b32_e32 v34, 25, v28
	v_dot4c_i32_i8_e32 v36, v35, v6
	v_bcnt_u32_b32 v35, v34, 0
	v_and_b32_e32 v35, 1, v35
	v_alignbit_b32 v35, v35, v28, 25
	v_mul_lo_u32 v35, v35, s29
	v_and_b32_e32 v37, 0x8000000, v35
	v_lshrrev_b32_e32 v38, 8, v35
	v_lshrrev_b16_e32 v39, 1, v38
	v_cmp_ne_u16_sdwa s[24:25], v37, v9 src0_sel:BYTE_3 src1_sel:DWORD
	v_lshlrev_b16_sdwa v28, v52, v28 dst_sel:DWORD dst_unused:UNUSED_PAD src0_sel:DWORD src1_sel:WORD_1
	v_bfe_i32 v39, v39, 0, 1
	v_lshrrev_b32_e32 v58, 18, v35
	v_cndmask_b32_e64 v37, 0, -1, s[24:25]
	v_ashrrev_i16_e32 v28, 15, v28
	v_bfe_i32 v58, v58, 0, 1
	v_lshlrev_b16_e32 v39, 8, v39
	v_lshlrev_b16_e32 v37, 8, v37
	v_or_b32_sdwa v59, v28, v39 dst_sel:DWORD dst_unused:UNUSED_PAD src0_sel:BYTE_0 src1_sel:DWORD
	v_or_b32_sdwa v60, v58, v37 dst_sel:WORD_1 dst_unused:UNUSED_PAD src0_sel:BYTE_0 src1_sel:DWORD
	v_lshlrev_b16_e32 v28, 8, v28
	v_or_b32_sdwa v59, v59, v60 dst_sel:DWORD dst_unused:UNUSED_PAD src0_sel:WORD_0 src1_sel:DWORD
	s_waitcnt vmcnt(2)
	v_xor_b32_e32 v32, v32, v59
	v_and_b32_e32 v59, 0xffffff00, v32
	v_sub_i16 v39, v59, v39 clamp
	v_lshlrev_b16_e32 v59, 8, v32
	v_and_b32_e32 v39, 0xffffff00, v39
	v_sub_i16 v28, v59, v28 clamp
	v_or_b32_sdwa v28, v28, v39 dst_sel:DWORD dst_unused:UNUSED_PAD src0_sel:BYTE_1 src1_sel:DWORD
	v_and_b32_sdwa v39, v32, s31 dst_sel:DWORD dst_unused:UNUSED_PAD src0_sel:WORD_1 src1_sel:DWORD
	v_sub_i16 v37, v39, v37 clamp
	v_lshlrev_b16_sdwa v32, v51, v32 dst_sel:DWORD dst_unused:UNUSED_PAD src0_sel:DWORD src1_sel:WORD_1
	v_lshlrev_b16_e32 v39, 8, v58
	v_and_b32_e32 v37, 0xffffff00, v37
	v_sub_i16 v32, v32, v39 clamp
	v_or_b32_sdwa v32, v32, v37 dst_sel:WORD_1 dst_unused:UNUSED_PAD src0_sel:BYTE_1 src1_sel:DWORD
	v_lshrrev_b16_e32 v37, 5, v38
	v_or_b32_sdwa v28, v28, v32 dst_sel:DWORD dst_unused:UNUSED_PAD src0_sel:WORD_0 src1_sel:DWORD
	v_and_b32_e32 v32, 0x80000000, v35
	v_cmp_ne_u16_sdwa s[24:25], v32, v9 src0_sel:BYTE_3 src1_sel:DWORD
	v_bfe_i32 v37, v37, 0, 1
	v_lshrrev_b32_e32 v35, 22, v35
	v_cndmask_b32_e64 v32, 0, -1, s[24:25]
	v_bfe_i32 v34, v34, 4, 1
	v_bfe_i32 v35, v35, 0, 1
	v_lshlrev_b16_e32 v37, 8, v37
	v_lshlrev_b16_e32 v32, 8, v32
	v_or_b32_sdwa v38, v34, v37 dst_sel:DWORD dst_unused:UNUSED_PAD src0_sel:BYTE_0 src1_sel:DWORD
	v_or_b32_sdwa v39, v35, v32 dst_sel:WORD_1 dst_unused:UNUSED_PAD src0_sel:BYTE_0 src1_sel:DWORD
	v_lshlrev_b16_e32 v34, 8, v34
	v_or_b32_sdwa v38, v38, v39 dst_sel:DWORD dst_unused:UNUSED_PAD src0_sel:WORD_0 src1_sel:DWORD
	v_xor_b32_e32 v33, v33, v38
	v_and_b32_e32 v38, 0xffffff00, v33
	v_sub_i16 v37, v38, v37 clamp
	v_lshlrev_b16_e32 v38, 8, v33
	v_and_b32_e32 v37, 0xffffff00, v37
	v_sub_i16 v34, v38, v34 clamp
	v_or_b32_sdwa v34, v34, v37 dst_sel:DWORD dst_unused:UNUSED_PAD src0_sel:BYTE_1 src1_sel:DWORD
	v_and_b32_sdwa v37, v33, s31 dst_sel:DWORD dst_unused:UNUSED_PAD src0_sel:WORD_1 src1_sel:DWORD
	v_sub_i16 v32, v37, v32 clamp
	v_lshlrev_b16_sdwa v33, v51, v33 dst_sel:DWORD dst_unused:UNUSED_PAD src0_sel:DWORD src1_sel:WORD_1
	v_lshlrev_b16_e32 v35, 8, v35
	v_and_b32_e32 v32, 0xffffff00, v32
	v_sub_i16 v33, v33, v35 clamp
	v_or_b32_sdwa v32, v33, v32 dst_sel:WORD_1 dst_unused:UNUSED_PAD src0_sel:BYTE_1 src1_sel:DWORD
	v_dot4c_i32_i8_e32 v36, v28, v7
	v_or_b32_sdwa v32, v34, v32 dst_sel:DWORD dst_unused:UNUSED_PAD src0_sel:WORD_0 src1_sel:DWORD
	v_lshrrev_b16_e32 v28, 9, v29
	v_dot4c_i32_i8_e32 v36, v32, v0
	v_bcnt_u32_b32 v32, v28, 0
	v_and_b32_e32 v32, 1, v32
	v_lshl_or_b32 v32, v32, 7, v28
	v_mul_lo_u32 v32, v32, s29
	v_and_b32_e32 v33, 0x8000000, v32
	v_lshrrev_b32_e32 v35, 8, v32
	v_lshrrev_b16_e32 v37, 1, v35
	v_cmp_ne_u16_sdwa s[24:25], v33, v9 src0_sel:BYTE_3 src1_sel:DWORD
	v_lshlrev_b16_e32 v34, 6, v29
	v_bfe_i32 v37, v37, 0, 1
	v_lshrrev_b32_e32 v38, 18, v32
	v_cndmask_b32_e64 v33, 0, -1, s[24:25]
	v_ashrrev_i16_e32 v34, 15, v34
	v_bfe_i32 v38, v38, 0, 1
	v_lshlrev_b16_e32 v33, 8, v33
	v_lshlrev_b16_e32 v37, 8, v37
	v_or_b32_sdwa v39, v38, v33 dst_sel:WORD_1 dst_unused:UNUSED_PAD src0_sel:BYTE_0 src1_sel:DWORD
	v_or_b32_sdwa v58, v34, v37 dst_sel:DWORD dst_unused:UNUSED_PAD src0_sel:BYTE_0 src1_sel:DWORD
	v_or_b32_sdwa v39, v58, v39 dst_sel:DWORD dst_unused:UNUSED_PAD src0_sel:WORD_0 src1_sel:DWORD
	s_waitcnt vmcnt(1)
	v_xor_b32_e32 v30, v30, v39
	v_and_b32_e32 v39, 0xffffff00, v30
	v_sub_i16 v37, v39, v37 clamp
	v_lshlrev_b16_e32 v39, 8, v30
	v_lshlrev_b16_e32 v34, 8, v34
	v_and_b32_e32 v37, 0xffffff00, v37
	v_sub_i16 v34, v39, v34 clamp
	v_or_b32_sdwa v34, v34, v37 dst_sel:DWORD dst_unused:UNUSED_PAD src0_sel:BYTE_1 src1_sel:DWORD
	v_and_b32_sdwa v37, v30, s31 dst_sel:DWORD dst_unused:UNUSED_PAD src0_sel:WORD_1 src1_sel:DWORD
	v_sub_i16 v33, v37, v33 clamp
	v_lshlrev_b16_sdwa v30, v51, v30 dst_sel:DWORD dst_unused:UNUSED_PAD src0_sel:DWORD src1_sel:WORD_1
	v_lshlrev_b16_e32 v37, 8, v38
	v_and_b32_e32 v33, 0xffffff00, v33
	v_sub_i16 v30, v30, v37 clamp
	v_or_b32_sdwa v30, v30, v33 dst_sel:WORD_1 dst_unused:UNUSED_PAD src0_sel:BYTE_1 src1_sel:DWORD
	v_and_b32_e32 v33, 0x80000000, v32
	v_or_b32_sdwa v30, v34, v30 dst_sel:DWORD dst_unused:UNUSED_PAD src0_sel:WORD_0 src1_sel:DWORD
	v_lshrrev_b16_e32 v34, 5, v35
	v_cmp_ne_u16_sdwa s[24:25], v33, v9 src0_sel:BYTE_3 src1_sel:DWORD
	v_bfe_i32 v34, v34, 0, 1
	v_lshrrev_b32_e32 v32, 22, v32
	v_cndmask_b32_e64 v33, 0, -1, s[24:25]
	v_bfe_i32 v28, v28, 4, 1
	v_bfe_i32 v32, v32, 0, 1
	v_lshlrev_b16_e32 v33, 8, v33
	v_lshlrev_b16_e32 v34, 8, v34
	v_or_b32_sdwa v35, v32, v33 dst_sel:WORD_1 dst_unused:UNUSED_PAD src0_sel:BYTE_0 src1_sel:DWORD
	v_or_b32_sdwa v37, v28, v34 dst_sel:DWORD dst_unused:UNUSED_PAD src0_sel:BYTE_0 src1_sel:DWORD
	v_or_b32_sdwa v35, v37, v35 dst_sel:DWORD dst_unused:UNUSED_PAD src0_sel:WORD_0 src1_sel:DWORD
	v_xor_b32_e32 v31, v31, v35
	v_and_b32_e32 v35, 0xffffff00, v31
	v_sub_i16 v34, v35, v34 clamp
	v_lshlrev_b16_e32 v35, 8, v31
	v_lshlrev_b16_e32 v28, 8, v28
	v_and_b32_e32 v34, 0xffffff00, v34
	v_sub_i16 v28, v35, v28 clamp
	v_or_b32_sdwa v28, v28, v34 dst_sel:DWORD dst_unused:UNUSED_PAD src0_sel:BYTE_1 src1_sel:DWORD
	v_and_b32_sdwa v34, v31, s31 dst_sel:DWORD dst_unused:UNUSED_PAD src0_sel:WORD_1 src1_sel:DWORD
	v_sub_i16 v33, v34, v33 clamp
	v_lshlrev_b16_sdwa v31, v51, v31 dst_sel:DWORD dst_unused:UNUSED_PAD src0_sel:DWORD src1_sel:WORD_1
	v_lshlrev_b16_e32 v32, 8, v32
	v_and_b32_e32 v33, 0xffffff00, v33
	v_sub_i16 v31, v31, v32 clamp
	v_or_b32_sdwa v31, v31, v33 dst_sel:WORD_1 dst_unused:UNUSED_PAD src0_sel:BYTE_1 src1_sel:DWORD
	v_cmp_le_u32_e32 vcc, s15, v46
	v_or_b32_sdwa v28, v28, v31 dst_sel:DWORD dst_unused:UNUSED_PAD src0_sel:WORD_0 src1_sel:DWORD
	v_mov_b32_e32 v31, v9
	v_dot4c_i32_i8_e32 v31, v30, v1
	v_dot4c_i32_i8_e32 v31, v28, v2
	v_lshrrev_b32_e32 v28, 25, v29
	v_bcnt_u32_b32 v30, v28, 0
	v_and_b32_e32 v30, 1, v30
	v_alignbit_b32 v30, v30, v29, 25
	v_mul_lo_u32 v30, v30, s29
	v_and_b32_e32 v32, 0x8000000, v30
	v_lshrrev_b32_e32 v33, 8, v30
	v_lshrrev_b16_e32 v34, 1, v33
	v_cmp_ne_u16_sdwa s[24:25], v32, v9 src0_sel:BYTE_3 src1_sel:DWORD
	v_lshlrev_b16_sdwa v29, v52, v29 dst_sel:DWORD dst_unused:UNUSED_PAD src0_sel:DWORD src1_sel:WORD_1
	v_bfe_i32 v34, v34, 0, 1
	v_lshrrev_b32_e32 v35, 18, v30
	v_cndmask_b32_e64 v32, 0, -1, s[24:25]
	v_ashrrev_i16_e32 v29, 15, v29
	v_bfe_i32 v35, v35, 0, 1
	v_lshlrev_b16_e32 v34, 8, v34
	v_lshlrev_b16_e32 v32, 8, v32
	v_or_b32_sdwa v37, v29, v34 dst_sel:DWORD dst_unused:UNUSED_PAD src0_sel:BYTE_0 src1_sel:DWORD
	v_or_b32_sdwa v38, v35, v32 dst_sel:WORD_1 dst_unused:UNUSED_PAD src0_sel:BYTE_0 src1_sel:DWORD
	v_lshlrev_b16_e32 v29, 8, v29
	v_or_b32_sdwa v37, v37, v38 dst_sel:DWORD dst_unused:UNUSED_PAD src0_sel:WORD_0 src1_sel:DWORD
	s_waitcnt vmcnt(0)
	v_xor_b32_e32 v26, v26, v37
	v_and_b32_e32 v37, 0xffffff00, v26
	v_sub_i16 v34, v37, v34 clamp
	v_lshlrev_b16_e32 v37, 8, v26
	v_and_b32_e32 v34, 0xffffff00, v34
	v_sub_i16 v29, v37, v29 clamp
	v_or_b32_sdwa v29, v29, v34 dst_sel:DWORD dst_unused:UNUSED_PAD src0_sel:BYTE_1 src1_sel:DWORD
	v_and_b32_sdwa v34, v26, s31 dst_sel:DWORD dst_unused:UNUSED_PAD src0_sel:WORD_1 src1_sel:DWORD
	v_sub_i16 v32, v34, v32 clamp
	v_lshlrev_b16_sdwa v26, v51, v26 dst_sel:DWORD dst_unused:UNUSED_PAD src0_sel:DWORD src1_sel:WORD_1
	v_lshlrev_b16_e32 v34, 8, v35
	v_and_b32_e32 v32, 0xffffff00, v32
	v_sub_i16 v26, v26, v34 clamp
	v_or_b32_sdwa v26, v26, v32 dst_sel:WORD_1 dst_unused:UNUSED_PAD src0_sel:BYTE_1 src1_sel:DWORD
	v_lshrrev_b16_e32 v32, 5, v33
	v_or_b32_sdwa v26, v29, v26 dst_sel:DWORD dst_unused:UNUSED_PAD src0_sel:WORD_0 src1_sel:DWORD
	v_and_b32_e32 v29, 0x80000000, v30
	v_cmp_ne_u16_sdwa s[24:25], v29, v9 src0_sel:BYTE_3 src1_sel:DWORD
	v_bfe_i32 v32, v32, 0, 1
	v_lshrrev_b32_e32 v30, 22, v30
	v_cndmask_b32_e64 v29, 0, -1, s[24:25]
	v_bfe_i32 v28, v28, 4, 1
	v_bfe_i32 v30, v30, 0, 1
	v_lshlrev_b16_e32 v32, 8, v32
	v_lshlrev_b16_e32 v29, 8, v29
	v_or_b32_sdwa v33, v28, v32 dst_sel:DWORD dst_unused:UNUSED_PAD src0_sel:BYTE_0 src1_sel:DWORD
	v_or_b32_sdwa v34, v30, v29 dst_sel:WORD_1 dst_unused:UNUSED_PAD src0_sel:BYTE_0 src1_sel:DWORD
	v_lshlrev_b16_e32 v28, 8, v28
	v_or_b32_sdwa v33, v33, v34 dst_sel:DWORD dst_unused:UNUSED_PAD src0_sel:WORD_0 src1_sel:DWORD
	v_xor_b32_e32 v27, v27, v33
	v_and_b32_e32 v33, 0xffffff00, v27
	v_sub_i16 v32, v33, v32 clamp
	v_lshlrev_b16_e32 v33, 8, v27
	v_and_b32_e32 v32, 0xffffff00, v32
	v_sub_i16 v28, v33, v28 clamp
	v_or_b32_sdwa v28, v28, v32 dst_sel:DWORD dst_unused:UNUSED_PAD src0_sel:BYTE_1 src1_sel:DWORD
	v_and_b32_sdwa v32, v27, s31 dst_sel:DWORD dst_unused:UNUSED_PAD src0_sel:WORD_1 src1_sel:DWORD
	v_sub_i16 v29, v32, v29 clamp
	v_lshlrev_b16_sdwa v27, v51, v27 dst_sel:DWORD dst_unused:UNUSED_PAD src0_sel:DWORD src1_sel:WORD_1
	v_lshlrev_b16_e32 v30, 8, v30
	v_and_b32_e32 v29, 0xffffff00, v29
	v_sub_i16 v27, v27, v30 clamp
	v_or_b32_sdwa v27, v27, v29 dst_sel:WORD_1 dst_unused:UNUSED_PAD src0_sel:BYTE_1 src1_sel:DWORD
	v_dot4c_i32_i8_e32 v31, v26, v3
	v_or_b32_sdwa v27, v28, v27 dst_sel:DWORD dst_unused:UNUSED_PAD src0_sel:WORD_0 src1_sel:DWORD
	v_dot4c_i32_i8_e32 v31, v27, v54
	v_bfe_u32 v26, v56, 4, 4
	v_and_b32_e32 v27, 15, v56
	v_mul_lo_u32 v27, v36, v27
	v_add_u32_e32 v28, v31, v36
	v_lshrrev_b32_e32 v29, 31, v28
	v_add_u32_e32 v28, v28, v29
	v_mul_lo_u32 v26, v31, v26
	v_ashrrev_i32_e32 v28, 1, v28
	v_add3_u32 v26, v26, v27, v28
	v_lshrrev_b16_e32 v28, 9, v18
	v_bcnt_u32_b32 v29, v28, 0
	v_and_b32_e32 v29, 1, v29
	v_lshl_or_b32 v29, v29, 7, v28
	v_mul_lo_u32 v29, v29, s29
	v_and_b32_e32 v30, 0x8000000, v29
	v_lshrrev_b32_e32 v32, 8, v29
	v_lshrrev_b16_e32 v33, 1, v32
	v_cmp_ne_u16_sdwa s[24:25], v30, v9 src0_sel:BYTE_3 src1_sel:DWORD
	v_lshlrev_b16_e32 v31, 6, v18
	v_bfe_i32 v33, v33, 0, 1
	v_lshrrev_b32_e32 v34, 18, v29
	v_cndmask_b32_e64 v30, 0, -1, s[24:25]
	v_ashrrev_i16_e32 v31, 15, v31
	v_bfe_i32 v34, v34, 0, 1
	v_lshlrev_b16_e32 v30, 8, v30
	v_lshlrev_b16_e32 v33, 8, v33
	v_or_b32_sdwa v35, v34, v30 dst_sel:WORD_1 dst_unused:UNUSED_PAD src0_sel:BYTE_0 src1_sel:DWORD
	v_or_b32_sdwa v36, v31, v33 dst_sel:DWORD dst_unused:UNUSED_PAD src0_sel:BYTE_0 src1_sel:DWORD
	v_or_b32_sdwa v35, v36, v35 dst_sel:DWORD dst_unused:UNUSED_PAD src0_sel:WORD_0 src1_sel:DWORD
	v_xor_b32_e32 v24, v24, v35
	v_and_b32_e32 v35, 0xffffff00, v24
	v_sub_i16 v33, v35, v33 clamp
	v_lshlrev_b16_e32 v35, 8, v24
	v_lshlrev_b16_e32 v31, 8, v31
	v_and_b32_e32 v33, 0xffffff00, v33
	v_sub_i16 v31, v35, v31 clamp
	v_or_b32_sdwa v31, v31, v33 dst_sel:DWORD dst_unused:UNUSED_PAD src0_sel:BYTE_1 src1_sel:DWORD
	v_and_b32_sdwa v33, v24, s31 dst_sel:DWORD dst_unused:UNUSED_PAD src0_sel:WORD_1 src1_sel:DWORD
	v_sub_i16 v30, v33, v30 clamp
	v_lshlrev_b16_sdwa v24, v51, v24 dst_sel:DWORD dst_unused:UNUSED_PAD src0_sel:DWORD src1_sel:WORD_1
	v_lshlrev_b16_e32 v33, 8, v34
	v_and_b32_e32 v30, 0xffffff00, v30
	v_sub_i16 v24, v24, v33 clamp
	v_or_b32_sdwa v24, v24, v30 dst_sel:WORD_1 dst_unused:UNUSED_PAD src0_sel:BYTE_1 src1_sel:DWORD
	v_and_b32_e32 v30, 0x80000000, v29
	v_or_b32_sdwa v24, v31, v24 dst_sel:DWORD dst_unused:UNUSED_PAD src0_sel:WORD_0 src1_sel:DWORD
	v_lshrrev_b16_e32 v31, 5, v32
	v_cmp_ne_u16_sdwa s[24:25], v30, v9 src0_sel:BYTE_3 src1_sel:DWORD
	v_bfe_i32 v31, v31, 0, 1
	v_lshrrev_b32_e32 v29, 22, v29
	v_cndmask_b32_e64 v30, 0, -1, s[24:25]
	v_bfe_i32 v28, v28, 4, 1
	v_bfe_i32 v29, v29, 0, 1
	v_lshlrev_b16_e32 v30, 8, v30
	v_lshlrev_b16_e32 v31, 8, v31
	v_or_b32_sdwa v32, v29, v30 dst_sel:WORD_1 dst_unused:UNUSED_PAD src0_sel:BYTE_0 src1_sel:DWORD
	v_or_b32_sdwa v33, v28, v31 dst_sel:DWORD dst_unused:UNUSED_PAD src0_sel:BYTE_0 src1_sel:DWORD
	v_or_b32_sdwa v32, v33, v32 dst_sel:DWORD dst_unused:UNUSED_PAD src0_sel:WORD_0 src1_sel:DWORD
	v_xor_b32_e32 v25, v25, v32
	v_and_b32_e32 v32, 0xffffff00, v25
	v_sub_i16 v31, v32, v31 clamp
	v_lshlrev_b16_e32 v32, 8, v25
	v_lshlrev_b16_e32 v28, 8, v28
	v_and_b32_e32 v31, 0xffffff00, v31
	v_sub_i16 v28, v32, v28 clamp
	v_or_b32_sdwa v28, v28, v31 dst_sel:DWORD dst_unused:UNUSED_PAD src0_sel:BYTE_1 src1_sel:DWORD
	v_and_b32_sdwa v31, v25, s31 dst_sel:DWORD dst_unused:UNUSED_PAD src0_sel:WORD_1 src1_sel:DWORD
	v_sub_i16 v30, v31, v30 clamp
	v_lshlrev_b16_sdwa v25, v51, v25 dst_sel:DWORD dst_unused:UNUSED_PAD src0_sel:DWORD src1_sel:WORD_1
	v_lshlrev_b16_e32 v29, 8, v29
	v_and_b32_e32 v30, 0xffffff00, v30
	v_sub_i16 v25, v25, v29 clamp
	v_or_b32_sdwa v25, v25, v30 dst_sel:WORD_1 dst_unused:UNUSED_PAD src0_sel:BYTE_1 src1_sel:DWORD
	v_ashrrev_i32_e32 v27, 31, v26
	v_or_b32_sdwa v25, v28, v25 dst_sel:DWORD dst_unused:UNUSED_PAD src0_sel:WORD_0 src1_sel:DWORD
	v_mov_b32_e32 v28, v9
	v_dot4c_i32_i8_e32 v28, v24, v5
	v_lshrrev_b32_e32 v5, 25, v18
	v_dot4c_i32_i8_e32 v28, v25, v6
	v_bcnt_u32_b32 v6, v5, 0
	v_and_b32_e32 v6, 1, v6
	v_alignbit_b32 v6, v6, v18, 25
	v_mul_lo_u32 v6, v6, s29
	v_and_b32_e32 v24, 0x8000000, v6
	v_lshrrev_b32_e32 v25, 8, v6
	v_lshrrev_b16_e32 v29, 1, v25
	v_cmp_ne_u16_sdwa s[24:25], v24, v9 src0_sel:BYTE_3 src1_sel:DWORD
	v_lshlrev_b16_sdwa v18, v52, v18 dst_sel:DWORD dst_unused:UNUSED_PAD src0_sel:DWORD src1_sel:WORD_1
	v_bfe_i32 v29, v29, 0, 1
	v_lshrrev_b32_e32 v30, 18, v6
	v_cndmask_b32_e64 v24, 0, -1, s[24:25]
	v_ashrrev_i16_e32 v18, 15, v18
	v_bfe_i32 v30, v30, 0, 1
	v_lshlrev_b16_e32 v29, 8, v29
	v_lshlrev_b16_e32 v24, 8, v24
	v_or_b32_sdwa v31, v18, v29 dst_sel:DWORD dst_unused:UNUSED_PAD src0_sel:BYTE_0 src1_sel:DWORD
	v_or_b32_sdwa v32, v30, v24 dst_sel:WORD_1 dst_unused:UNUSED_PAD src0_sel:BYTE_0 src1_sel:DWORD
	v_lshlrev_b16_e32 v18, 8, v18
	v_or_b32_sdwa v31, v31, v32 dst_sel:DWORD dst_unused:UNUSED_PAD src0_sel:WORD_0 src1_sel:DWORD
	v_xor_b32_e32 v22, v22, v31
	v_and_b32_e32 v31, 0xffffff00, v22
	v_sub_i16 v29, v31, v29 clamp
	v_lshlrev_b16_e32 v31, 8, v22
	v_and_b32_e32 v29, 0xffffff00, v29
	v_sub_i16 v18, v31, v18 clamp
	v_or_b32_sdwa v18, v18, v29 dst_sel:DWORD dst_unused:UNUSED_PAD src0_sel:BYTE_1 src1_sel:DWORD
	v_and_b32_sdwa v29, v22, s31 dst_sel:DWORD dst_unused:UNUSED_PAD src0_sel:WORD_1 src1_sel:DWORD
	v_sub_i16 v24, v29, v24 clamp
	v_lshlrev_b16_sdwa v22, v51, v22 dst_sel:DWORD dst_unused:UNUSED_PAD src0_sel:DWORD src1_sel:WORD_1
	v_lshlrev_b16_e32 v29, 8, v30
	v_and_b32_e32 v24, 0xffffff00, v24
	v_sub_i16 v22, v22, v29 clamp
	v_or_b32_sdwa v22, v22, v24 dst_sel:WORD_1 dst_unused:UNUSED_PAD src0_sel:BYTE_1 src1_sel:DWORD
	v_lshrrev_b16_e32 v24, 5, v25
	v_or_b32_sdwa v18, v18, v22 dst_sel:DWORD dst_unused:UNUSED_PAD src0_sel:WORD_0 src1_sel:DWORD
	v_and_b32_e32 v22, 0x80000000, v6
	v_cmp_ne_u16_sdwa s[24:25], v22, v9 src0_sel:BYTE_3 src1_sel:DWORD
	v_bfe_i32 v24, v24, 0, 1
	v_lshrrev_b32_e32 v6, 22, v6
	v_cndmask_b32_e64 v22, 0, -1, s[24:25]
	v_bfe_i32 v5, v5, 4, 1
	v_bfe_i32 v6, v6, 0, 1
	v_lshlrev_b16_e32 v24, 8, v24
	v_lshlrev_b16_e32 v22, 8, v22
	v_or_b32_sdwa v25, v5, v24 dst_sel:DWORD dst_unused:UNUSED_PAD src0_sel:BYTE_0 src1_sel:DWORD
	v_or_b32_sdwa v29, v6, v22 dst_sel:WORD_1 dst_unused:UNUSED_PAD src0_sel:BYTE_0 src1_sel:DWORD
	v_lshlrev_b16_e32 v5, 8, v5
	v_or_b32_sdwa v25, v25, v29 dst_sel:DWORD dst_unused:UNUSED_PAD src0_sel:WORD_0 src1_sel:DWORD
	v_xor_b32_e32 v23, v23, v25
	v_and_b32_e32 v25, 0xffffff00, v23
	v_sub_i16 v24, v25, v24 clamp
	v_lshlrev_b16_e32 v25, 8, v23
	v_and_b32_e32 v24, 0xffffff00, v24
	v_sub_i16 v5, v25, v5 clamp
	v_or_b32_sdwa v5, v5, v24 dst_sel:DWORD dst_unused:UNUSED_PAD src0_sel:BYTE_1 src1_sel:DWORD
	v_and_b32_sdwa v24, v23, s31 dst_sel:DWORD dst_unused:UNUSED_PAD src0_sel:WORD_1 src1_sel:DWORD
	v_sub_i16 v22, v24, v22 clamp
	v_lshlrev_b16_sdwa v23, v51, v23 dst_sel:DWORD dst_unused:UNUSED_PAD src0_sel:DWORD src1_sel:WORD_1
	v_lshlrev_b16_e32 v6, 8, v6
	v_and_b32_e32 v22, 0xffffff00, v22
	v_sub_i16 v6, v23, v6 clamp
	v_or_b32_sdwa v6, v6, v22 dst_sel:WORD_1 dst_unused:UNUSED_PAD src0_sel:BYTE_1 src1_sel:DWORD
	v_dot4c_i32_i8_e32 v28, v18, v7
	v_or_b32_sdwa v5, v5, v6 dst_sel:DWORD dst_unused:UNUSED_PAD src0_sel:WORD_0 src1_sel:DWORD
	v_dot4c_i32_i8_e32 v28, v5, v0
	v_lshrrev_b16_e32 v0, 9, v19
	v_bcnt_u32_b32 v5, v0, 0
	v_and_b32_e32 v5, 1, v5
	v_lshl_or_b32 v5, v5, 7, v0
	v_mul_lo_u32 v5, v5, s29
	v_and_b32_e32 v6, 0x8000000, v5
	v_lshrrev_b32_e32 v18, 8, v5
	v_lshrrev_b16_e32 v22, 1, v18
	v_cmp_ne_u16_sdwa s[24:25], v6, v9 src0_sel:BYTE_3 src1_sel:DWORD
	v_lshlrev_b16_e32 v7, 6, v19
	v_bfe_i32 v22, v22, 0, 1
	v_lshrrev_b32_e32 v23, 18, v5
	v_cndmask_b32_e64 v6, 0, -1, s[24:25]
	v_ashrrev_i16_e32 v7, 15, v7
	v_bfe_i32 v23, v23, 0, 1
	v_lshlrev_b16_e32 v6, 8, v6
	v_lshlrev_b16_e32 v22, 8, v22
	v_or_b32_sdwa v24, v23, v6 dst_sel:WORD_1 dst_unused:UNUSED_PAD src0_sel:BYTE_0 src1_sel:DWORD
	v_or_b32_sdwa v25, v7, v22 dst_sel:DWORD dst_unused:UNUSED_PAD src0_sel:BYTE_0 src1_sel:DWORD
	v_or_b32_sdwa v24, v25, v24 dst_sel:DWORD dst_unused:UNUSED_PAD src0_sel:WORD_0 src1_sel:DWORD
	v_xor_b32_e32 v20, v20, v24
	v_and_b32_e32 v24, 0xffffff00, v20
	v_sub_i16 v22, v24, v22 clamp
	v_lshlrev_b16_e32 v24, 8, v20
	v_lshlrev_b16_e32 v7, 8, v7
	v_and_b32_e32 v22, 0xffffff00, v22
	v_sub_i16 v7, v24, v7 clamp
	v_or_b32_sdwa v7, v7, v22 dst_sel:DWORD dst_unused:UNUSED_PAD src0_sel:BYTE_1 src1_sel:DWORD
	v_and_b32_sdwa v22, v20, s31 dst_sel:DWORD dst_unused:UNUSED_PAD src0_sel:WORD_1 src1_sel:DWORD
	v_sub_i16 v6, v22, v6 clamp
	v_lshlrev_b16_sdwa v20, v51, v20 dst_sel:DWORD dst_unused:UNUSED_PAD src0_sel:DWORD src1_sel:WORD_1
	v_lshlrev_b16_e32 v22, 8, v23
	v_and_b32_e32 v6, 0xffffff00, v6
	v_sub_i16 v20, v20, v22 clamp
	v_or_b32_sdwa v6, v20, v6 dst_sel:WORD_1 dst_unused:UNUSED_PAD src0_sel:BYTE_1 src1_sel:DWORD
	v_lshrrev_b16_e32 v18, 5, v18
	v_or_b32_sdwa v6, v7, v6 dst_sel:DWORD dst_unused:UNUSED_PAD src0_sel:WORD_0 src1_sel:DWORD
	v_and_b32_e32 v7, 0x80000000, v5
	v_cmp_ne_u16_sdwa s[24:25], v7, v9 src0_sel:BYTE_3 src1_sel:DWORD
	v_bfe_i32 v18, v18, 0, 1
	v_lshrrev_b32_e32 v5, 22, v5
	v_cndmask_b32_e64 v7, 0, -1, s[24:25]
	v_bfe_i32 v0, v0, 4, 1
	v_bfe_i32 v5, v5, 0, 1
	v_lshlrev_b16_e32 v7, 8, v7
	v_lshlrev_b16_e32 v18, 8, v18
	v_or_b32_sdwa v20, v5, v7 dst_sel:WORD_1 dst_unused:UNUSED_PAD src0_sel:BYTE_0 src1_sel:DWORD
	v_or_b32_sdwa v22, v0, v18 dst_sel:DWORD dst_unused:UNUSED_PAD src0_sel:BYTE_0 src1_sel:DWORD
	v_or_b32_sdwa v20, v22, v20 dst_sel:DWORD dst_unused:UNUSED_PAD src0_sel:WORD_0 src1_sel:DWORD
	v_xor_b32_e32 v20, v21, v20
	v_and_b32_e32 v21, 0xffffff00, v20
	v_sub_i16 v18, v21, v18 clamp
	v_lshlrev_b16_e32 v21, 8, v20
	v_lshlrev_b16_e32 v0, 8, v0
	v_and_b32_e32 v18, 0xffffff00, v18
	v_sub_i16 v0, v21, v0 clamp
	v_or_b32_sdwa v0, v0, v18 dst_sel:DWORD dst_unused:UNUSED_PAD src0_sel:BYTE_1 src1_sel:DWORD
	v_and_b32_sdwa v18, v20, s31 dst_sel:DWORD dst_unused:UNUSED_PAD src0_sel:WORD_1 src1_sel:DWORD
	v_sub_i16 v7, v18, v7 clamp
	v_lshlrev_b16_sdwa v18, v51, v20 dst_sel:DWORD dst_unused:UNUSED_PAD src0_sel:DWORD src1_sel:WORD_1
	v_lshlrev_b16_e32 v5, 8, v5
	v_and_b32_e32 v7, 0xffffff00, v7
	v_sub_i16 v5, v18, v5 clamp
	v_or_b32_sdwa v5, v5, v7 dst_sel:WORD_1 dst_unused:UNUSED_PAD src0_sel:BYTE_1 src1_sel:DWORD
	v_lshrrev_b32_e32 v27, 30, v27
	v_or_b32_sdwa v0, v0, v5 dst_sel:DWORD dst_unused:UNUSED_PAD src0_sel:WORD_0 src1_sel:DWORD
	v_mov_b32_e32 v5, v9
	v_dot4c_i32_i8_e32 v5, v6, v1
	v_dot4c_i32_i8_e32 v5, v0, v2
	v_lshrrev_b32_e32 v0, 25, v19
	v_bcnt_u32_b32 v1, v0, 0
	v_and_b32_e32 v1, 1, v1
	v_alignbit_b32 v1, v1, v19, 25
	v_mul_lo_u32 v1, v1, s29
	v_and_b32_e32 v2, 0x8000000, v1
	v_lshrrev_b32_e32 v7, 8, v1
	v_lshrrev_b16_e32 v18, 1, v7
	v_cmp_ne_u16_sdwa s[24:25], v2, v9 src0_sel:BYTE_3 src1_sel:DWORD
	v_lshlrev_b16_sdwa v6, v52, v19 dst_sel:DWORD dst_unused:UNUSED_PAD src0_sel:DWORD src1_sel:WORD_1
	v_bfe_i32 v18, v18, 0, 1
	v_lshrrev_b32_e32 v19, 18, v1
	v_cndmask_b32_e64 v2, 0, -1, s[24:25]
	v_ashrrev_i16_e32 v6, 15, v6
	v_bfe_i32 v19, v19, 0, 1
	v_lshlrev_b16_e32 v18, 8, v18
	v_lshlrev_b16_e32 v2, 8, v2
	v_or_b32_sdwa v20, v6, v18 dst_sel:DWORD dst_unused:UNUSED_PAD src0_sel:BYTE_0 src1_sel:DWORD
	v_or_b32_sdwa v21, v19, v2 dst_sel:WORD_1 dst_unused:UNUSED_PAD src0_sel:BYTE_0 src1_sel:DWORD
	v_lshlrev_b16_e32 v6, 8, v6
	v_or_b32_sdwa v20, v20, v21 dst_sel:DWORD dst_unused:UNUSED_PAD src0_sel:WORD_0 src1_sel:DWORD
	v_xor_b32_e32 v16, v16, v20
	v_and_b32_e32 v20, 0xffffff00, v16
	v_sub_i16 v18, v20, v18 clamp
	v_lshlrev_b16_e32 v20, 8, v16
	v_and_b32_e32 v18, 0xffffff00, v18
	v_sub_i16 v6, v20, v6 clamp
	v_or_b32_sdwa v6, v6, v18 dst_sel:DWORD dst_unused:UNUSED_PAD src0_sel:BYTE_1 src1_sel:DWORD
	v_and_b32_sdwa v18, v16, s31 dst_sel:DWORD dst_unused:UNUSED_PAD src0_sel:WORD_1 src1_sel:DWORD
	v_sub_i16 v2, v18, v2 clamp
	v_lshlrev_b16_sdwa v16, v51, v16 dst_sel:DWORD dst_unused:UNUSED_PAD src0_sel:DWORD src1_sel:WORD_1
	v_lshlrev_b16_e32 v18, 8, v19
	v_and_b32_e32 v2, 0xffffff00, v2
	v_sub_i16 v16, v16, v18 clamp
	v_or_b32_sdwa v2, v16, v2 dst_sel:WORD_1 dst_unused:UNUSED_PAD src0_sel:BYTE_1 src1_sel:DWORD
	v_lshrrev_b16_e32 v7, 5, v7
	v_or_b32_sdwa v2, v6, v2 dst_sel:DWORD dst_unused:UNUSED_PAD src0_sel:WORD_0 src1_sel:DWORD
	v_and_b32_e32 v6, 0x80000000, v1
	v_cmp_ne_u16_sdwa s[24:25], v6, v9 src0_sel:BYTE_3 src1_sel:DWORD
	v_bfe_i32 v7, v7, 0, 1
	v_lshrrev_b32_e32 v1, 22, v1
	v_cndmask_b32_e64 v6, 0, -1, s[24:25]
	v_bfe_i32 v0, v0, 4, 1
	v_bfe_i32 v1, v1, 0, 1
	v_lshlrev_b16_e32 v7, 8, v7
	v_lshlrev_b16_e32 v6, 8, v6
	v_or_b32_sdwa v16, v0, v7 dst_sel:DWORD dst_unused:UNUSED_PAD src0_sel:BYTE_0 src1_sel:DWORD
	v_or_b32_sdwa v18, v1, v6 dst_sel:WORD_1 dst_unused:UNUSED_PAD src0_sel:BYTE_0 src1_sel:DWORD
	v_lshlrev_b16_e32 v0, 8, v0
	v_or_b32_sdwa v16, v16, v18 dst_sel:DWORD dst_unused:UNUSED_PAD src0_sel:WORD_0 src1_sel:DWORD
	v_xor_b32_e32 v16, v17, v16
	v_and_b32_e32 v17, 0xffffff00, v16
	v_sub_i16 v7, v17, v7 clamp
	v_lshlrev_b16_e32 v17, 8, v16
	v_and_b32_e32 v7, 0xffffff00, v7
	v_sub_i16 v0, v17, v0 clamp
	v_or_b32_sdwa v0, v0, v7 dst_sel:DWORD dst_unused:UNUSED_PAD src0_sel:BYTE_1 src1_sel:DWORD
	v_and_b32_sdwa v7, v16, s31 dst_sel:DWORD dst_unused:UNUSED_PAD src0_sel:WORD_1 src1_sel:DWORD
	v_sub_i16 v6, v7, v6 clamp
	v_lshlrev_b16_sdwa v7, v51, v16 dst_sel:DWORD dst_unused:UNUSED_PAD src0_sel:DWORD src1_sel:WORD_1
	v_lshlrev_b16_e32 v1, 8, v1
	v_and_b32_e32 v6, 0xffffff00, v6
	v_sub_i16 v1, v7, v1 clamp
	v_or_b32_sdwa v1, v1, v6 dst_sel:WORD_1 dst_unused:UNUSED_PAD src0_sel:BYTE_1 src1_sel:DWORD
	v_dot4c_i32_i8_e32 v5, v2, v3
	v_or_b32_sdwa v0, v0, v1 dst_sel:DWORD dst_unused:UNUSED_PAD src0_sel:WORD_0 src1_sel:DWORD
	v_dot4c_i32_i8_e32 v5, v0, v54
	v_bfe_u32 v0, v53, 4, 4
	v_and_b32_e32 v1, 15, v53
	v_mul_lo_u32 v1, v28, v1
	v_add_u32_e32 v2, v5, v28
	v_lshrrev_b32_e32 v3, 31, v2
	v_add_u32_e32 v2, v2, v3
	v_mul_lo_u32 v0, v5, v0
	v_ashrrev_i32_e32 v2, 1, v2
	v_add3_u32 v0, v0, v1, v2
	v_ashrrev_i32_e32 v1, 31, v0
	v_lshrrev_b32_e32 v1, 30, v1
	v_add_u32_e32 v26, v26, v27
	v_add_u32_e32 v0, v0, v1
	v_ashrrev_i32_e32 v26, 2, v26
	v_cvt_f32_f16_e32 v27, v57
	v_ashrrev_i32_e32 v0, 2, v0
	v_cvt_f32_f16_e32 v1, v55
	v_cvt_f32_i32_e32 v26, v26
	v_cvt_f32_i32_e32 v0, v0
	v_mul_f32_e32 v2, v27, v4
	v_mul_f32_e32 v1, v1, v4
	v_fmac_f32_e32 v47, v2, v26
	v_fmac_f32_e32 v50, v1, v0
	s_or_b64 s[12:13], vcc, s[12:13]
	v_lshl_add_u64 v[12:13], v[12:13], 0, s[18:19]
	s_andn2_b64 exec, exec, s[12:13]
	s_cbranch_execz .LBB169_22
.LBB169_18:                             ; =>This Inner Loop Header: Depth=1
	v_add_u32_e32 v26, s21, v46
	v_mad_i64_i32 v[16:17], s[24:25], v26, s28, v[14:15]
	v_lshl_add_u64 v[0:1], v[16:17], 0, v[8:9]
	global_load_dwordx2 v[18:19], v[0:1], off offset:2
	v_lshl_add_u64 v[20:21], v[16:17], 0, v[10:11]
	global_load_ubyte v53, v[20:21], off offset:66
	global_load_dwordx4 v[4:7], v[12:13], off offset:-16
	global_load_dwordx4 v[0:3], v[12:13], off
	global_load_dword v54, v[12:13], off offset:16
	global_load_ushort v55, v[16:17], off
	s_getpc_b64 s[24:25]
	s_add_u32 s24, s24, _ZL10iq2xs_grid@rel32@lo+4
	s_addc_u32 s25, s25, _ZL10iq2xs_grid@rel32@hi+12
	s_and_b64 vcc, exec, s[10:11]
	s_waitcnt vmcnt(3)
	v_cvt_f32_f16_e32 v4, v4
	v_and_b32_e32 v16, 0x1ff01ff, v18
	v_and_b32_e32 v17, 0x1ff01ff, v19
	;; [unrolled: 1-line block ×3, first 2 shown]
	v_lshrrev_b32_e32 v27, 13, v16
	v_and_b32_e32 v16, 0x1ff, v17
	v_lshlrev_b32_e32 v29, 3, v20
	v_lshrrev_b32_e32 v28, 13, v17
	v_lshlrev_b32_e32 v30, 3, v16
	global_load_dwordx2 v[24:25], v29, s[24:25]
	global_load_dwordx2 v[22:23], v27, s[24:25]
	;; [unrolled: 1-line block ×4, first 2 shown]
	s_cbranch_vccnz .LBB169_20
; %bb.19:                               ;   in Loop: Header=BB169_18 Depth=1
	v_mov_b64_e32 v[28:29], s[36:37]
	v_mad_i64_i32 v[26:27], s[34:35], v26, s28, v[28:29]
	v_lshl_add_u64 v[32:33], v[26:27], 0, v[10:11]
	v_lshl_add_u64 v[30:31], v[26:27], 0, v[8:9]
	global_load_ubyte v34, v[32:33], off offset:66
	global_load_dwordx2 v[28:29], v[30:31], off offset:2
	s_waitcnt vmcnt(0)
	v_and_b32_e32 v32, 0x1ff01ff, v28
	v_and_b32_e32 v30, 0x1ff, v32
	v_lshlrev_b32_e32 v30, 3, v30
	global_load_dwordx2 v[30:31], v30, s[24:25]
	v_lshrrev_b16_e32 v33, 9, v28
	v_bcnt_u32_b32 v35, v33, 0
	v_and_b32_e32 v35, 1, v35
	v_lshl_or_b32 v35, v35, 7, v33
	v_mul_lo_u32 v35, v35, s29
	v_and_b32_e32 v36, 0x8000000, v35
	v_lshrrev_b32_e32 v38, 8, v35
	v_lshrrev_b16_e32 v39, 1, v38
	v_cmp_ne_u16_sdwa s[34:35], v36, v9 src0_sel:BYTE_3 src1_sel:DWORD
	v_lshlrev_b16_e32 v37, 6, v28
	v_bfe_i32 v39, v39, 0, 1
	v_lshrrev_b32_e32 v56, 18, v35
	v_cndmask_b32_e64 v36, 0, -1, s[34:35]
	v_ashrrev_i16_e32 v37, 15, v37
	v_bfe_i32 v56, v56, 0, 1
	v_lshlrev_b16_e32 v36, 8, v36
	v_lshlrev_b16_e32 v39, 8, v39
	v_or_b32_sdwa v57, v56, v36 dst_sel:WORD_1 dst_unused:UNUSED_PAD src0_sel:BYTE_0 src1_sel:DWORD
	v_or_b32_sdwa v58, v37, v39 dst_sel:DWORD dst_unused:UNUSED_PAD src0_sel:BYTE_0 src1_sel:DWORD
	v_or_b32_sdwa v57, v58, v57 dst_sel:DWORD dst_unused:UNUSED_PAD src0_sel:WORD_0 src1_sel:DWORD
	v_lshlrev_b16_e32 v37, 8, v37
	v_bfe_i32 v33, v33, 4, 1
	global_load_ushort v26, v[26:27], off
	s_waitcnt vmcnt(1)
	v_xor_b32_e32 v30, v30, v57
	v_and_b32_e32 v57, 0xffffff00, v30
	v_sub_i16 v39, v57, v39 clamp
	v_lshlrev_b16_e32 v57, 8, v30
	v_and_b32_e32 v39, 0xffffff00, v39
	v_sub_i16 v37, v57, v37 clamp
	v_or_b32_sdwa v37, v37, v39 dst_sel:DWORD dst_unused:UNUSED_PAD src0_sel:BYTE_1 src1_sel:DWORD
	v_and_b32_sdwa v39, v30, s31 dst_sel:DWORD dst_unused:UNUSED_PAD src0_sel:WORD_1 src1_sel:DWORD
	v_sub_i16 v36, v39, v36 clamp
	v_lshlrev_b16_sdwa v30, v51, v30 dst_sel:DWORD dst_unused:UNUSED_PAD src0_sel:DWORD src1_sel:WORD_1
	v_lshlrev_b16_e32 v39, 8, v56
	v_and_b32_e32 v36, 0xffffff00, v36
	v_sub_i16 v30, v30, v39 clamp
	v_or_b32_sdwa v30, v30, v36 dst_sel:WORD_1 dst_unused:UNUSED_PAD src0_sel:BYTE_1 src1_sel:DWORD
	v_and_b32_e32 v36, 0x80000000, v35
	v_or_b32_sdwa v30, v37, v30 dst_sel:DWORD dst_unused:UNUSED_PAD src0_sel:WORD_0 src1_sel:DWORD
	v_lshrrev_b16_e32 v37, 5, v38
	v_cmp_ne_u16_sdwa s[34:35], v36, v9 src0_sel:BYTE_3 src1_sel:DWORD
	v_bfe_i32 v37, v37, 0, 1
	v_lshrrev_b32_e32 v35, 22, v35
	v_cndmask_b32_e64 v36, 0, -1, s[34:35]
	v_bfe_i32 v35, v35, 0, 1
	v_lshlrev_b16_e32 v36, 8, v36
	v_lshlrev_b16_e32 v37, 8, v37
	v_or_b32_sdwa v38, v35, v36 dst_sel:WORD_1 dst_unused:UNUSED_PAD src0_sel:BYTE_0 src1_sel:DWORD
	v_or_b32_sdwa v39, v33, v37 dst_sel:DWORD dst_unused:UNUSED_PAD src0_sel:BYTE_0 src1_sel:DWORD
	v_or_b32_sdwa v38, v39, v38 dst_sel:DWORD dst_unused:UNUSED_PAD src0_sel:WORD_0 src1_sel:DWORD
	v_xor_b32_e32 v31, v31, v38
	v_and_b32_e32 v38, 0xffffff00, v31
	v_sub_i16 v37, v38, v37 clamp
	v_lshlrev_b16_e32 v38, 8, v31
	v_lshlrev_b16_e32 v33, 8, v33
	v_and_b32_e32 v37, 0xffffff00, v37
	v_sub_i16 v33, v38, v33 clamp
	v_or_b32_sdwa v33, v33, v37 dst_sel:DWORD dst_unused:UNUSED_PAD src0_sel:BYTE_1 src1_sel:DWORD
	v_and_b32_sdwa v37, v31, s31 dst_sel:DWORD dst_unused:UNUSED_PAD src0_sel:WORD_1 src1_sel:DWORD
	v_sub_i16 v36, v37, v36 clamp
	v_lshlrev_b16_sdwa v31, v51, v31 dst_sel:DWORD dst_unused:UNUSED_PAD src0_sel:DWORD src1_sel:WORD_1
	v_lshlrev_b16_e32 v35, 8, v35
	v_and_b32_e32 v36, 0xffffff00, v36
	v_sub_i16 v31, v31, v35 clamp
	v_or_b32_sdwa v31, v31, v36 dst_sel:WORD_1 dst_unused:UNUSED_PAD src0_sel:BYTE_1 src1_sel:DWORD
	s_waitcnt vmcnt(0)
	v_cvt_f32_f16_e32 v26, v26
	v_or_b32_sdwa v31, v33, v31 dst_sel:DWORD dst_unused:UNUSED_PAD src0_sel:WORD_0 src1_sel:DWORD
	v_mov_b32_e32 v33, v9
	v_dot4c_i32_i8_e32 v33, v30, v5
	v_lshrrev_b32_e32 v30, 13, v32
	v_dot4c_i32_i8_e32 v33, v31, v6
	global_load_dwordx2 v[30:31], v30, s[24:25]
	v_lshrrev_b32_e32 v32, 25, v28
	v_bcnt_u32_b32 v35, v32, 0
	v_and_b32_e32 v35, 1, v35
	v_alignbit_b32 v35, v35, v28, 25
	v_mul_lo_u32 v35, v35, s29
	v_and_b32_e32 v36, 0x8000000, v35
	v_lshrrev_b32_e32 v37, 8, v35
	v_lshrrev_b16_e32 v38, 1, v37
	v_cmp_ne_u16_sdwa s[34:35], v36, v9 src0_sel:BYTE_3 src1_sel:DWORD
	v_lshlrev_b16_sdwa v28, v52, v28 dst_sel:DWORD dst_unused:UNUSED_PAD src0_sel:DWORD src1_sel:WORD_1
	v_bfe_i32 v38, v38, 0, 1
	v_lshrrev_b32_e32 v39, 18, v35
	v_cndmask_b32_e64 v36, 0, -1, s[34:35]
	v_ashrrev_i16_e32 v28, 15, v28
	v_bfe_i32 v39, v39, 0, 1
	v_lshlrev_b16_e32 v36, 8, v36
	v_lshlrev_b16_e32 v38, 8, v38
	v_or_b32_sdwa v56, v39, v36 dst_sel:WORD_1 dst_unused:UNUSED_PAD src0_sel:BYTE_0 src1_sel:DWORD
	v_or_b32_sdwa v57, v28, v38 dst_sel:DWORD dst_unused:UNUSED_PAD src0_sel:BYTE_0 src1_sel:DWORD
	v_or_b32_sdwa v56, v57, v56 dst_sel:DWORD dst_unused:UNUSED_PAD src0_sel:WORD_0 src1_sel:DWORD
	v_lshlrev_b16_e32 v28, 8, v28
	v_bfe_i32 v32, v32, 4, 1
	v_mul_f32_e32 v26, v4, v26
	s_waitcnt vmcnt(0)
	v_xor_b32_e32 v30, v30, v56
	v_and_b32_e32 v56, 0xffffff00, v30
	v_sub_i16 v38, v56, v38 clamp
	v_lshlrev_b16_e32 v56, 8, v30
	v_and_b32_e32 v38, 0xffffff00, v38
	v_sub_i16 v28, v56, v28 clamp
	v_or_b32_sdwa v28, v28, v38 dst_sel:DWORD dst_unused:UNUSED_PAD src0_sel:BYTE_1 src1_sel:DWORD
	v_and_b32_sdwa v38, v30, s31 dst_sel:DWORD dst_unused:UNUSED_PAD src0_sel:WORD_1 src1_sel:DWORD
	v_sub_i16 v36, v38, v36 clamp
	v_lshlrev_b16_sdwa v30, v51, v30 dst_sel:DWORD dst_unused:UNUSED_PAD src0_sel:DWORD src1_sel:WORD_1
	v_lshlrev_b16_e32 v38, 8, v39
	v_and_b32_e32 v36, 0xffffff00, v36
	v_sub_i16 v30, v30, v38 clamp
	v_or_b32_sdwa v30, v30, v36 dst_sel:WORD_1 dst_unused:UNUSED_PAD src0_sel:BYTE_1 src1_sel:DWORD
	v_lshrrev_b16_e32 v36, 5, v37
	v_or_b32_sdwa v28, v28, v30 dst_sel:DWORD dst_unused:UNUSED_PAD src0_sel:WORD_0 src1_sel:DWORD
	v_and_b32_e32 v30, 0x80000000, v35
	v_cmp_ne_u16_sdwa s[34:35], v30, v9 src0_sel:BYTE_3 src1_sel:DWORD
	v_bfe_i32 v36, v36, 0, 1
	v_lshrrev_b32_e32 v35, 22, v35
	v_cndmask_b32_e64 v30, 0, -1, s[34:35]
	v_bfe_i32 v35, v35, 0, 1
	v_lshlrev_b16_e32 v30, 8, v30
	v_lshlrev_b16_e32 v36, 8, v36
	v_or_b32_sdwa v37, v35, v30 dst_sel:WORD_1 dst_unused:UNUSED_PAD src0_sel:BYTE_0 src1_sel:DWORD
	v_or_b32_sdwa v38, v32, v36 dst_sel:DWORD dst_unused:UNUSED_PAD src0_sel:BYTE_0 src1_sel:DWORD
	v_or_b32_sdwa v37, v38, v37 dst_sel:DWORD dst_unused:UNUSED_PAD src0_sel:WORD_0 src1_sel:DWORD
	v_xor_b32_e32 v31, v31, v37
	v_and_b32_e32 v37, 0xffffff00, v31
	v_sub_i16 v36, v37, v36 clamp
	v_lshlrev_b16_e32 v37, 8, v31
	v_lshlrev_b16_e32 v32, 8, v32
	v_and_b32_e32 v36, 0xffffff00, v36
	v_sub_i16 v32, v37, v32 clamp
	v_or_b32_sdwa v32, v32, v36 dst_sel:DWORD dst_unused:UNUSED_PAD src0_sel:BYTE_1 src1_sel:DWORD
	v_and_b32_sdwa v36, v31, s31 dst_sel:DWORD dst_unused:UNUSED_PAD src0_sel:WORD_1 src1_sel:DWORD
	v_sub_i16 v30, v36, v30 clamp
	v_lshlrev_b16_sdwa v31, v51, v31 dst_sel:DWORD dst_unused:UNUSED_PAD src0_sel:DWORD src1_sel:WORD_1
	v_lshlrev_b16_e32 v35, 8, v35
	v_and_b32_e32 v30, 0xffffff00, v30
	v_sub_i16 v31, v31, v35 clamp
	v_or_b32_sdwa v30, v31, v30 dst_sel:WORD_1 dst_unused:UNUSED_PAD src0_sel:BYTE_1 src1_sel:DWORD
	v_dot4c_i32_i8_e32 v33, v28, v7
	v_or_b32_sdwa v30, v32, v30 dst_sel:DWORD dst_unused:UNUSED_PAD src0_sel:WORD_0 src1_sel:DWORD
	v_and_b32_e32 v28, 0x1ff01ff, v29
	v_dot4c_i32_i8_e32 v33, v30, v0
	v_and_b32_e32 v30, 0x1ff, v28
	v_lshlrev_b32_e32 v30, 3, v30
	global_load_dwordx2 v[30:31], v30, s[24:25]
	v_lshrrev_b16_e32 v32, 9, v29
	v_bcnt_u32_b32 v35, v32, 0
	v_and_b32_e32 v35, 1, v35
	v_lshl_or_b32 v35, v35, 7, v32
	v_mul_lo_u32 v35, v35, s29
	v_and_b32_e32 v36, 0x8000000, v35
	v_lshrrev_b32_e32 v38, 8, v35
	v_lshrrev_b16_e32 v39, 1, v38
	v_cmp_ne_u16_sdwa s[34:35], v36, v9 src0_sel:BYTE_3 src1_sel:DWORD
	v_lshlrev_b16_e32 v37, 6, v29
	v_bfe_i32 v39, v39, 0, 1
	v_lshrrev_b32_e32 v56, 18, v35
	v_cndmask_b32_e64 v36, 0, -1, s[34:35]
	v_ashrrev_i16_e32 v37, 15, v37
	v_bfe_i32 v56, v56, 0, 1
	v_lshlrev_b16_e32 v36, 8, v36
	v_lshlrev_b16_e32 v39, 8, v39
	v_or_b32_sdwa v57, v56, v36 dst_sel:WORD_1 dst_unused:UNUSED_PAD src0_sel:BYTE_0 src1_sel:DWORD
	v_or_b32_sdwa v58, v37, v39 dst_sel:DWORD dst_unused:UNUSED_PAD src0_sel:BYTE_0 src1_sel:DWORD
	v_or_b32_sdwa v57, v58, v57 dst_sel:DWORD dst_unused:UNUSED_PAD src0_sel:WORD_0 src1_sel:DWORD
	v_lshlrev_b16_e32 v37, 8, v37
	v_bfe_i32 v32, v32, 4, 1
	v_lshrrev_b32_e32 v28, 13, v28
	s_waitcnt vmcnt(0)
	v_xor_b32_e32 v30, v30, v57
	v_and_b32_e32 v57, 0xffffff00, v30
	v_sub_i16 v39, v57, v39 clamp
	v_lshlrev_b16_e32 v57, 8, v30
	v_and_b32_e32 v39, 0xffffff00, v39
	v_sub_i16 v37, v57, v37 clamp
	v_or_b32_sdwa v37, v37, v39 dst_sel:DWORD dst_unused:UNUSED_PAD src0_sel:BYTE_1 src1_sel:DWORD
	v_and_b32_sdwa v39, v30, s31 dst_sel:DWORD dst_unused:UNUSED_PAD src0_sel:WORD_1 src1_sel:DWORD
	v_sub_i16 v36, v39, v36 clamp
	v_lshlrev_b16_sdwa v30, v51, v30 dst_sel:DWORD dst_unused:UNUSED_PAD src0_sel:DWORD src1_sel:WORD_1
	v_lshlrev_b16_e32 v39, 8, v56
	v_and_b32_e32 v36, 0xffffff00, v36
	v_sub_i16 v30, v30, v39 clamp
	v_or_b32_sdwa v30, v30, v36 dst_sel:WORD_1 dst_unused:UNUSED_PAD src0_sel:BYTE_1 src1_sel:DWORD
	v_and_b32_e32 v36, 0x80000000, v35
	v_or_b32_sdwa v30, v37, v30 dst_sel:DWORD dst_unused:UNUSED_PAD src0_sel:WORD_0 src1_sel:DWORD
	v_lshrrev_b16_e32 v37, 5, v38
	v_cmp_ne_u16_sdwa s[34:35], v36, v9 src0_sel:BYTE_3 src1_sel:DWORD
	v_bfe_i32 v37, v37, 0, 1
	v_lshrrev_b32_e32 v35, 22, v35
	v_cndmask_b32_e64 v36, 0, -1, s[34:35]
	v_bfe_i32 v35, v35, 0, 1
	v_lshlrev_b16_e32 v36, 8, v36
	v_lshlrev_b16_e32 v37, 8, v37
	v_or_b32_sdwa v38, v35, v36 dst_sel:WORD_1 dst_unused:UNUSED_PAD src0_sel:BYTE_0 src1_sel:DWORD
	v_or_b32_sdwa v39, v32, v37 dst_sel:DWORD dst_unused:UNUSED_PAD src0_sel:BYTE_0 src1_sel:DWORD
	v_or_b32_sdwa v38, v39, v38 dst_sel:DWORD dst_unused:UNUSED_PAD src0_sel:WORD_0 src1_sel:DWORD
	v_xor_b32_e32 v31, v31, v38
	v_and_b32_e32 v38, 0xffffff00, v31
	v_sub_i16 v37, v38, v37 clamp
	v_lshlrev_b16_e32 v38, 8, v31
	v_lshlrev_b16_e32 v32, 8, v32
	v_and_b32_e32 v37, 0xffffff00, v37
	v_sub_i16 v32, v38, v32 clamp
	v_or_b32_sdwa v32, v32, v37 dst_sel:DWORD dst_unused:UNUSED_PAD src0_sel:BYTE_1 src1_sel:DWORD
	v_and_b32_sdwa v37, v31, s31 dst_sel:DWORD dst_unused:UNUSED_PAD src0_sel:WORD_1 src1_sel:DWORD
	v_sub_i16 v36, v37, v36 clamp
	v_lshlrev_b16_sdwa v31, v51, v31 dst_sel:DWORD dst_unused:UNUSED_PAD src0_sel:DWORD src1_sel:WORD_1
	v_lshlrev_b16_e32 v35, 8, v35
	v_and_b32_e32 v36, 0xffffff00, v36
	v_sub_i16 v31, v31, v35 clamp
	v_or_b32_sdwa v31, v31, v36 dst_sel:WORD_1 dst_unused:UNUSED_PAD src0_sel:BYTE_1 src1_sel:DWORD
	s_nop 0
	v_or_b32_sdwa v31, v32, v31 dst_sel:DWORD dst_unused:UNUSED_PAD src0_sel:WORD_0 src1_sel:DWORD
	v_mov_b32_e32 v32, v9
	v_dot4c_i32_i8_e32 v32, v30, v1
	v_dot4c_i32_i8_e32 v32, v31, v2
	global_load_dwordx2 v[30:31], v28, s[24:25]
	v_lshrrev_b32_e32 v28, 25, v29
	v_bcnt_u32_b32 v35, v28, 0
	v_and_b32_e32 v35, 1, v35
	v_alignbit_b32 v35, v35, v29, 25
	v_mul_lo_u32 v35, v35, s29
	v_and_b32_e32 v36, 0x8000000, v35
	v_lshrrev_b32_e32 v37, 8, v35
	v_lshrrev_b16_e32 v38, 1, v37
	v_cmp_ne_u16_sdwa s[34:35], v36, v9 src0_sel:BYTE_3 src1_sel:DWORD
	v_lshlrev_b16_sdwa v29, v52, v29 dst_sel:DWORD dst_unused:UNUSED_PAD src0_sel:DWORD src1_sel:WORD_1
	v_bfe_i32 v38, v38, 0, 1
	v_lshrrev_b32_e32 v39, 18, v35
	v_cndmask_b32_e64 v36, 0, -1, s[34:35]
	v_ashrrev_i16_e32 v29, 15, v29
	v_bfe_i32 v39, v39, 0, 1
	v_lshlrev_b16_e32 v36, 8, v36
	v_lshlrev_b16_e32 v38, 8, v38
	v_or_b32_sdwa v56, v39, v36 dst_sel:WORD_1 dst_unused:UNUSED_PAD src0_sel:BYTE_0 src1_sel:DWORD
	v_or_b32_sdwa v57, v29, v38 dst_sel:DWORD dst_unused:UNUSED_PAD src0_sel:BYTE_0 src1_sel:DWORD
	v_or_b32_sdwa v56, v57, v56 dst_sel:DWORD dst_unused:UNUSED_PAD src0_sel:WORD_0 src1_sel:DWORD
	v_lshlrev_b16_e32 v29, 8, v29
	v_bfe_i32 v28, v28, 4, 1
	s_waitcnt vmcnt(0)
	v_xor_b32_e32 v30, v30, v56
	v_and_b32_e32 v56, 0xffffff00, v30
	v_sub_i16 v38, v56, v38 clamp
	v_lshlrev_b16_e32 v56, 8, v30
	v_and_b32_e32 v38, 0xffffff00, v38
	v_sub_i16 v29, v56, v29 clamp
	v_or_b32_sdwa v29, v29, v38 dst_sel:DWORD dst_unused:UNUSED_PAD src0_sel:BYTE_1 src1_sel:DWORD
	v_and_b32_sdwa v38, v30, s31 dst_sel:DWORD dst_unused:UNUSED_PAD src0_sel:WORD_1 src1_sel:DWORD
	v_sub_i16 v36, v38, v36 clamp
	v_lshlrev_b16_sdwa v30, v51, v30 dst_sel:DWORD dst_unused:UNUSED_PAD src0_sel:DWORD src1_sel:WORD_1
	v_lshlrev_b16_e32 v38, 8, v39
	v_and_b32_e32 v36, 0xffffff00, v36
	v_sub_i16 v30, v30, v38 clamp
	v_or_b32_sdwa v30, v30, v36 dst_sel:WORD_1 dst_unused:UNUSED_PAD src0_sel:BYTE_1 src1_sel:DWORD
	v_lshrrev_b16_e32 v36, 5, v37
	v_or_b32_sdwa v29, v29, v30 dst_sel:DWORD dst_unused:UNUSED_PAD src0_sel:WORD_0 src1_sel:DWORD
	v_and_b32_e32 v30, 0x80000000, v35
	v_cmp_ne_u16_sdwa s[34:35], v30, v9 src0_sel:BYTE_3 src1_sel:DWORD
	v_bfe_i32 v36, v36, 0, 1
	v_lshrrev_b32_e32 v35, 22, v35
	v_cndmask_b32_e64 v30, 0, -1, s[34:35]
	v_bfe_i32 v35, v35, 0, 1
	v_lshlrev_b16_e32 v30, 8, v30
	v_lshlrev_b16_e32 v36, 8, v36
	v_or_b32_sdwa v37, v35, v30 dst_sel:WORD_1 dst_unused:UNUSED_PAD src0_sel:BYTE_0 src1_sel:DWORD
	v_or_b32_sdwa v38, v28, v36 dst_sel:DWORD dst_unused:UNUSED_PAD src0_sel:BYTE_0 src1_sel:DWORD
	v_or_b32_sdwa v37, v38, v37 dst_sel:DWORD dst_unused:UNUSED_PAD src0_sel:WORD_0 src1_sel:DWORD
	v_xor_b32_e32 v31, v31, v37
	v_and_b32_e32 v37, 0xffffff00, v31
	v_sub_i16 v36, v37, v36 clamp
	v_lshlrev_b16_e32 v37, 8, v31
	v_lshlrev_b16_e32 v28, 8, v28
	v_and_b32_e32 v36, 0xffffff00, v36
	v_sub_i16 v28, v37, v28 clamp
	v_or_b32_sdwa v28, v28, v36 dst_sel:DWORD dst_unused:UNUSED_PAD src0_sel:BYTE_1 src1_sel:DWORD
	v_and_b32_sdwa v36, v31, s31 dst_sel:DWORD dst_unused:UNUSED_PAD src0_sel:WORD_1 src1_sel:DWORD
	v_sub_i16 v30, v36, v30 clamp
	v_lshlrev_b16_sdwa v31, v51, v31 dst_sel:DWORD dst_unused:UNUSED_PAD src0_sel:DWORD src1_sel:WORD_1
	v_lshlrev_b16_e32 v35, 8, v35
	v_and_b32_e32 v30, 0xffffff00, v30
	v_sub_i16 v31, v31, v35 clamp
	v_or_b32_sdwa v30, v31, v30 dst_sel:WORD_1 dst_unused:UNUSED_PAD src0_sel:BYTE_1 src1_sel:DWORD
	v_dot4c_i32_i8_e32 v32, v29, v3
	v_or_b32_sdwa v28, v28, v30 dst_sel:DWORD dst_unused:UNUSED_PAD src0_sel:WORD_0 src1_sel:DWORD
	v_dot4c_i32_i8_e32 v32, v28, v54
	v_lshrrev_b32_e32 v28, 4, v34
	v_and_b32_e32 v29, 15, v34
	v_mul_lo_u32 v29, v33, v29
	v_add_u32_e32 v30, v32, v33
	v_lshrrev_b32_e32 v31, 31, v30
	v_add_u32_e32 v30, v30, v31
	v_mul_lo_u32 v28, v32, v28
	v_ashrrev_i32_e32 v30, 1, v30
	v_add3_u32 v28, v28, v29, v30
	v_ashrrev_i32_e32 v29, 31, v28
	v_lshrrev_b32_e32 v29, 30, v29
	v_add_u32_e32 v28, v28, v29
	v_ashrrev_i32_e32 v28, 2, v28
	v_cvt_f32_i32_e32 v27, v28
	v_fmac_f32_e32 v49, v26, v27
.LBB169_20:                             ;   in Loop: Header=BB169_18 Depth=1
	v_add_u32_e32 v36, s27, v46
	v_mov_b64_e32 v[26:27], s[16:17]
	v_mad_i64_i32 v[26:27], s[34:35], v36, s28, v[26:27]
	v_lshl_add_u64 v[28:29], v[26:27], 0, v[8:9]
	global_load_dwordx2 v[28:29], v[28:29], off offset:2
	v_lshl_add_u64 v[30:31], v[26:27], 0, v[10:11]
	global_load_ubyte v56, v[30:31], off offset:66
	global_load_ushort v57, v[26:27], off
	s_and_b64 vcc, exec, s[10:11]
	s_waitcnt vmcnt(2)
	v_and_b32_e32 v26, 0x1ff01ff, v28
	v_and_b32_e32 v27, 0x1ff01ff, v29
	;; [unrolled: 1-line block ×3, first 2 shown]
	v_lshrrev_b32_e32 v37, 13, v26
	v_and_b32_e32 v26, 0x1ff, v27
	v_lshlrev_b32_e32 v39, 3, v30
	v_lshrrev_b32_e32 v38, 13, v27
	v_lshlrev_b32_e32 v58, 3, v26
	global_load_dwordx2 v[34:35], v39, s[24:25]
	global_load_dwordx2 v[32:33], v37, s[24:25]
	;; [unrolled: 1-line block ×4, first 2 shown]
	s_cbranch_vccnz .LBB169_17
; %bb.21:                               ;   in Loop: Header=BB169_18 Depth=1
	v_mov_b64_e32 v[38:39], s[36:37]
	v_mad_i64_i32 v[36:37], s[24:25], v36, s28, v[38:39]
	v_lshl_add_u64 v[60:61], v[36:37], 0, v[10:11]
	v_lshl_add_u64 v[58:59], v[36:37], 0, v[8:9]
	global_load_ubyte v62, v[60:61], off offset:66
	global_load_dwordx2 v[38:39], v[58:59], off offset:2
	s_getpc_b64 s[24:25]
	s_add_u32 s24, s24, _ZL10iq2xs_grid@rel32@lo+4
	s_addc_u32 s25, s25, _ZL10iq2xs_grid@rel32@hi+12
	global_load_ushort v36, v[36:37], off
	s_waitcnt vmcnt(1)
	v_and_b32_e32 v60, 0x1ff01ff, v38
	v_and_b32_e32 v58, 0x1ff, v60
	v_lshlrev_b32_e32 v58, 3, v58
	global_load_dwordx2 v[58:59], v58, s[24:25]
	v_lshrrev_b16_e32 v61, 9, v38
	v_bcnt_u32_b32 v63, v61, 0
	v_and_b32_e32 v63, 1, v63
	v_lshl_or_b32 v63, v63, 7, v61
	v_mul_lo_u32 v63, v63, s29
	v_and_b32_e32 v64, 0x8000000, v63
	v_lshrrev_b32_e32 v66, 8, v63
	v_lshrrev_b16_e32 v67, 1, v66
	v_cmp_ne_u16_sdwa s[34:35], v64, v9 src0_sel:BYTE_3 src1_sel:DWORD
	v_lshlrev_b16_e32 v65, 6, v38
	v_bfe_i32 v67, v67, 0, 1
	v_lshrrev_b32_e32 v68, 18, v63
	v_cndmask_b32_e64 v64, 0, -1, s[34:35]
	v_ashrrev_i16_e32 v65, 15, v65
	v_bfe_i32 v68, v68, 0, 1
	v_lshlrev_b16_e32 v64, 8, v64
	v_lshlrev_b16_e32 v67, 8, v67
	v_or_b32_sdwa v69, v68, v64 dst_sel:WORD_1 dst_unused:UNUSED_PAD src0_sel:BYTE_0 src1_sel:DWORD
	v_or_b32_sdwa v70, v65, v67 dst_sel:DWORD dst_unused:UNUSED_PAD src0_sel:BYTE_0 src1_sel:DWORD
	v_or_b32_sdwa v69, v70, v69 dst_sel:DWORD dst_unused:UNUSED_PAD src0_sel:WORD_0 src1_sel:DWORD
	v_lshlrev_b16_e32 v65, 8, v65
	v_bfe_i32 v61, v61, 4, 1
	s_waitcnt vmcnt(1)
	v_cvt_f32_f16_e32 v36, v36
	v_mul_f32_e32 v36, v4, v36
	s_waitcnt vmcnt(0)
	v_xor_b32_e32 v58, v58, v69
	v_and_b32_e32 v69, 0xffffff00, v58
	v_sub_i16 v67, v69, v67 clamp
	v_lshlrev_b16_e32 v69, 8, v58
	v_and_b32_e32 v67, 0xffffff00, v67
	v_sub_i16 v65, v69, v65 clamp
	v_or_b32_sdwa v65, v65, v67 dst_sel:DWORD dst_unused:UNUSED_PAD src0_sel:BYTE_1 src1_sel:DWORD
	v_and_b32_sdwa v67, v58, s31 dst_sel:DWORD dst_unused:UNUSED_PAD src0_sel:WORD_1 src1_sel:DWORD
	v_sub_i16 v64, v67, v64 clamp
	v_lshlrev_b16_sdwa v58, v51, v58 dst_sel:DWORD dst_unused:UNUSED_PAD src0_sel:DWORD src1_sel:WORD_1
	v_lshlrev_b16_e32 v67, 8, v68
	v_and_b32_e32 v64, 0xffffff00, v64
	v_sub_i16 v58, v58, v67 clamp
	v_or_b32_sdwa v58, v58, v64 dst_sel:WORD_1 dst_unused:UNUSED_PAD src0_sel:BYTE_1 src1_sel:DWORD
	v_and_b32_e32 v64, 0x80000000, v63
	v_or_b32_sdwa v58, v65, v58 dst_sel:DWORD dst_unused:UNUSED_PAD src0_sel:WORD_0 src1_sel:DWORD
	v_lshrrev_b16_e32 v65, 5, v66
	v_cmp_ne_u16_sdwa s[34:35], v64, v9 src0_sel:BYTE_3 src1_sel:DWORD
	v_bfe_i32 v65, v65, 0, 1
	v_lshrrev_b32_e32 v63, 22, v63
	v_cndmask_b32_e64 v64, 0, -1, s[34:35]
	v_bfe_i32 v63, v63, 0, 1
	v_lshlrev_b16_e32 v64, 8, v64
	v_lshlrev_b16_e32 v65, 8, v65
	v_or_b32_sdwa v66, v63, v64 dst_sel:WORD_1 dst_unused:UNUSED_PAD src0_sel:BYTE_0 src1_sel:DWORD
	v_or_b32_sdwa v67, v61, v65 dst_sel:DWORD dst_unused:UNUSED_PAD src0_sel:BYTE_0 src1_sel:DWORD
	v_or_b32_sdwa v66, v67, v66 dst_sel:DWORD dst_unused:UNUSED_PAD src0_sel:WORD_0 src1_sel:DWORD
	v_xor_b32_e32 v59, v59, v66
	v_and_b32_e32 v66, 0xffffff00, v59
	v_sub_i16 v65, v66, v65 clamp
	v_lshlrev_b16_e32 v66, 8, v59
	v_lshlrev_b16_e32 v61, 8, v61
	v_and_b32_e32 v65, 0xffffff00, v65
	v_sub_i16 v61, v66, v61 clamp
	v_or_b32_sdwa v61, v61, v65 dst_sel:DWORD dst_unused:UNUSED_PAD src0_sel:BYTE_1 src1_sel:DWORD
	v_and_b32_sdwa v65, v59, s31 dst_sel:DWORD dst_unused:UNUSED_PAD src0_sel:WORD_1 src1_sel:DWORD
	v_sub_i16 v64, v65, v64 clamp
	v_lshlrev_b16_sdwa v59, v51, v59 dst_sel:DWORD dst_unused:UNUSED_PAD src0_sel:DWORD src1_sel:WORD_1
	v_lshlrev_b16_e32 v63, 8, v63
	v_and_b32_e32 v64, 0xffffff00, v64
	v_sub_i16 v59, v59, v63 clamp
	v_or_b32_sdwa v59, v59, v64 dst_sel:WORD_1 dst_unused:UNUSED_PAD src0_sel:BYTE_1 src1_sel:DWORD
	s_nop 0
	v_or_b32_sdwa v59, v61, v59 dst_sel:DWORD dst_unused:UNUSED_PAD src0_sel:WORD_0 src1_sel:DWORD
	v_mov_b32_e32 v61, v9
	v_dot4c_i32_i8_e32 v61, v58, v5
	v_lshrrev_b32_e32 v58, 13, v60
	v_dot4c_i32_i8_e32 v61, v59, v6
	global_load_dwordx2 v[58:59], v58, s[24:25]
	v_lshrrev_b32_e32 v60, 25, v38
	v_bcnt_u32_b32 v63, v60, 0
	v_and_b32_e32 v63, 1, v63
	v_alignbit_b32 v63, v63, v38, 25
	v_mul_lo_u32 v63, v63, s29
	v_and_b32_e32 v64, 0x8000000, v63
	v_lshrrev_b32_e32 v65, 8, v63
	v_lshrrev_b16_e32 v66, 1, v65
	v_cmp_ne_u16_sdwa s[34:35], v64, v9 src0_sel:BYTE_3 src1_sel:DWORD
	v_lshlrev_b16_sdwa v38, v52, v38 dst_sel:DWORD dst_unused:UNUSED_PAD src0_sel:DWORD src1_sel:WORD_1
	v_bfe_i32 v66, v66, 0, 1
	v_lshrrev_b32_e32 v67, 18, v63
	v_cndmask_b32_e64 v64, 0, -1, s[34:35]
	v_ashrrev_i16_e32 v38, 15, v38
	v_bfe_i32 v67, v67, 0, 1
	v_lshlrev_b16_e32 v64, 8, v64
	v_lshlrev_b16_e32 v66, 8, v66
	v_or_b32_sdwa v68, v67, v64 dst_sel:WORD_1 dst_unused:UNUSED_PAD src0_sel:BYTE_0 src1_sel:DWORD
	v_or_b32_sdwa v69, v38, v66 dst_sel:DWORD dst_unused:UNUSED_PAD src0_sel:BYTE_0 src1_sel:DWORD
	v_or_b32_sdwa v68, v69, v68 dst_sel:DWORD dst_unused:UNUSED_PAD src0_sel:WORD_0 src1_sel:DWORD
	v_lshlrev_b16_e32 v38, 8, v38
	v_bfe_i32 v60, v60, 4, 1
	s_waitcnt vmcnt(0)
	v_xor_b32_e32 v58, v58, v68
	v_and_b32_e32 v68, 0xffffff00, v58
	v_sub_i16 v66, v68, v66 clamp
	v_lshlrev_b16_e32 v68, 8, v58
	v_and_b32_e32 v66, 0xffffff00, v66
	v_sub_i16 v38, v68, v38 clamp
	v_or_b32_sdwa v38, v38, v66 dst_sel:DWORD dst_unused:UNUSED_PAD src0_sel:BYTE_1 src1_sel:DWORD
	v_and_b32_sdwa v66, v58, s31 dst_sel:DWORD dst_unused:UNUSED_PAD src0_sel:WORD_1 src1_sel:DWORD
	v_sub_i16 v64, v66, v64 clamp
	v_lshlrev_b16_sdwa v58, v51, v58 dst_sel:DWORD dst_unused:UNUSED_PAD src0_sel:DWORD src1_sel:WORD_1
	v_lshlrev_b16_e32 v66, 8, v67
	v_and_b32_e32 v64, 0xffffff00, v64
	v_sub_i16 v58, v58, v66 clamp
	v_or_b32_sdwa v58, v58, v64 dst_sel:WORD_1 dst_unused:UNUSED_PAD src0_sel:BYTE_1 src1_sel:DWORD
	v_lshrrev_b16_e32 v64, 5, v65
	v_or_b32_sdwa v38, v38, v58 dst_sel:DWORD dst_unused:UNUSED_PAD src0_sel:WORD_0 src1_sel:DWORD
	v_and_b32_e32 v58, 0x80000000, v63
	v_cmp_ne_u16_sdwa s[34:35], v58, v9 src0_sel:BYTE_3 src1_sel:DWORD
	v_bfe_i32 v64, v64, 0, 1
	v_lshrrev_b32_e32 v63, 22, v63
	v_cndmask_b32_e64 v58, 0, -1, s[34:35]
	v_bfe_i32 v63, v63, 0, 1
	v_lshlrev_b16_e32 v58, 8, v58
	v_lshlrev_b16_e32 v64, 8, v64
	v_or_b32_sdwa v65, v63, v58 dst_sel:WORD_1 dst_unused:UNUSED_PAD src0_sel:BYTE_0 src1_sel:DWORD
	v_or_b32_sdwa v66, v60, v64 dst_sel:DWORD dst_unused:UNUSED_PAD src0_sel:BYTE_0 src1_sel:DWORD
	v_or_b32_sdwa v65, v66, v65 dst_sel:DWORD dst_unused:UNUSED_PAD src0_sel:WORD_0 src1_sel:DWORD
	v_xor_b32_e32 v59, v59, v65
	v_and_b32_e32 v65, 0xffffff00, v59
	v_sub_i16 v64, v65, v64 clamp
	v_lshlrev_b16_e32 v65, 8, v59
	v_lshlrev_b16_e32 v60, 8, v60
	v_and_b32_e32 v64, 0xffffff00, v64
	v_sub_i16 v60, v65, v60 clamp
	v_or_b32_sdwa v60, v60, v64 dst_sel:DWORD dst_unused:UNUSED_PAD src0_sel:BYTE_1 src1_sel:DWORD
	v_and_b32_sdwa v64, v59, s31 dst_sel:DWORD dst_unused:UNUSED_PAD src0_sel:WORD_1 src1_sel:DWORD
	v_sub_i16 v58, v64, v58 clamp
	v_lshlrev_b16_sdwa v59, v51, v59 dst_sel:DWORD dst_unused:UNUSED_PAD src0_sel:DWORD src1_sel:WORD_1
	v_lshlrev_b16_e32 v63, 8, v63
	v_and_b32_e32 v58, 0xffffff00, v58
	v_sub_i16 v59, v59, v63 clamp
	v_or_b32_sdwa v58, v59, v58 dst_sel:WORD_1 dst_unused:UNUSED_PAD src0_sel:BYTE_1 src1_sel:DWORD
	v_dot4c_i32_i8_e32 v61, v38, v7
	v_or_b32_sdwa v58, v60, v58 dst_sel:DWORD dst_unused:UNUSED_PAD src0_sel:WORD_0 src1_sel:DWORD
	v_and_b32_e32 v38, 0x1ff01ff, v39
	v_dot4c_i32_i8_e32 v61, v58, v0
	v_and_b32_e32 v58, 0x1ff, v38
	v_lshlrev_b32_e32 v58, 3, v58
	global_load_dwordx2 v[58:59], v58, s[24:25]
	v_lshrrev_b16_e32 v60, 9, v39
	v_bcnt_u32_b32 v63, v60, 0
	v_and_b32_e32 v63, 1, v63
	v_lshl_or_b32 v63, v63, 7, v60
	v_mul_lo_u32 v63, v63, s29
	v_and_b32_e32 v64, 0x8000000, v63
	v_lshrrev_b32_e32 v66, 8, v63
	v_lshrrev_b16_e32 v67, 1, v66
	v_cmp_ne_u16_sdwa s[34:35], v64, v9 src0_sel:BYTE_3 src1_sel:DWORD
	v_lshlrev_b16_e32 v65, 6, v39
	v_bfe_i32 v67, v67, 0, 1
	v_lshrrev_b32_e32 v68, 18, v63
	v_cndmask_b32_e64 v64, 0, -1, s[34:35]
	v_ashrrev_i16_e32 v65, 15, v65
	v_bfe_i32 v68, v68, 0, 1
	v_lshlrev_b16_e32 v64, 8, v64
	v_lshlrev_b16_e32 v67, 8, v67
	v_or_b32_sdwa v69, v68, v64 dst_sel:WORD_1 dst_unused:UNUSED_PAD src0_sel:BYTE_0 src1_sel:DWORD
	v_or_b32_sdwa v70, v65, v67 dst_sel:DWORD dst_unused:UNUSED_PAD src0_sel:BYTE_0 src1_sel:DWORD
	v_or_b32_sdwa v69, v70, v69 dst_sel:DWORD dst_unused:UNUSED_PAD src0_sel:WORD_0 src1_sel:DWORD
	v_lshlrev_b16_e32 v65, 8, v65
	v_bfe_i32 v60, v60, 4, 1
	v_lshrrev_b32_e32 v38, 13, v38
	s_waitcnt vmcnt(0)
	v_xor_b32_e32 v58, v58, v69
	v_and_b32_e32 v69, 0xffffff00, v58
	v_sub_i16 v67, v69, v67 clamp
	v_lshlrev_b16_e32 v69, 8, v58
	v_and_b32_e32 v67, 0xffffff00, v67
	v_sub_i16 v65, v69, v65 clamp
	v_or_b32_sdwa v65, v65, v67 dst_sel:DWORD dst_unused:UNUSED_PAD src0_sel:BYTE_1 src1_sel:DWORD
	v_and_b32_sdwa v67, v58, s31 dst_sel:DWORD dst_unused:UNUSED_PAD src0_sel:WORD_1 src1_sel:DWORD
	v_sub_i16 v64, v67, v64 clamp
	v_lshlrev_b16_sdwa v58, v51, v58 dst_sel:DWORD dst_unused:UNUSED_PAD src0_sel:DWORD src1_sel:WORD_1
	v_lshlrev_b16_e32 v67, 8, v68
	v_and_b32_e32 v64, 0xffffff00, v64
	v_sub_i16 v58, v58, v67 clamp
	v_or_b32_sdwa v58, v58, v64 dst_sel:WORD_1 dst_unused:UNUSED_PAD src0_sel:BYTE_1 src1_sel:DWORD
	v_and_b32_e32 v64, 0x80000000, v63
	v_or_b32_sdwa v58, v65, v58 dst_sel:DWORD dst_unused:UNUSED_PAD src0_sel:WORD_0 src1_sel:DWORD
	v_lshrrev_b16_e32 v65, 5, v66
	v_cmp_ne_u16_sdwa s[34:35], v64, v9 src0_sel:BYTE_3 src1_sel:DWORD
	v_bfe_i32 v65, v65, 0, 1
	v_lshrrev_b32_e32 v63, 22, v63
	v_cndmask_b32_e64 v64, 0, -1, s[34:35]
	v_bfe_i32 v63, v63, 0, 1
	v_lshlrev_b16_e32 v64, 8, v64
	v_lshlrev_b16_e32 v65, 8, v65
	v_or_b32_sdwa v66, v63, v64 dst_sel:WORD_1 dst_unused:UNUSED_PAD src0_sel:BYTE_0 src1_sel:DWORD
	v_or_b32_sdwa v67, v60, v65 dst_sel:DWORD dst_unused:UNUSED_PAD src0_sel:BYTE_0 src1_sel:DWORD
	v_or_b32_sdwa v66, v67, v66 dst_sel:DWORD dst_unused:UNUSED_PAD src0_sel:WORD_0 src1_sel:DWORD
	v_xor_b32_e32 v59, v59, v66
	v_and_b32_e32 v66, 0xffffff00, v59
	v_sub_i16 v65, v66, v65 clamp
	v_lshlrev_b16_e32 v66, 8, v59
	v_lshlrev_b16_e32 v60, 8, v60
	v_and_b32_e32 v65, 0xffffff00, v65
	v_sub_i16 v60, v66, v60 clamp
	v_or_b32_sdwa v60, v60, v65 dst_sel:DWORD dst_unused:UNUSED_PAD src0_sel:BYTE_1 src1_sel:DWORD
	v_and_b32_sdwa v65, v59, s31 dst_sel:DWORD dst_unused:UNUSED_PAD src0_sel:WORD_1 src1_sel:DWORD
	v_sub_i16 v64, v65, v64 clamp
	v_lshlrev_b16_sdwa v59, v51, v59 dst_sel:DWORD dst_unused:UNUSED_PAD src0_sel:DWORD src1_sel:WORD_1
	v_lshlrev_b16_e32 v63, 8, v63
	v_and_b32_e32 v64, 0xffffff00, v64
	v_sub_i16 v59, v59, v63 clamp
	v_or_b32_sdwa v59, v59, v64 dst_sel:WORD_1 dst_unused:UNUSED_PAD src0_sel:BYTE_1 src1_sel:DWORD
	s_nop 0
	v_or_b32_sdwa v59, v60, v59 dst_sel:DWORD dst_unused:UNUSED_PAD src0_sel:WORD_0 src1_sel:DWORD
	v_mov_b32_e32 v60, v9
	v_dot4c_i32_i8_e32 v60, v58, v1
	v_dot4c_i32_i8_e32 v60, v59, v2
	global_load_dwordx2 v[58:59], v38, s[24:25]
	v_lshrrev_b32_e32 v38, 25, v39
	v_bcnt_u32_b32 v63, v38, 0
	v_and_b32_e32 v63, 1, v63
	v_alignbit_b32 v63, v63, v39, 25
	v_mul_lo_u32 v63, v63, s29
	v_and_b32_e32 v64, 0x8000000, v63
	v_lshrrev_b32_e32 v65, 8, v63
	v_lshrrev_b16_e32 v66, 1, v65
	v_cmp_ne_u16_sdwa s[24:25], v64, v9 src0_sel:BYTE_3 src1_sel:DWORD
	v_lshlrev_b16_sdwa v39, v52, v39 dst_sel:DWORD dst_unused:UNUSED_PAD src0_sel:DWORD src1_sel:WORD_1
	v_bfe_i32 v66, v66, 0, 1
	v_lshrrev_b32_e32 v67, 18, v63
	v_cndmask_b32_e64 v64, 0, -1, s[24:25]
	v_ashrrev_i16_e32 v39, 15, v39
	v_bfe_i32 v67, v67, 0, 1
	v_lshlrev_b16_e32 v64, 8, v64
	v_lshlrev_b16_e32 v66, 8, v66
	v_or_b32_sdwa v68, v67, v64 dst_sel:WORD_1 dst_unused:UNUSED_PAD src0_sel:BYTE_0 src1_sel:DWORD
	v_or_b32_sdwa v69, v39, v66 dst_sel:DWORD dst_unused:UNUSED_PAD src0_sel:BYTE_0 src1_sel:DWORD
	v_or_b32_sdwa v68, v69, v68 dst_sel:DWORD dst_unused:UNUSED_PAD src0_sel:WORD_0 src1_sel:DWORD
	v_lshlrev_b16_e32 v39, 8, v39
	v_bfe_i32 v38, v38, 4, 1
	s_waitcnt vmcnt(0)
	v_xor_b32_e32 v58, v58, v68
	v_and_b32_e32 v68, 0xffffff00, v58
	v_sub_i16 v66, v68, v66 clamp
	v_lshlrev_b16_e32 v68, 8, v58
	v_and_b32_e32 v66, 0xffffff00, v66
	v_sub_i16 v39, v68, v39 clamp
	v_or_b32_sdwa v39, v39, v66 dst_sel:DWORD dst_unused:UNUSED_PAD src0_sel:BYTE_1 src1_sel:DWORD
	v_and_b32_sdwa v66, v58, s31 dst_sel:DWORD dst_unused:UNUSED_PAD src0_sel:WORD_1 src1_sel:DWORD
	v_sub_i16 v64, v66, v64 clamp
	v_lshlrev_b16_sdwa v58, v51, v58 dst_sel:DWORD dst_unused:UNUSED_PAD src0_sel:DWORD src1_sel:WORD_1
	v_lshlrev_b16_e32 v66, 8, v67
	v_and_b32_e32 v64, 0xffffff00, v64
	v_sub_i16 v58, v58, v66 clamp
	v_or_b32_sdwa v58, v58, v64 dst_sel:WORD_1 dst_unused:UNUSED_PAD src0_sel:BYTE_1 src1_sel:DWORD
	v_lshrrev_b16_e32 v64, 5, v65
	v_or_b32_sdwa v39, v39, v58 dst_sel:DWORD dst_unused:UNUSED_PAD src0_sel:WORD_0 src1_sel:DWORD
	v_and_b32_e32 v58, 0x80000000, v63
	v_cmp_ne_u16_sdwa s[24:25], v58, v9 src0_sel:BYTE_3 src1_sel:DWORD
	v_bfe_i32 v64, v64, 0, 1
	v_lshrrev_b32_e32 v63, 22, v63
	v_cndmask_b32_e64 v58, 0, -1, s[24:25]
	v_bfe_i32 v63, v63, 0, 1
	v_lshlrev_b16_e32 v58, 8, v58
	v_lshlrev_b16_e32 v64, 8, v64
	v_or_b32_sdwa v65, v63, v58 dst_sel:WORD_1 dst_unused:UNUSED_PAD src0_sel:BYTE_0 src1_sel:DWORD
	v_or_b32_sdwa v66, v38, v64 dst_sel:DWORD dst_unused:UNUSED_PAD src0_sel:BYTE_0 src1_sel:DWORD
	v_or_b32_sdwa v65, v66, v65 dst_sel:DWORD dst_unused:UNUSED_PAD src0_sel:WORD_0 src1_sel:DWORD
	v_xor_b32_e32 v59, v59, v65
	v_and_b32_e32 v65, 0xffffff00, v59
	v_sub_i16 v64, v65, v64 clamp
	v_lshlrev_b16_e32 v65, 8, v59
	v_lshlrev_b16_e32 v38, 8, v38
	v_and_b32_e32 v64, 0xffffff00, v64
	v_sub_i16 v38, v65, v38 clamp
	v_or_b32_sdwa v38, v38, v64 dst_sel:DWORD dst_unused:UNUSED_PAD src0_sel:BYTE_1 src1_sel:DWORD
	v_and_b32_sdwa v64, v59, s31 dst_sel:DWORD dst_unused:UNUSED_PAD src0_sel:WORD_1 src1_sel:DWORD
	v_sub_i16 v58, v64, v58 clamp
	v_lshlrev_b16_sdwa v59, v51, v59 dst_sel:DWORD dst_unused:UNUSED_PAD src0_sel:DWORD src1_sel:WORD_1
	v_lshlrev_b16_e32 v63, 8, v63
	v_and_b32_e32 v58, 0xffffff00, v58
	v_sub_i16 v59, v59, v63 clamp
	v_or_b32_sdwa v58, v59, v58 dst_sel:WORD_1 dst_unused:UNUSED_PAD src0_sel:BYTE_1 src1_sel:DWORD
	v_dot4c_i32_i8_e32 v60, v39, v3
	v_or_b32_sdwa v38, v38, v58 dst_sel:DWORD dst_unused:UNUSED_PAD src0_sel:WORD_0 src1_sel:DWORD
	v_dot4c_i32_i8_e32 v60, v38, v54
	v_lshrrev_b32_e32 v38, 4, v62
	v_and_b32_e32 v39, 15, v62
	v_mul_lo_u32 v39, v61, v39
	v_add_u32_e32 v58, v60, v61
	v_lshrrev_b32_e32 v59, 31, v58
	v_add_u32_e32 v58, v58, v59
	v_mul_lo_u32 v38, v60, v38
	v_ashrrev_i32_e32 v58, 1, v58
	v_add3_u32 v38, v38, v39, v58
	v_ashrrev_i32_e32 v39, 31, v38
	v_lshrrev_b32_e32 v39, 30, v39
	v_add_u32_e32 v38, v38, v39
	v_ashrrev_i32_e32 v38, 2, v38
	v_cvt_f32_i32_e32 v37, v38
	v_fmac_f32_e32 v48, v36, v37
	s_branch .LBB169_17
.LBB169_22:
	s_or_b64 exec, exec, s[12:13]
	ds_write2_b32 v44, v50, v47 offset1:1
	ds_write2_b32 v43, v49, v48 offset1:1
.LBB169_23:
	s_or_b64 exec, exec, s[0:1]
	s_load_dword s15, s[2:3], 0x30
	v_cmp_eq_u32_e64 s[0:1], 0, v45
	v_cmp_ne_u32_e32 vcc, 0, v45
	v_lshlrev_b32_e32 v0, 2, v40
	s_and_saveexec_b64 s[12:13], vcc
	s_cbranch_execz .LBB169_28
; %bb.24:
	v_add_u32_e32 v1, -1, v45
	v_lshl_or_b32 v1, v1, 9, v0
	s_mov_b64 s[16:17], -1
	s_and_b64 vcc, exec, s[22:23]
	ds_write_b32 v1, v50
	s_cbranch_vccz .LBB169_26
; %bb.25:
	ds_write_b32 v1, v47 offset:256
	s_mov_b64 s[16:17], 0
.LBB169_26:
	s_andn2_b64 vcc, exec, s[16:17]
	s_cbranch_vccnz .LBB169_28
; %bb.27:
	ds_write_b32 v1, v47 offset:256
	ds_write2st64_b32 v1, v49, v48 offset0:2 offset1:3
.LBB169_28:
	s_or_b64 exec, exec, s[12:13]
	s_waitcnt lgkmcnt(0)
	s_barrier
	s_and_saveexec_b64 s[12:13], s[0:1]
	s_cbranch_execz .LBB169_61
; %bb.29:
	ds_read_b32 v2, v0
	ds_read_b32 v3, v44
	s_and_b64 vcc, exec, s[10:11]
	s_cbranch_vccnz .LBB169_31
; %bb.30:
	ds_read_b32 v1, v0 offset:512
	ds_read_b32 v4, v43
	s_waitcnt lgkmcnt(0)
	v_add_f32_e32 v1, v1, v4
	ds_write_b32 v43, v1
.LBB169_31:
	v_mbcnt_lo_u32_b32 v1, -1, 0
	v_mbcnt_hi_u32_b32 v6, -1, v1
	v_and_b32_e32 v1, 64, v6
	v_add_u32_e32 v7, 64, v1
	v_xor_b32_e32 v1, 32, v6
	v_cmp_lt_i32_e32 vcc, v1, v7
	s_waitcnt lgkmcnt(0)
	v_add_f32_e32 v3, v2, v3
	v_xor_b32_e32 v2, 16, v6
	v_cndmask_b32_e32 v1, v6, v1, vcc
	v_lshlrev_b32_e32 v1, 2, v1
	ds_bpermute_b32 v4, v1, v3
	v_cmp_lt_i32_e32 vcc, v2, v7
	v_xor_b32_e32 v10, 1, v6
	s_waitcnt lgkmcnt(0)
	v_add_f32_e32 v4, v3, v4
	v_cndmask_b32_e32 v2, v6, v2, vcc
	v_lshlrev_b32_e32 v2, 2, v2
	ds_bpermute_b32 v5, v2, v4
	v_xor_b32_e32 v3, 8, v6
	v_cmp_lt_i32_e32 vcc, v3, v7
	s_waitcnt lgkmcnt(0)
	v_add_f32_e32 v5, v4, v5
	v_cndmask_b32_e32 v3, v6, v3, vcc
	v_lshlrev_b32_e32 v3, 2, v3
	ds_bpermute_b32 v8, v3, v5
	v_xor_b32_e32 v4, 4, v6
	v_cmp_lt_i32_e32 vcc, v4, v7
	s_waitcnt lgkmcnt(0)
	v_add_f32_e32 v8, v5, v8
	v_cndmask_b32_e32 v4, v6, v4, vcc
	v_lshlrev_b32_e32 v4, 2, v4
	ds_bpermute_b32 v9, v4, v8
	v_xor_b32_e32 v5, 2, v6
	v_cmp_lt_i32_e32 vcc, v5, v7
	s_waitcnt lgkmcnt(0)
	v_add_f32_e32 v8, v8, v9
	v_cndmask_b32_e32 v5, v6, v5, vcc
	v_lshlrev_b32_e32 v5, 2, v5
	ds_bpermute_b32 v9, v5, v8
	v_cmp_lt_i32_e32 vcc, v10, v7
	s_waitcnt lgkmcnt(0)
	v_add_f32_e32 v7, v8, v9
	v_cndmask_b32_e32 v6, v6, v10, vcc
	v_lshlrev_b32_e32 v6, 2, v6
	ds_bpermute_b32 v8, v6, v7
	s_and_b64 vcc, exec, s[10:11]
	s_waitcnt lgkmcnt(0)
	v_add_f32_e32 v7, v7, v8
	ds_write_b32 v44, v7
	s_cbranch_vccnz .LBB169_33
; %bb.32:
	ds_read_b32 v7, v43
	s_waitcnt lgkmcnt(0)
	ds_bpermute_b32 v8, v1, v7
	s_waitcnt lgkmcnt(0)
	v_add_f32_e32 v7, v7, v8
	ds_bpermute_b32 v8, v2, v7
	s_waitcnt lgkmcnt(0)
	v_add_f32_e32 v7, v7, v8
	;; [unrolled: 3-line block ×6, first 2 shown]
	ds_write_b32 v43, v7
.LBB169_33:
	ds_read_b32 v7, v0 offset:256
	ds_read_b32 v8, v44 offset:4
	s_and_b64 vcc, exec, s[10:11]
	s_cbranch_vccnz .LBB169_35
; %bb.34:
	ds_read_b32 v9, v0 offset:768
	ds_read_b32 v10, v43 offset:4
	s_waitcnt lgkmcnt(0)
	v_add_f32_e32 v9, v9, v10
	ds_write_b32 v43, v9 offset:4
.LBB169_35:
	s_waitcnt lgkmcnt(0)
	v_add_f32_e32 v7, v7, v8
	ds_bpermute_b32 v8, v1, v7
	s_and_b64 vcc, exec, s[10:11]
	s_waitcnt lgkmcnt(0)
	v_add_f32_e32 v7, v7, v8
	ds_bpermute_b32 v8, v2, v7
	s_waitcnt lgkmcnt(0)
	v_add_f32_e32 v7, v7, v8
	ds_bpermute_b32 v8, v3, v7
	;; [unrolled: 3-line block ×5, first 2 shown]
	s_waitcnt lgkmcnt(0)
	v_add_f32_e32 v7, v7, v8
	ds_write_b32 v44, v7 offset:4
	s_cbranch_vccnz .LBB169_37
; %bb.36:
	ds_read_b32 v7, v43 offset:4
	s_waitcnt lgkmcnt(0)
	ds_bpermute_b32 v1, v1, v7
	s_waitcnt lgkmcnt(0)
	v_add_f32_e32 v1, v7, v1
	ds_bpermute_b32 v2, v2, v1
	s_waitcnt lgkmcnt(0)
	v_add_f32_e32 v1, v1, v2
	ds_bpermute_b32 v2, v3, v1
	s_waitcnt lgkmcnt(0)
	v_add_f32_e32 v1, v1, v2
	ds_bpermute_b32 v2, v4, v1
	s_waitcnt lgkmcnt(0)
	v_add_f32_e32 v1, v1, v2
	ds_bpermute_b32 v2, v5, v1
	s_waitcnt lgkmcnt(0)
	v_add_f32_e32 v1, v1, v2
	ds_bpermute_b32 v2, v6, v1
	s_waitcnt lgkmcnt(0)
	v_add_f32_e32 v1, v1, v2
	ds_write_b32 v43, v1 offset:4
.LBB169_37:
	v_add_u32_e32 v1, s20, v40
	v_cmp_gt_u32_e32 vcc, 2, v40
	v_cmp_gt_u32_e64 s[0:1], s7, v1
	s_and_b64 s[0:1], vcc, s[0:1]
	s_and_b64 exec, exec, s[0:1]
	s_cbranch_execz .LBB169_61
; %bb.38:
	v_lshl_add_u32 v1, v40, 2, v44
	ds_read_b32 v1, v1
	s_and_b64 vcc, exec, s[10:11]
	s_waitcnt vmcnt(0) lgkmcnt(0)
	v_add_f32_e32 v2, v42, v1
	v_cndmask_b32_e64 v1, v2, v1, s[8:9]
	s_cbranch_vccnz .LBB169_60
; %bb.39:
	v_lshl_add_u32 v2, v40, 2, v43
	ds_read_b32 v2, v2
	s_cmp_lt_i32 s15, 2
	s_mov_b64 s[0:1], 0
	s_waitcnt lgkmcnt(0)
	v_add_f32_e32 v3, v41, v2
	v_cndmask_b32_e64 v2, v2, v3, s[4:5]
	s_cbranch_scc1 .LBB169_43
; %bb.40:
	s_cmp_gt_i32 s15, 2
	s_cbranch_scc0 .LBB169_44
; %bb.41:
	s_cmp_eq_u32 s15, 3
	s_cbranch_scc0 .LBB169_45
; %bb.42:
	v_max_f32_e32 v3, v2, v2
	v_min_f32_e32 v3, 0x40e00000, v3
	v_mul_f32_e32 v5, 0xbfd9db23, v3
	s_mov_b32 s4, 0x3fb8aa3b
	v_mul_f32_e32 v4, 0x3fb8aa3b, v5
	v_fma_f32 v6, v5, s4, -v4
	v_rndne_f32_e32 v7, v4
	v_fmamk_f32 v6, v5, 0x32a5705f, v6
	v_sub_f32_e32 v4, v4, v7
	v_add_f32_e32 v4, v4, v6
	v_exp_f32_e32 v6, v4
	v_cvt_i32_f32_e32 v7, v7
	s_mov_b32 s4, 0xc2ce8ed0
	v_max_f32_e32 v4, v1, v1
	v_cmp_ngt_f32_e32 vcc, s4, v5
	v_ldexp_f32 v6, v6, v7
	s_mov_b32 s4, 0x42b17218
	v_min_f32_e32 v4, 0x40e00000, v4
	v_cndmask_b32_e32 v6, 0, v6, vcc
	v_mov_b32_e32 v7, 0x7f800000
	v_cmp_nlt_f32_e32 vcc, s4, v5
	v_max_f32_e32 v4, 0xc0e00000, v4
	s_nop 0
	v_cndmask_b32_e32 v5, v7, v6, vcc
	v_pk_add_f32 v[4:5], v[4:5], 1.0 op_sel_hi:[1,0]
	s_nop 0
	v_div_scale_f32 v6, s[4:5], v5, v5, v3
	v_rcp_f32_e32 v7, v6
	s_mov_b64 s[4:5], 0
	v_fma_f32 v8, -v6, v7, 1.0
	v_fmac_f32_e32 v7, v8, v7
	v_div_scale_f32 v8, vcc, v3, v5, v3
	v_mul_f32_e32 v9, v8, v7
	v_fma_f32 v10, -v6, v9, v8
	v_fmac_f32_e32 v9, v10, v7
	v_fma_f32 v6, -v6, v9, v8
	v_div_fmas_f32 v6, v6, v7, v9
	v_div_fixup_f32 v3, v6, v5, v3
	v_mul_f32_e32 v3, v4, v3
	s_branch .LBB169_46
.LBB169_43:
                                        ; implicit-def: $vgpr3
	s_mov_b64 s[4:5], 0
	s_cbranch_execnz .LBB169_50
	s_branch .LBB169_51
.LBB169_44:
	s_mov_b64 s[8:9], -1
	s_mov_b64 s[4:5], 0
                                        ; implicit-def: $vgpr3
	s_branch .LBB169_47
.LBB169_45:
	s_mov_b64 s[4:5], -1
                                        ; implicit-def: $vgpr3
.LBB169_46:
	s_mov_b64 s[8:9], 0
.LBB169_47:
	s_and_b64 vcc, exec, s[8:9]
	s_cbranch_vccz .LBB169_49
; %bb.48:
	v_mul_f32_e32 v3, 0xbfb8aa3b, v2
	s_mov_b32 s7, 0xbfb8aa3b
	v_rndne_f32_e32 v4, v3
	v_sub_f32_e32 v5, v3, v4
	v_fma_f32 v3, v2, s7, -v3
	v_fmamk_f32 v3, v2, 0xb2a5705f, v3
	v_add_f32_e32 v3, v5, v3
	v_exp_f32_e32 v3, v3
	v_cvt_i32_f32_e32 v4, v4
	s_mov_b32 s7, 0x42ce8ed0
	v_cmp_nlt_f32_e32 vcc, s7, v2
	s_mov_b32 s7, 0xc2b17218
	v_ldexp_f32 v3, v3, v4
	v_cndmask_b32_e32 v3, 0, v3, vcc
	v_mov_b32_e32 v4, 0x7f800000
	v_cmp_ngt_f32_e32 vcc, s7, v2
	s_nop 1
	v_cndmask_b32_e32 v3, v4, v3, vcc
	v_add_f32_e32 v3, 1.0, v3
	v_div_scale_f32 v4, s[8:9], v3, v3, v2
	v_rcp_f32_e32 v5, v4
	s_nop 0
	v_fma_f32 v6, -v4, v5, 1.0
	v_fmac_f32_e32 v5, v6, v5
	v_div_scale_f32 v6, vcc, v2, v3, v2
	v_mul_f32_e32 v7, v6, v5
	v_fma_f32 v8, -v4, v7, v6
	v_fmac_f32_e32 v7, v8, v5
	v_fma_f32 v4, -v4, v7, v6
	v_div_fmas_f32 v4, v4, v5, v7
	v_div_fixup_f32 v3, v4, v3, v2
	v_mul_f32_e32 v3, v1, v3
.LBB169_49:
	s_branch .LBB169_51
.LBB169_50:
	s_cmp_lg_u32 s15, 1
	s_mov_b64 s[0:1], -1
	s_cselect_b64 s[4:5], -1, 0
                                        ; implicit-def: $vgpr3
.LBB169_51:
	s_andn2_b64 vcc, exec, s[4:5]
	s_cbranch_vccz .LBB169_53
; %bb.52:
	s_andn2_b64 vcc, exec, s[0:1]
	s_cbranch_vccz .LBB169_54
	s_branch .LBB169_59
.LBB169_53:
	v_mul_f32_e32 v3, v1, v2
	s_cbranch_execnz .LBB169_59
.LBB169_54:
	v_mul_f32_e32 v4, 0x3d372713, v2
	v_mul_f32_e32 v3, 0x3f4c422a, v2
	v_fma_f32 v4, v2, v4, 1.0
	v_mul_f32_e32 v3, v3, v4
	s_mov_b32 s0, 0x3f200000
	v_cmp_nlt_f32_e64 s[0:1], |v3|, s0
                                        ; implicit-def: $vgpr4
	s_and_saveexec_b64 s[4:5], s[0:1]
	s_xor_b64 s[0:1], exec, s[4:5]
	s_cbranch_execz .LBB169_56
; %bb.55:
	v_add_f32_e64 v4, |v3|, |v3|
	v_mul_f32_e32 v5, 0x3fb8aa3b, v4
	s_mov_b32 s4, 0x3fb8aa3b
	v_rndne_f32_e32 v6, v5
	v_sub_f32_e32 v7, v5, v6
	v_fma_f32 v5, v4, s4, -v5
	v_fmamk_f32 v5, v4, 0x32a5705f, v5
	v_add_f32_e32 v5, v7, v5
	v_exp_f32_e32 v5, v5
	v_cvt_i32_f32_e32 v6, v6
	s_mov_b32 s4, 0xc2ce8ed0
	v_cmp_ngt_f32_e32 vcc, s4, v4
	s_mov_b32 s4, 0x42b17218
	v_ldexp_f32 v5, v5, v6
	v_cndmask_b32_e32 v5, 0, v5, vcc
	v_mov_b32_e32 v6, 0x7f800000
	v_cmp_nlt_f32_e32 vcc, s4, v4
	s_nop 1
	v_cndmask_b32_e32 v4, v6, v5, vcc
	v_add_f32_e32 v4, 1.0, v4
	v_rcp_f32_e32 v4, v4
	s_nop 0
	v_fma_f32 v4, v4, -2.0, 1.0
.LBB169_56:
	s_andn2_saveexec_b64 s[0:1], s[0:1]
; %bb.57:
	v_mul_f32_e32 v4, v3, v3
	v_mov_b32_e32 v5, 0x3ca908c9
	v_fmac_f32_e32 v5, 0xbbbac73d, v4
	v_fmaak_f32 v5, v4, v5, 0xbd5c1c4e
	v_fmaak_f32 v5, v4, v5, 0x3e088382
	;; [unrolled: 1-line block ×3, first 2 shown]
	v_mul_f32_e64 v5, |v3|, v5
	v_fma_f32 v4, v4, v5, |v3|
; %bb.58:
	s_or_b64 exec, exec, s[0:1]
	s_brev_b32 s0, -2
	v_bfi_b32 v3, s0, v4, v3
	v_mul_f32_e32 v2, 0.5, v2
	v_add_f32_e32 v3, 1.0, v3
	v_mul_f32_e32 v2, v2, v3
	v_mul_f32_e32 v3, v1, v2
.LBB169_59:
	v_mov_b32_e32 v1, v3
.LBB169_60:
	s_load_dwordx2 s[0:1], s[2:3], 0x38
	s_mul_i32 s4, s14, s26
	s_mul_i32 s6, s6, s30
	s_add_i32 s2, s4, s20
	s_add_i32 s2, s2, s6
	s_mov_b32 s3, 0
	s_lshl_b64 s[2:3], s[2:3], 2
	s_waitcnt lgkmcnt(0)
	s_add_u32 s0, s0, s2
	s_addc_u32 s1, s1, s3
	global_store_dword v0, v1, s[0:1]
.LBB169_61:
	s_endpgm
	.section	.rodata,"a",@progbits
	.p2align	6, 0x0
	.amdhsa_kernel _ZL13mul_mat_vec_qIL9ggml_type17ELi1ELb1ELb1EEvPKvS2_PKi31ggml_cuda_mm_fusion_args_devicePfj15HIP_vector_typeIjLj3EEjjjS8_jjjS8_jjjj
		.amdhsa_group_segment_fixed_size 3072
		.amdhsa_private_segment_fixed_size 0
		.amdhsa_kernarg_size 144
		.amdhsa_user_sgpr_count 4
		.amdhsa_user_sgpr_dispatch_ptr 1
		.amdhsa_user_sgpr_queue_ptr 0
		.amdhsa_user_sgpr_kernarg_segment_ptr 1
		.amdhsa_user_sgpr_dispatch_id 0
		.amdhsa_user_sgpr_kernarg_preload_length 0
		.amdhsa_user_sgpr_kernarg_preload_offset 0
		.amdhsa_user_sgpr_private_segment_size 0
		.amdhsa_uses_dynamic_stack 0
		.amdhsa_enable_private_segment 0
		.amdhsa_system_sgpr_workgroup_id_x 1
		.amdhsa_system_sgpr_workgroup_id_y 1
		.amdhsa_system_sgpr_workgroup_id_z 1
		.amdhsa_system_sgpr_workgroup_info 0
		.amdhsa_system_vgpr_workitem_id 2
		.amdhsa_next_free_vgpr 71
		.amdhsa_next_free_sgpr 46
		.amdhsa_accum_offset 72
		.amdhsa_reserve_vcc 1
		.amdhsa_float_round_mode_32 0
		.amdhsa_float_round_mode_16_64 0
		.amdhsa_float_denorm_mode_32 3
		.amdhsa_float_denorm_mode_16_64 3
		.amdhsa_dx10_clamp 1
		.amdhsa_ieee_mode 1
		.amdhsa_fp16_overflow 0
		.amdhsa_tg_split 0
		.amdhsa_exception_fp_ieee_invalid_op 0
		.amdhsa_exception_fp_denorm_src 0
		.amdhsa_exception_fp_ieee_div_zero 0
		.amdhsa_exception_fp_ieee_overflow 0
		.amdhsa_exception_fp_ieee_underflow 0
		.amdhsa_exception_fp_ieee_inexact 0
		.amdhsa_exception_int_div_zero 0
	.end_amdhsa_kernel
	.section	.text._ZL13mul_mat_vec_qIL9ggml_type17ELi1ELb1ELb1EEvPKvS2_PKi31ggml_cuda_mm_fusion_args_devicePfj15HIP_vector_typeIjLj3EEjjjS8_jjjS8_jjjj,"axG",@progbits,_ZL13mul_mat_vec_qIL9ggml_type17ELi1ELb1ELb1EEvPKvS2_PKi31ggml_cuda_mm_fusion_args_devicePfj15HIP_vector_typeIjLj3EEjjjS8_jjjS8_jjjj,comdat
.Lfunc_end169:
	.size	_ZL13mul_mat_vec_qIL9ggml_type17ELi1ELb1ELb1EEvPKvS2_PKi31ggml_cuda_mm_fusion_args_devicePfj15HIP_vector_typeIjLj3EEjjjS8_jjjS8_jjjj, .Lfunc_end169-_ZL13mul_mat_vec_qIL9ggml_type17ELi1ELb1ELb1EEvPKvS2_PKi31ggml_cuda_mm_fusion_args_devicePfj15HIP_vector_typeIjLj3EEjjjS8_jjjS8_jjjj
                                        ; -- End function
	.section	.AMDGPU.csdata,"",@progbits
; Kernel info:
; codeLenInByte = 10928
; NumSgprs: 52
; NumVgprs: 71
; NumAgprs: 0
; TotalNumVgprs: 71
; ScratchSize: 0
; MemoryBound: 0
; FloatMode: 240
; IeeeMode: 1
; LDSByteSize: 3072 bytes/workgroup (compile time only)
; SGPRBlocks: 6
; VGPRBlocks: 8
; NumSGPRsForWavesPerEU: 52
; NumVGPRsForWavesPerEU: 71
; AccumOffset: 72
; Occupancy: 7
; WaveLimiterHint : 0
; COMPUTE_PGM_RSRC2:SCRATCH_EN: 0
; COMPUTE_PGM_RSRC2:USER_SGPR: 4
; COMPUTE_PGM_RSRC2:TRAP_HANDLER: 0
; COMPUTE_PGM_RSRC2:TGID_X_EN: 1
; COMPUTE_PGM_RSRC2:TGID_Y_EN: 1
; COMPUTE_PGM_RSRC2:TGID_Z_EN: 1
; COMPUTE_PGM_RSRC2:TIDIG_COMP_CNT: 2
; COMPUTE_PGM_RSRC3_GFX90A:ACCUM_OFFSET: 17
; COMPUTE_PGM_RSRC3_GFX90A:TG_SPLIT: 0
	.section	.text._ZL13mul_mat_vec_qIL9ggml_type17ELi1ELb0ELb1EEvPKvS2_PKi31ggml_cuda_mm_fusion_args_devicePfj15HIP_vector_typeIjLj3EEjjjS8_jjjS8_jjjj,"axG",@progbits,_ZL13mul_mat_vec_qIL9ggml_type17ELi1ELb0ELb1EEvPKvS2_PKi31ggml_cuda_mm_fusion_args_devicePfj15HIP_vector_typeIjLj3EEjjjS8_jjjS8_jjjj,comdat
	.globl	_ZL13mul_mat_vec_qIL9ggml_type17ELi1ELb0ELb1EEvPKvS2_PKi31ggml_cuda_mm_fusion_args_devicePfj15HIP_vector_typeIjLj3EEjjjS8_jjjS8_jjjj ; -- Begin function _ZL13mul_mat_vec_qIL9ggml_type17ELi1ELb0ELb1EEvPKvS2_PKi31ggml_cuda_mm_fusion_args_devicePfj15HIP_vector_typeIjLj3EEjjjS8_jjjS8_jjjj
	.p2align	8
	.type	_ZL13mul_mat_vec_qIL9ggml_type17ELi1ELb0ELb1EEvPKvS2_PKi31ggml_cuda_mm_fusion_args_devicePfj15HIP_vector_typeIjLj3EEjjjS8_jjjS8_jjjj,@function
_ZL13mul_mat_vec_qIL9ggml_type17ELi1ELb0ELb1EEvPKvS2_PKi31ggml_cuda_mm_fusion_args_devicePfj15HIP_vector_typeIjLj3EEjjjS8_jjjS8_jjjj: ; @_ZL13mul_mat_vec_qIL9ggml_type17ELi1ELb0ELb1EEvPKvS2_PKi31ggml_cuda_mm_fusion_args_devicePfj15HIP_vector_typeIjLj3EEjjjS8_jjjS8_jjjj
; %bb.0:
	s_load_dwordx2 s[8:9], s[2:3], 0x10
	s_load_dwordx4 s[16:19], s[2:3], 0x40
	s_mov_b32 s20, s5
	s_mov_b64 s[14:15], 0
	s_waitcnt lgkmcnt(0)
	s_cmp_lg_u64 s[8:9], 0
	s_cselect_b64 s[12:13], -1, 0
	s_cmp_eq_u64 s[8:9], 0
	s_cbranch_scc1 .LBB170_5
; %bb.1:
	s_mov_b32 s21, 0
	s_lshl_b64 s[10:11], s[20:21], 2
	s_add_u32 s8, s8, s10
	s_addc_u32 s9, s9, s11
	s_load_dword s21, s[8:9], 0x0
	s_nop 0
	s_load_dwordx4 s[8:11], s[2:3], 0x68
	s_load_dword s5, s[2:3], 0x50
	s_andn2_b64 vcc, exec, s[14:15]
	s_cbranch_vccnz .LBB170_3
.LBB170_2:
	s_load_dwordx2 s[14:15], s[2:3], 0x5c
	s_waitcnt lgkmcnt(0)
	s_mul_hi_u32 s7, s14, s20
	s_add_i32 s7, s20, s7
	s_lshr_b32 s21, s7, s15
.LBB170_3:
	s_load_dword s22, s[2:3], 0x78
	s_andn2_b64 vcc, exec, s[12:13]
	s_cbranch_vccnz .LBB170_6
; %bb.4:
	s_mul_hi_u32 s7, s17, s20
	s_add_i32 s7, s20, s7
	s_lshr_b32 s7, s7, s18
	s_mul_i32 s7, s7, s19
	s_sub_i32 s17, s20, s7
	s_branch .LBB170_7
.LBB170_5:
                                        ; implicit-def: $sgpr21
	s_load_dwordx4 s[8:11], s[2:3], 0x68
	s_load_dword s5, s[2:3], 0x50
	s_branch .LBB170_2
.LBB170_6:
	s_mov_b32 s17, s20
.LBB170_7:
	s_load_dwordx2 s[18:19], s[0:1], 0x4
	s_load_dwordx4 s[12:15], s[2:3], 0x80
	v_bfe_u32 v26, v0, 10, 10
	v_and_b32_e32 v25, 0x3ff, v0
	v_bfe_u32 v0, v0, 20, 10
	s_waitcnt lgkmcnt(0)
	s_lshr_b32 s0, s18, 16
	v_mul_u32_u24_e32 v1, s19, v26
	s_mul_i32 s0, s0, s19
	v_mad_u32_u24 v1, s0, v25, v1
	v_add_lshl_u32 v1, v1, v0, 3
	v_lshl_add_u32 v0, v26, 6, v25
	s_lshr_b32 s15, s16, 8
	v_lshrrev_b32_e32 v27, 3, v0
	v_add_u32_e32 v24, 0x200, v1
	s_lshl_b32 s7, s4, 1
	v_mov_b32_e32 v11, 0
	v_cmp_gt_u32_e32 vcc, s15, v27
	v_mov_b32_e32 v10, 0
	ds_write2_b32 v1, v11, v11 offset0:128 offset1:129
	s_and_saveexec_b64 s[0:1], vcc
	s_cbranch_execz .LBB170_11
; %bb.8:
	s_mul_i32 s4, s17, s9
	s_mul_hi_u32 s9, s11, s6
	s_add_i32 s9, s6, s9
	s_lshr_b32 s9, s9, s22
	s_mul_i32 s8, s21, s8
	s_mul_i32 s9, s9, s12
	s_add_i32 s16, s9, s8
	s_add_i32 s8, s7, 1
	v_lshlrev_b32_e32 v1, 1, v25
	s_mul_i32 s11, s7, s5
	s_mul_i32 s5, s5, s8
	s_load_dwordx4 s[24:27], s[2:3], 0x0
	v_and_b32_e32 v1, 14, v1
	s_add_i32 s11, s16, s11
	s_add_i32 s16, s16, s5
	s_mul_hi_u32 s5, s4, 36
	s_mul_i32 s4, s4, 36
	v_lshlrev_b32_e32 v2, 1, v1
	v_lshrrev_b32_e32 v3, 3, v0
	v_mov_b32_e32 v0, s4
	v_mov_b32_e32 v1, s5
	s_movk_i32 s4, 0x120
	s_mul_i32 s13, s6, s13
	v_mad_u64_u32 v[0:1], s[4:5], v3, s4, v[0:1]
	v_and_b32_e32 v8, 7, v25
	v_mad_u64_u32 v[0:1], s[4:5], s13, 36, v[0:1]
	v_mad_u64_u32 v[0:1], s[4:5], v8, 36, v[0:1]
	v_mov_b32_e32 v9, 0
	s_waitcnt lgkmcnt(0)
	v_lshl_add_u64 v[0:1], v[0:1], 0, s[26:27]
	v_lshl_add_u64 v[12:13], v[0:1], 0, 16
	s_mov_b64 s[4:5], 0
	s_movk_i32 s17, 0x4a
	v_mov_b64_e32 v[14:15], s[24:25]
	v_lshlrev_b32_e32 v16, 1, v2
	v_mov_b32_e32 v17, v9
	s_mov_b32 s18, 0x1010101
	s_movk_i32 s19, 0xff00
	s_mov_b64 s[8:9], 0x1200
	v_mov_b32_e32 v28, 8
	v_mov_b32_e32 v29, 6
	;; [unrolled: 1-line block ×4, first 2 shown]
.LBB170_9:                              ; =>This Inner Loop Header: Depth=1
	v_add_u32_e32 v18, s11, v27
	v_mad_i64_i32 v[20:21], s[12:13], v18, s17, v[14:15]
	v_lshl_add_u64 v[22:23], v[20:21], 0, v[16:17]
	global_load_dword v33, v[12:13], off offset:16
	global_load_dwordx4 v[0:3], v[12:13], off
	global_load_dwordx4 v[4:7], v[12:13], off offset:-16
	s_getpc_b64 s[12:13]
	s_add_u32 s12, s12, _ZL10iq2xs_grid@rel32@lo+4
	s_addc_u32 s13, s13, _ZL10iq2xs_grid@rel32@hi+12
	global_load_dwordx2 v[22:23], v[22:23], off offset:2
	v_lshl_add_u64 v[18:19], v[20:21], 0, v[8:9]
	v_lshl_add_u64 v[12:13], v[12:13], 0, s[8:9]
	s_waitcnt vmcnt(1)
	v_cvt_f32_f16_e32 v4, v4
	s_waitcnt vmcnt(0)
	v_and_b32_e32 v32, 0x1ff01ff, v22
	v_and_b32_e32 v30, 0x1ff, v32
	v_lshlrev_b32_e32 v30, 3, v30
	global_load_dwordx2 v[30:31], v30, s[12:13]
	v_lshrrev_b16_e32 v34, 9, v22
	v_bcnt_u32_b32 v35, v34, 0
	v_and_b32_e32 v35, 1, v35
	v_lshl_or_b32 v35, v35, 7, v34
	v_mul_lo_u32 v35, v35, s18
	v_and_b32_e32 v36, 0x8000000, v35
	v_lshrrev_b32_e32 v38, 8, v35
	v_lshrrev_b16_e32 v39, 1, v38
	v_cmp_ne_u16_sdwa s[22:23], v36, v9 src0_sel:BYTE_3 src1_sel:DWORD
	v_lshlrev_b16_e32 v37, 6, v22
	v_bfe_i32 v39, v39, 0, 1
	v_lshrrev_b32_e32 v40, 18, v35
	v_cndmask_b32_e64 v36, 0, -1, s[22:23]
	v_ashrrev_i16_e32 v37, 15, v37
	v_bfe_i32 v40, v40, 0, 1
	v_lshlrev_b16_e32 v36, 8, v36
	v_lshlrev_b16_e32 v39, 8, v39
	v_or_b32_sdwa v41, v40, v36 dst_sel:WORD_1 dst_unused:UNUSED_PAD src0_sel:BYTE_0 src1_sel:DWORD
	v_or_b32_sdwa v42, v37, v39 dst_sel:DWORD dst_unused:UNUSED_PAD src0_sel:BYTE_0 src1_sel:DWORD
	v_or_b32_sdwa v41, v42, v41 dst_sel:DWORD dst_unused:UNUSED_PAD src0_sel:WORD_0 src1_sel:DWORD
	v_lshlrev_b16_e32 v37, 8, v37
	v_bfe_i32 v34, v34, 4, 1
	s_waitcnt vmcnt(0)
	v_xor_b32_e32 v30, v30, v41
	v_and_b32_e32 v41, 0xffffff00, v30
	v_sub_i16 v39, v41, v39 clamp
	v_lshlrev_b16_e32 v41, 8, v30
	v_and_b32_e32 v39, 0xffffff00, v39
	v_sub_i16 v37, v41, v37 clamp
	v_or_b32_sdwa v37, v37, v39 dst_sel:DWORD dst_unused:UNUSED_PAD src0_sel:BYTE_1 src1_sel:DWORD
	v_and_b32_sdwa v39, v30, s19 dst_sel:DWORD dst_unused:UNUSED_PAD src0_sel:WORD_1 src1_sel:DWORD
	v_sub_i16 v36, v39, v36 clamp
	v_lshlrev_b16_sdwa v30, v28, v30 dst_sel:DWORD dst_unused:UNUSED_PAD src0_sel:DWORD src1_sel:WORD_1
	v_lshlrev_b16_e32 v39, 8, v40
	v_and_b32_e32 v36, 0xffffff00, v36
	v_sub_i16 v30, v30, v39 clamp
	v_or_b32_sdwa v30, v30, v36 dst_sel:WORD_1 dst_unused:UNUSED_PAD src0_sel:BYTE_1 src1_sel:DWORD
	v_and_b32_e32 v36, 0x80000000, v35
	v_or_b32_sdwa v30, v37, v30 dst_sel:DWORD dst_unused:UNUSED_PAD src0_sel:WORD_0 src1_sel:DWORD
	v_lshrrev_b16_e32 v37, 5, v38
	v_cmp_ne_u16_sdwa s[22:23], v36, v9 src0_sel:BYTE_3 src1_sel:DWORD
	v_bfe_i32 v37, v37, 0, 1
	v_lshrrev_b32_e32 v35, 22, v35
	v_cndmask_b32_e64 v36, 0, -1, s[22:23]
	v_bfe_i32 v35, v35, 0, 1
	v_lshlrev_b16_e32 v36, 8, v36
	v_lshlrev_b16_e32 v37, 8, v37
	v_or_b32_sdwa v38, v35, v36 dst_sel:WORD_1 dst_unused:UNUSED_PAD src0_sel:BYTE_0 src1_sel:DWORD
	v_or_b32_sdwa v39, v34, v37 dst_sel:DWORD dst_unused:UNUSED_PAD src0_sel:BYTE_0 src1_sel:DWORD
	v_or_b32_sdwa v38, v39, v38 dst_sel:DWORD dst_unused:UNUSED_PAD src0_sel:WORD_0 src1_sel:DWORD
	v_xor_b32_e32 v31, v31, v38
	v_and_b32_e32 v38, 0xffffff00, v31
	v_sub_i16 v37, v38, v37 clamp
	v_lshlrev_b16_e32 v38, 8, v31
	v_lshlrev_b16_e32 v34, 8, v34
	v_and_b32_e32 v37, 0xffffff00, v37
	v_sub_i16 v34, v38, v34 clamp
	v_or_b32_sdwa v34, v34, v37 dst_sel:DWORD dst_unused:UNUSED_PAD src0_sel:BYTE_1 src1_sel:DWORD
	v_and_b32_sdwa v37, v31, s19 dst_sel:DWORD dst_unused:UNUSED_PAD src0_sel:WORD_1 src1_sel:DWORD
	v_sub_i16 v36, v37, v36 clamp
	v_lshlrev_b16_sdwa v31, v28, v31 dst_sel:DWORD dst_unused:UNUSED_PAD src0_sel:DWORD src1_sel:WORD_1
	v_lshlrev_b16_e32 v35, 8, v35
	v_and_b32_e32 v36, 0xffffff00, v36
	v_sub_i16 v31, v31, v35 clamp
	v_or_b32_sdwa v31, v31, v36 dst_sel:WORD_1 dst_unused:UNUSED_PAD src0_sel:BYTE_1 src1_sel:DWORD
	s_nop 0
	v_or_b32_sdwa v34, v34, v31 dst_sel:DWORD dst_unused:UNUSED_PAD src0_sel:WORD_0 src1_sel:DWORD
	v_mov_b32_e32 v31, 0
	v_dot4c_i32_i8_e32 v31, v30, v5
	v_lshrrev_b32_e32 v30, 13, v32
	v_dot4c_i32_i8_e32 v31, v34, v6
	global_load_dwordx2 v[34:35], v30, s[12:13]
	v_lshrrev_b32_e32 v30, 25, v22
	v_bcnt_u32_b32 v32, v30, 0
	v_and_b32_e32 v32, 1, v32
	v_alignbit_b32 v32, v32, v22, 25
	v_mul_lo_u32 v32, v32, s18
	v_and_b32_e32 v36, 0x8000000, v32
	v_lshrrev_b32_e32 v37, 8, v32
	v_lshrrev_b16_e32 v38, 1, v37
	v_cmp_ne_u16_sdwa s[22:23], v36, v9 src0_sel:BYTE_3 src1_sel:DWORD
	v_lshlrev_b16_sdwa v22, v29, v22 dst_sel:DWORD dst_unused:UNUSED_PAD src0_sel:DWORD src1_sel:WORD_1
	v_bfe_i32 v38, v38, 0, 1
	v_lshrrev_b32_e32 v39, 18, v32
	v_cndmask_b32_e64 v36, 0, -1, s[22:23]
	v_ashrrev_i16_e32 v22, 15, v22
	v_bfe_i32 v39, v39, 0, 1
	v_lshlrev_b16_e32 v36, 8, v36
	v_lshlrev_b16_e32 v38, 8, v38
	v_or_b32_sdwa v40, v39, v36 dst_sel:WORD_1 dst_unused:UNUSED_PAD src0_sel:BYTE_0 src1_sel:DWORD
	v_or_b32_sdwa v41, v22, v38 dst_sel:DWORD dst_unused:UNUSED_PAD src0_sel:BYTE_0 src1_sel:DWORD
	v_or_b32_sdwa v40, v41, v40 dst_sel:DWORD dst_unused:UNUSED_PAD src0_sel:WORD_0 src1_sel:DWORD
	v_lshlrev_b16_e32 v22, 8, v22
	v_bfe_i32 v30, v30, 4, 1
	s_waitcnt vmcnt(0)
	v_xor_b32_e32 v34, v34, v40
	v_and_b32_e32 v40, 0xffffff00, v34
	v_sub_i16 v38, v40, v38 clamp
	v_lshlrev_b16_e32 v40, 8, v34
	v_and_b32_e32 v38, 0xffffff00, v38
	v_sub_i16 v22, v40, v22 clamp
	v_or_b32_sdwa v22, v22, v38 dst_sel:DWORD dst_unused:UNUSED_PAD src0_sel:BYTE_1 src1_sel:DWORD
	v_and_b32_sdwa v38, v34, s19 dst_sel:DWORD dst_unused:UNUSED_PAD src0_sel:WORD_1 src1_sel:DWORD
	v_sub_i16 v36, v38, v36 clamp
	v_lshlrev_b16_sdwa v34, v28, v34 dst_sel:DWORD dst_unused:UNUSED_PAD src0_sel:DWORD src1_sel:WORD_1
	v_lshlrev_b16_e32 v38, 8, v39
	v_and_b32_e32 v36, 0xffffff00, v36
	v_sub_i16 v34, v34, v38 clamp
	v_or_b32_sdwa v34, v34, v36 dst_sel:WORD_1 dst_unused:UNUSED_PAD src0_sel:BYTE_1 src1_sel:DWORD
	v_lshrrev_b16_e32 v36, 5, v37
	v_or_b32_sdwa v22, v22, v34 dst_sel:DWORD dst_unused:UNUSED_PAD src0_sel:WORD_0 src1_sel:DWORD
	v_and_b32_e32 v34, 0x80000000, v32
	v_cmp_ne_u16_sdwa s[22:23], v34, v9 src0_sel:BYTE_3 src1_sel:DWORD
	v_bfe_i32 v36, v36, 0, 1
	v_lshrrev_b32_e32 v32, 22, v32
	v_cndmask_b32_e64 v34, 0, -1, s[22:23]
	v_bfe_i32 v32, v32, 0, 1
	v_lshlrev_b16_e32 v34, 8, v34
	v_lshlrev_b16_e32 v36, 8, v36
	v_or_b32_sdwa v37, v32, v34 dst_sel:WORD_1 dst_unused:UNUSED_PAD src0_sel:BYTE_0 src1_sel:DWORD
	v_or_b32_sdwa v38, v30, v36 dst_sel:DWORD dst_unused:UNUSED_PAD src0_sel:BYTE_0 src1_sel:DWORD
	v_or_b32_sdwa v37, v38, v37 dst_sel:DWORD dst_unused:UNUSED_PAD src0_sel:WORD_0 src1_sel:DWORD
	v_xor_b32_e32 v35, v35, v37
	v_and_b32_e32 v37, 0xffffff00, v35
	v_sub_i16 v36, v37, v36 clamp
	v_lshlrev_b16_e32 v37, 8, v35
	v_lshlrev_b16_e32 v30, 8, v30
	v_and_b32_e32 v36, 0xffffff00, v36
	v_sub_i16 v30, v37, v30 clamp
	v_or_b32_sdwa v30, v30, v36 dst_sel:DWORD dst_unused:UNUSED_PAD src0_sel:BYTE_1 src1_sel:DWORD
	v_and_b32_sdwa v36, v35, s19 dst_sel:DWORD dst_unused:UNUSED_PAD src0_sel:WORD_1 src1_sel:DWORD
	v_sub_i16 v34, v36, v34 clamp
	v_lshlrev_b16_sdwa v35, v28, v35 dst_sel:DWORD dst_unused:UNUSED_PAD src0_sel:DWORD src1_sel:WORD_1
	v_lshlrev_b16_e32 v32, 8, v32
	v_and_b32_e32 v34, 0xffffff00, v34
	v_sub_i16 v32, v35, v32 clamp
	v_or_b32_sdwa v32, v32, v34 dst_sel:WORD_1 dst_unused:UNUSED_PAD src0_sel:BYTE_1 src1_sel:DWORD
	v_dot4c_i32_i8_e32 v31, v22, v7
	v_or_b32_sdwa v30, v30, v32 dst_sel:DWORD dst_unused:UNUSED_PAD src0_sel:WORD_0 src1_sel:DWORD
	v_and_b32_e32 v22, 0x1ff01ff, v23
	v_dot4c_i32_i8_e32 v31, v30, v0
	v_and_b32_e32 v30, 0x1ff, v22
	v_lshlrev_b32_e32 v30, 3, v30
	global_load_dwordx2 v[34:35], v30, s[12:13]
	v_lshrrev_b16_e32 v30, 9, v23
	v_bcnt_u32_b32 v32, v30, 0
	v_and_b32_e32 v32, 1, v32
	v_lshl_or_b32 v32, v32, 7, v30
	v_mul_lo_u32 v32, v32, s18
	v_and_b32_e32 v36, 0x8000000, v32
	v_lshrrev_b32_e32 v38, 8, v32
	v_lshrrev_b16_e32 v39, 1, v38
	v_cmp_ne_u16_sdwa s[22:23], v36, v9 src0_sel:BYTE_3 src1_sel:DWORD
	v_lshlrev_b16_e32 v37, 6, v23
	v_bfe_i32 v39, v39, 0, 1
	v_lshrrev_b32_e32 v40, 18, v32
	v_cndmask_b32_e64 v36, 0, -1, s[22:23]
	v_ashrrev_i16_e32 v37, 15, v37
	v_bfe_i32 v40, v40, 0, 1
	v_lshlrev_b16_e32 v36, 8, v36
	v_lshlrev_b16_e32 v39, 8, v39
	v_or_b32_sdwa v41, v40, v36 dst_sel:WORD_1 dst_unused:UNUSED_PAD src0_sel:BYTE_0 src1_sel:DWORD
	v_or_b32_sdwa v42, v37, v39 dst_sel:DWORD dst_unused:UNUSED_PAD src0_sel:BYTE_0 src1_sel:DWORD
	v_or_b32_sdwa v41, v42, v41 dst_sel:DWORD dst_unused:UNUSED_PAD src0_sel:WORD_0 src1_sel:DWORD
	v_lshlrev_b16_e32 v37, 8, v37
	v_bfe_i32 v30, v30, 4, 1
	v_lshrrev_b32_e32 v22, 13, v22
	s_waitcnt vmcnt(0)
	v_xor_b32_e32 v34, v34, v41
	v_and_b32_e32 v41, 0xffffff00, v34
	v_sub_i16 v39, v41, v39 clamp
	v_lshlrev_b16_e32 v41, 8, v34
	v_and_b32_e32 v39, 0xffffff00, v39
	v_sub_i16 v37, v41, v37 clamp
	v_or_b32_sdwa v37, v37, v39 dst_sel:DWORD dst_unused:UNUSED_PAD src0_sel:BYTE_1 src1_sel:DWORD
	v_and_b32_sdwa v39, v34, s19 dst_sel:DWORD dst_unused:UNUSED_PAD src0_sel:WORD_1 src1_sel:DWORD
	v_sub_i16 v36, v39, v36 clamp
	v_lshlrev_b16_sdwa v34, v28, v34 dst_sel:DWORD dst_unused:UNUSED_PAD src0_sel:DWORD src1_sel:WORD_1
	v_lshlrev_b16_e32 v39, 8, v40
	v_and_b32_e32 v36, 0xffffff00, v36
	v_sub_i16 v34, v34, v39 clamp
	v_or_b32_sdwa v34, v34, v36 dst_sel:WORD_1 dst_unused:UNUSED_PAD src0_sel:BYTE_1 src1_sel:DWORD
	v_and_b32_e32 v36, 0x80000000, v32
	v_or_b32_sdwa v34, v37, v34 dst_sel:DWORD dst_unused:UNUSED_PAD src0_sel:WORD_0 src1_sel:DWORD
	v_lshrrev_b16_e32 v37, 5, v38
	v_cmp_ne_u16_sdwa s[22:23], v36, v9 src0_sel:BYTE_3 src1_sel:DWORD
	v_bfe_i32 v37, v37, 0, 1
	v_lshrrev_b32_e32 v32, 22, v32
	v_cndmask_b32_e64 v36, 0, -1, s[22:23]
	v_bfe_i32 v32, v32, 0, 1
	v_lshlrev_b16_e32 v36, 8, v36
	v_lshlrev_b16_e32 v37, 8, v37
	v_or_b32_sdwa v38, v32, v36 dst_sel:WORD_1 dst_unused:UNUSED_PAD src0_sel:BYTE_0 src1_sel:DWORD
	v_or_b32_sdwa v39, v30, v37 dst_sel:DWORD dst_unused:UNUSED_PAD src0_sel:BYTE_0 src1_sel:DWORD
	v_or_b32_sdwa v38, v39, v38 dst_sel:DWORD dst_unused:UNUSED_PAD src0_sel:WORD_0 src1_sel:DWORD
	v_xor_b32_e32 v35, v35, v38
	v_and_b32_e32 v38, 0xffffff00, v35
	v_sub_i16 v37, v38, v37 clamp
	v_lshlrev_b16_e32 v38, 8, v35
	v_lshlrev_b16_e32 v30, 8, v30
	v_and_b32_e32 v37, 0xffffff00, v37
	v_sub_i16 v30, v38, v30 clamp
	v_or_b32_sdwa v30, v30, v37 dst_sel:DWORD dst_unused:UNUSED_PAD src0_sel:BYTE_1 src1_sel:DWORD
	v_and_b32_sdwa v37, v35, s19 dst_sel:DWORD dst_unused:UNUSED_PAD src0_sel:WORD_1 src1_sel:DWORD
	v_sub_i16 v36, v37, v36 clamp
	v_lshlrev_b16_sdwa v35, v28, v35 dst_sel:DWORD dst_unused:UNUSED_PAD src0_sel:DWORD src1_sel:WORD_1
	v_lshlrev_b16_e32 v32, 8, v32
	v_and_b32_e32 v36, 0xffffff00, v36
	v_sub_i16 v32, v35, v32 clamp
	v_or_b32_sdwa v32, v32, v36 dst_sel:WORD_1 dst_unused:UNUSED_PAD src0_sel:BYTE_1 src1_sel:DWORD
	s_nop 0
	v_or_b32_sdwa v30, v30, v32 dst_sel:DWORD dst_unused:UNUSED_PAD src0_sel:WORD_0 src1_sel:DWORD
	v_mov_b32_e32 v32, 0
	v_dot4c_i32_i8_e32 v32, v34, v1
	global_load_dwordx2 v[34:35], v22, s[12:13]
	v_lshrrev_b32_e32 v22, 25, v23
	v_dot4c_i32_i8_e32 v32, v30, v2
	v_bcnt_u32_b32 v30, v22, 0
	v_and_b32_e32 v30, 1, v30
	v_alignbit_b32 v30, v30, v23, 25
	v_mul_lo_u32 v30, v30, s18
	v_and_b32_e32 v36, 0x8000000, v30
	v_lshrrev_b32_e32 v37, 8, v30
	v_lshrrev_b16_e32 v38, 1, v37
	v_cmp_ne_u16_sdwa s[22:23], v36, v9 src0_sel:BYTE_3 src1_sel:DWORD
	v_lshlrev_b16_sdwa v23, v29, v23 dst_sel:DWORD dst_unused:UNUSED_PAD src0_sel:DWORD src1_sel:WORD_1
	v_bfe_i32 v38, v38, 0, 1
	v_lshrrev_b32_e32 v39, 18, v30
	v_cndmask_b32_e64 v36, 0, -1, s[22:23]
	v_ashrrev_i16_e32 v23, 15, v23
	v_bfe_i32 v39, v39, 0, 1
	v_lshlrev_b16_e32 v36, 8, v36
	v_lshlrev_b16_e32 v38, 8, v38
	v_or_b32_sdwa v40, v39, v36 dst_sel:WORD_1 dst_unused:UNUSED_PAD src0_sel:BYTE_0 src1_sel:DWORD
	v_or_b32_sdwa v41, v23, v38 dst_sel:DWORD dst_unused:UNUSED_PAD src0_sel:BYTE_0 src1_sel:DWORD
	v_or_b32_sdwa v40, v41, v40 dst_sel:DWORD dst_unused:UNUSED_PAD src0_sel:WORD_0 src1_sel:DWORD
	v_lshlrev_b16_e32 v23, 8, v23
	v_bfe_i32 v22, v22, 4, 1
	s_waitcnt vmcnt(0)
	v_xor_b32_e32 v34, v34, v40
	v_and_b32_e32 v40, 0xffffff00, v34
	v_sub_i16 v38, v40, v38 clamp
	v_lshlrev_b16_e32 v40, 8, v34
	v_and_b32_e32 v38, 0xffffff00, v38
	v_sub_i16 v23, v40, v23 clamp
	v_or_b32_sdwa v23, v23, v38 dst_sel:DWORD dst_unused:UNUSED_PAD src0_sel:BYTE_1 src1_sel:DWORD
	v_and_b32_sdwa v38, v34, s19 dst_sel:DWORD dst_unused:UNUSED_PAD src0_sel:WORD_1 src1_sel:DWORD
	v_sub_i16 v36, v38, v36 clamp
	v_lshlrev_b16_sdwa v34, v28, v34 dst_sel:DWORD dst_unused:UNUSED_PAD src0_sel:DWORD src1_sel:WORD_1
	v_lshlrev_b16_e32 v38, 8, v39
	v_and_b32_e32 v36, 0xffffff00, v36
	v_sub_i16 v34, v34, v38 clamp
	v_or_b32_sdwa v34, v34, v36 dst_sel:WORD_1 dst_unused:UNUSED_PAD src0_sel:BYTE_1 src1_sel:DWORD
	v_lshrrev_b16_e32 v36, 5, v37
	v_or_b32_sdwa v23, v23, v34 dst_sel:DWORD dst_unused:UNUSED_PAD src0_sel:WORD_0 src1_sel:DWORD
	v_and_b32_e32 v34, 0x80000000, v30
	v_cmp_ne_u16_sdwa s[22:23], v34, v9 src0_sel:BYTE_3 src1_sel:DWORD
	v_bfe_i32 v36, v36, 0, 1
	v_lshrrev_b32_e32 v30, 22, v30
	v_cndmask_b32_e64 v34, 0, -1, s[22:23]
	v_bfe_i32 v30, v30, 0, 1
	v_lshlrev_b16_e32 v34, 8, v34
	v_lshlrev_b16_e32 v36, 8, v36
	v_or_b32_sdwa v37, v30, v34 dst_sel:WORD_1 dst_unused:UNUSED_PAD src0_sel:BYTE_0 src1_sel:DWORD
	v_or_b32_sdwa v38, v22, v36 dst_sel:DWORD dst_unused:UNUSED_PAD src0_sel:BYTE_0 src1_sel:DWORD
	v_or_b32_sdwa v37, v38, v37 dst_sel:DWORD dst_unused:UNUSED_PAD src0_sel:WORD_0 src1_sel:DWORD
	v_xor_b32_e32 v35, v35, v37
	v_and_b32_e32 v37, 0xffffff00, v35
	v_sub_i16 v36, v37, v36 clamp
	v_lshlrev_b16_e32 v37, 8, v35
	v_lshlrev_b16_e32 v22, 8, v22
	v_and_b32_e32 v36, 0xffffff00, v36
	v_sub_i16 v22, v37, v22 clamp
	v_or_b32_sdwa v22, v22, v36 dst_sel:DWORD dst_unused:UNUSED_PAD src0_sel:BYTE_1 src1_sel:DWORD
	v_and_b32_sdwa v36, v35, s19 dst_sel:DWORD dst_unused:UNUSED_PAD src0_sel:WORD_1 src1_sel:DWORD
	v_sub_i16 v34, v36, v34 clamp
	v_lshlrev_b16_sdwa v35, v28, v35 dst_sel:DWORD dst_unused:UNUSED_PAD src0_sel:DWORD src1_sel:WORD_1
	v_lshlrev_b16_e32 v30, 8, v30
	v_and_b32_e32 v34, 0xffffff00, v34
	v_sub_i16 v30, v35, v30 clamp
	v_or_b32_sdwa v30, v30, v34 dst_sel:WORD_1 dst_unused:UNUSED_PAD src0_sel:BYTE_1 src1_sel:DWORD
	v_dot4c_i32_i8_e32 v32, v23, v3
	v_or_b32_sdwa v22, v22, v30 dst_sel:DWORD dst_unused:UNUSED_PAD src0_sel:WORD_0 src1_sel:DWORD
	global_load_ushort v30, v[20:21], off
	v_add_u32_e32 v20, s16, v27
	v_mad_i64_i32 v[20:21], s[22:23], v20, s17, v[14:15]
	v_lshl_add_u64 v[34:35], v[20:21], 0, v[16:17]
	global_load_dwordx2 v[36:37], v[34:35], off offset:2
	v_dot4c_i32_i8_e32 v32, v22, v33
	v_lshl_add_u64 v[22:23], v[20:21], 0, v[8:9]
	v_add_u32_e32 v27, 16, v27
	v_cmp_le_u32_e32 vcc, s15, v27
	s_or_b64 s[4:5], vcc, s[4:5]
	s_waitcnt vmcnt(0)
	v_and_b32_e32 v38, 0x1ff01ff, v36
	v_and_b32_e32 v34, 0x1ff, v38
	v_lshlrev_b32_e32 v34, 3, v34
	global_load_dwordx2 v[34:35], v34, s[12:13]
	v_lshrrev_b16_e32 v39, 9, v36
	v_bcnt_u32_b32 v40, v39, 0
	v_and_b32_e32 v40, 1, v40
	v_lshl_or_b32 v40, v40, 7, v39
	v_mul_lo_u32 v40, v40, s18
	v_and_b32_e32 v41, 0x8000000, v40
	v_lshrrev_b32_e32 v43, 8, v40
	v_lshrrev_b16_e32 v44, 1, v43
	v_cmp_ne_u16_sdwa s[22:23], v41, v9 src0_sel:BYTE_3 src1_sel:DWORD
	v_lshlrev_b16_e32 v42, 6, v36
	v_bfe_i32 v44, v44, 0, 1
	v_lshrrev_b32_e32 v45, 18, v40
	v_cndmask_b32_e64 v41, 0, -1, s[22:23]
	v_ashrrev_i16_e32 v42, 15, v42
	v_bfe_i32 v45, v45, 0, 1
	v_lshlrev_b16_e32 v41, 8, v41
	v_lshlrev_b16_e32 v44, 8, v44
	v_or_b32_sdwa v46, v45, v41 dst_sel:WORD_1 dst_unused:UNUSED_PAD src0_sel:BYTE_0 src1_sel:DWORD
	v_or_b32_sdwa v47, v42, v44 dst_sel:DWORD dst_unused:UNUSED_PAD src0_sel:BYTE_0 src1_sel:DWORD
	v_or_b32_sdwa v46, v47, v46 dst_sel:DWORD dst_unused:UNUSED_PAD src0_sel:WORD_0 src1_sel:DWORD
	v_lshlrev_b16_e32 v42, 8, v42
	v_bfe_i32 v39, v39, 4, 1
	s_waitcnt vmcnt(0)
	v_xor_b32_e32 v34, v34, v46
	v_and_b32_e32 v46, 0xffffff00, v34
	v_sub_i16 v44, v46, v44 clamp
	v_lshlrev_b16_e32 v46, 8, v34
	v_and_b32_e32 v44, 0xffffff00, v44
	v_sub_i16 v42, v46, v42 clamp
	v_or_b32_sdwa v42, v42, v44 dst_sel:DWORD dst_unused:UNUSED_PAD src0_sel:BYTE_1 src1_sel:DWORD
	v_and_b32_sdwa v44, v34, s19 dst_sel:DWORD dst_unused:UNUSED_PAD src0_sel:WORD_1 src1_sel:DWORD
	v_sub_i16 v41, v44, v41 clamp
	v_lshlrev_b16_sdwa v34, v28, v34 dst_sel:DWORD dst_unused:UNUSED_PAD src0_sel:DWORD src1_sel:WORD_1
	v_lshlrev_b16_e32 v44, 8, v45
	v_and_b32_e32 v41, 0xffffff00, v41
	v_sub_i16 v34, v34, v44 clamp
	v_or_b32_sdwa v34, v34, v41 dst_sel:WORD_1 dst_unused:UNUSED_PAD src0_sel:BYTE_1 src1_sel:DWORD
	s_nop 0
	v_or_b32_sdwa v41, v42, v34 dst_sel:DWORD dst_unused:UNUSED_PAD src0_sel:WORD_0 src1_sel:DWORD
	v_and_b32_e32 v34, 0x80000000, v40
	v_lshrrev_b16_e32 v42, 5, v43
	v_cmp_ne_u16_sdwa s[22:23], v34, v9 src0_sel:BYTE_3 src1_sel:DWORD
	v_bfe_i32 v42, v42, 0, 1
	v_lshrrev_b32_e32 v40, 22, v40
	v_cndmask_b32_e64 v34, 0, -1, s[22:23]
	v_bfe_i32 v40, v40, 0, 1
	v_lshlrev_b16_e32 v34, 8, v34
	v_lshlrev_b16_e32 v42, 8, v42
	v_or_b32_sdwa v43, v40, v34 dst_sel:WORD_1 dst_unused:UNUSED_PAD src0_sel:BYTE_0 src1_sel:DWORD
	v_or_b32_sdwa v44, v39, v42 dst_sel:DWORD dst_unused:UNUSED_PAD src0_sel:BYTE_0 src1_sel:DWORD
	v_or_b32_sdwa v43, v44, v43 dst_sel:DWORD dst_unused:UNUSED_PAD src0_sel:WORD_0 src1_sel:DWORD
	v_xor_b32_e32 v35, v35, v43
	v_and_b32_e32 v43, 0xffffff00, v35
	v_sub_i16 v42, v43, v42 clamp
	v_lshlrev_b16_e32 v43, 8, v35
	v_lshlrev_b16_e32 v39, 8, v39
	v_and_b32_e32 v42, 0xffffff00, v42
	v_sub_i16 v39, v43, v39 clamp
	v_or_b32_sdwa v39, v39, v42 dst_sel:DWORD dst_unused:UNUSED_PAD src0_sel:BYTE_1 src1_sel:DWORD
	v_and_b32_sdwa v42, v35, s19 dst_sel:DWORD dst_unused:UNUSED_PAD src0_sel:WORD_1 src1_sel:DWORD
	v_sub_i16 v34, v42, v34 clamp
	v_lshlrev_b16_sdwa v35, v28, v35 dst_sel:DWORD dst_unused:UNUSED_PAD src0_sel:DWORD src1_sel:WORD_1
	v_lshlrev_b16_e32 v40, 8, v40
	v_and_b32_e32 v34, 0xffffff00, v34
	v_sub_i16 v35, v35, v40 clamp
	v_or_b32_sdwa v34, v35, v34 dst_sel:WORD_1 dst_unused:UNUSED_PAD src0_sel:BYTE_1 src1_sel:DWORD
	s_nop 0
	v_or_b32_sdwa v35, v39, v34 dst_sel:DWORD dst_unused:UNUSED_PAD src0_sel:WORD_0 src1_sel:DWORD
	v_mov_b32_e32 v34, 0
	v_dot4c_i32_i8_e32 v34, v41, v5
	v_lshrrev_b32_e32 v5, 13, v38
	global_load_dwordx2 v[38:39], v5, s[12:13]
	v_lshrrev_b32_e32 v5, 25, v36
	v_dot4c_i32_i8_e32 v34, v35, v6
	v_bcnt_u32_b32 v6, v5, 0
	v_and_b32_e32 v6, 1, v6
	v_alignbit_b32 v6, v6, v36, 25
	v_mul_lo_u32 v6, v6, s18
	v_and_b32_e32 v35, 0x8000000, v6
	v_lshrrev_b32_e32 v40, 8, v6
	v_lshrrev_b16_e32 v41, 1, v40
	v_cmp_ne_u16_sdwa s[22:23], v35, v9 src0_sel:BYTE_3 src1_sel:DWORD
	v_lshlrev_b16_sdwa v36, v29, v36 dst_sel:DWORD dst_unused:UNUSED_PAD src0_sel:DWORD src1_sel:WORD_1
	v_bfe_i32 v41, v41, 0, 1
	v_lshrrev_b32_e32 v42, 18, v6
	v_cndmask_b32_e64 v35, 0, -1, s[22:23]
	v_ashrrev_i16_e32 v36, 15, v36
	v_bfe_i32 v42, v42, 0, 1
	v_lshlrev_b16_e32 v35, 8, v35
	v_lshlrev_b16_e32 v41, 8, v41
	v_or_b32_sdwa v43, v42, v35 dst_sel:WORD_1 dst_unused:UNUSED_PAD src0_sel:BYTE_0 src1_sel:DWORD
	v_or_b32_sdwa v44, v36, v41 dst_sel:DWORD dst_unused:UNUSED_PAD src0_sel:BYTE_0 src1_sel:DWORD
	v_or_b32_sdwa v43, v44, v43 dst_sel:DWORD dst_unused:UNUSED_PAD src0_sel:WORD_0 src1_sel:DWORD
	v_lshlrev_b16_e32 v36, 8, v36
	v_bfe_i32 v5, v5, 4, 1
	s_waitcnt vmcnt(0)
	v_xor_b32_e32 v38, v38, v43
	v_and_b32_e32 v43, 0xffffff00, v38
	v_sub_i16 v41, v43, v41 clamp
	v_lshlrev_b16_e32 v43, 8, v38
	v_and_b32_e32 v41, 0xffffff00, v41
	v_sub_i16 v36, v43, v36 clamp
	v_or_b32_sdwa v36, v36, v41 dst_sel:DWORD dst_unused:UNUSED_PAD src0_sel:BYTE_1 src1_sel:DWORD
	v_and_b32_sdwa v41, v38, s19 dst_sel:DWORD dst_unused:UNUSED_PAD src0_sel:WORD_1 src1_sel:DWORD
	v_sub_i16 v35, v41, v35 clamp
	v_lshlrev_b16_sdwa v38, v28, v38 dst_sel:DWORD dst_unused:UNUSED_PAD src0_sel:DWORD src1_sel:WORD_1
	v_lshlrev_b16_e32 v41, 8, v42
	v_and_b32_e32 v35, 0xffffff00, v35
	v_sub_i16 v38, v38, v41 clamp
	v_or_b32_sdwa v35, v38, v35 dst_sel:WORD_1 dst_unused:UNUSED_PAD src0_sel:BYTE_1 src1_sel:DWORD
	v_lshrrev_b16_e32 v38, 5, v40
	v_or_b32_sdwa v35, v36, v35 dst_sel:DWORD dst_unused:UNUSED_PAD src0_sel:WORD_0 src1_sel:DWORD
	v_and_b32_e32 v36, 0x80000000, v6
	v_cmp_ne_u16_sdwa s[22:23], v36, v9 src0_sel:BYTE_3 src1_sel:DWORD
	v_bfe_i32 v38, v38, 0, 1
	v_lshrrev_b32_e32 v6, 22, v6
	v_cndmask_b32_e64 v36, 0, -1, s[22:23]
	v_bfe_i32 v6, v6, 0, 1
	v_lshlrev_b16_e32 v36, 8, v36
	v_lshlrev_b16_e32 v38, 8, v38
	v_or_b32_sdwa v40, v6, v36 dst_sel:WORD_1 dst_unused:UNUSED_PAD src0_sel:BYTE_0 src1_sel:DWORD
	v_or_b32_sdwa v41, v5, v38 dst_sel:DWORD dst_unused:UNUSED_PAD src0_sel:BYTE_0 src1_sel:DWORD
	v_or_b32_sdwa v40, v41, v40 dst_sel:DWORD dst_unused:UNUSED_PAD src0_sel:WORD_0 src1_sel:DWORD
	v_xor_b32_e32 v39, v39, v40
	v_and_b32_e32 v40, 0xffffff00, v39
	v_sub_i16 v38, v40, v38 clamp
	v_lshlrev_b16_e32 v40, 8, v39
	v_lshlrev_b16_e32 v5, 8, v5
	v_and_b32_e32 v38, 0xffffff00, v38
	v_sub_i16 v5, v40, v5 clamp
	v_or_b32_sdwa v5, v5, v38 dst_sel:DWORD dst_unused:UNUSED_PAD src0_sel:BYTE_1 src1_sel:DWORD
	v_and_b32_sdwa v38, v39, s19 dst_sel:DWORD dst_unused:UNUSED_PAD src0_sel:WORD_1 src1_sel:DWORD
	v_sub_i16 v36, v38, v36 clamp
	v_lshlrev_b16_sdwa v38, v28, v39 dst_sel:DWORD dst_unused:UNUSED_PAD src0_sel:DWORD src1_sel:WORD_1
	v_lshlrev_b16_e32 v6, 8, v6
	v_and_b32_e32 v36, 0xffffff00, v36
	v_sub_i16 v6, v38, v6 clamp
	v_or_b32_sdwa v6, v6, v36 dst_sel:WORD_1 dst_unused:UNUSED_PAD src0_sel:BYTE_1 src1_sel:DWORD
	v_dot4c_i32_i8_e32 v34, v35, v7
	v_or_b32_sdwa v5, v5, v6 dst_sel:DWORD dst_unused:UNUSED_PAD src0_sel:WORD_0 src1_sel:DWORD
	v_dot4c_i32_i8_e32 v34, v5, v0
	v_and_b32_e32 v0, 0x1ff01ff, v37
	v_and_b32_e32 v5, 0x1ff, v0
	v_lshlrev_b32_e32 v5, 3, v5
	global_load_dwordx2 v[6:7], v5, s[12:13]
	v_lshrrev_b16_e32 v5, 9, v37
	v_bcnt_u32_b32 v35, v5, 0
	v_and_b32_e32 v35, 1, v35
	v_lshl_or_b32 v35, v35, 7, v5
	v_mul_lo_u32 v35, v35, s18
	v_and_b32_e32 v36, 0x8000000, v35
	v_lshrrev_b32_e32 v39, 8, v35
	v_lshrrev_b16_e32 v40, 1, v39
	v_cmp_ne_u16_sdwa s[22:23], v36, v9 src0_sel:BYTE_3 src1_sel:DWORD
	v_lshlrev_b16_e32 v38, 6, v37
	v_bfe_i32 v40, v40, 0, 1
	v_lshrrev_b32_e32 v41, 18, v35
	v_cndmask_b32_e64 v36, 0, -1, s[22:23]
	v_ashrrev_i16_e32 v38, 15, v38
	v_bfe_i32 v41, v41, 0, 1
	v_lshlrev_b16_e32 v36, 8, v36
	v_lshlrev_b16_e32 v40, 8, v40
	v_or_b32_sdwa v42, v41, v36 dst_sel:WORD_1 dst_unused:UNUSED_PAD src0_sel:BYTE_0 src1_sel:DWORD
	v_or_b32_sdwa v43, v38, v40 dst_sel:DWORD dst_unused:UNUSED_PAD src0_sel:BYTE_0 src1_sel:DWORD
	v_or_b32_sdwa v42, v43, v42 dst_sel:DWORD dst_unused:UNUSED_PAD src0_sel:WORD_0 src1_sel:DWORD
	v_lshlrev_b16_e32 v38, 8, v38
	v_bfe_i32 v5, v5, 4, 1
	v_lshrrev_b32_e32 v0, 13, v0
	s_waitcnt vmcnt(0)
	v_xor_b32_e32 v6, v6, v42
	v_and_b32_e32 v42, 0xffffff00, v6
	v_sub_i16 v40, v42, v40 clamp
	v_lshlrev_b16_e32 v42, 8, v6
	v_and_b32_e32 v40, 0xffffff00, v40
	v_sub_i16 v38, v42, v38 clamp
	v_or_b32_sdwa v38, v38, v40 dst_sel:DWORD dst_unused:UNUSED_PAD src0_sel:BYTE_1 src1_sel:DWORD
	v_and_b32_sdwa v40, v6, s19 dst_sel:DWORD dst_unused:UNUSED_PAD src0_sel:WORD_1 src1_sel:DWORD
	v_sub_i16 v36, v40, v36 clamp
	v_lshlrev_b16_sdwa v6, v28, v6 dst_sel:DWORD dst_unused:UNUSED_PAD src0_sel:DWORD src1_sel:WORD_1
	v_lshlrev_b16_e32 v40, 8, v41
	v_and_b32_e32 v36, 0xffffff00, v36
	v_sub_i16 v6, v6, v40 clamp
	v_or_b32_sdwa v6, v6, v36 dst_sel:WORD_1 dst_unused:UNUSED_PAD src0_sel:BYTE_1 src1_sel:DWORD
	v_and_b32_e32 v36, 0x80000000, v35
	v_or_b32_sdwa v6, v38, v6 dst_sel:DWORD dst_unused:UNUSED_PAD src0_sel:WORD_0 src1_sel:DWORD
	v_lshrrev_b16_e32 v38, 5, v39
	v_cmp_ne_u16_sdwa s[22:23], v36, v9 src0_sel:BYTE_3 src1_sel:DWORD
	v_bfe_i32 v38, v38, 0, 1
	v_lshrrev_b32_e32 v35, 22, v35
	v_cndmask_b32_e64 v36, 0, -1, s[22:23]
	v_bfe_i32 v35, v35, 0, 1
	v_lshlrev_b16_e32 v36, 8, v36
	v_lshlrev_b16_e32 v38, 8, v38
	v_or_b32_sdwa v39, v35, v36 dst_sel:WORD_1 dst_unused:UNUSED_PAD src0_sel:BYTE_0 src1_sel:DWORD
	v_or_b32_sdwa v40, v5, v38 dst_sel:DWORD dst_unused:UNUSED_PAD src0_sel:BYTE_0 src1_sel:DWORD
	v_or_b32_sdwa v39, v40, v39 dst_sel:DWORD dst_unused:UNUSED_PAD src0_sel:WORD_0 src1_sel:DWORD
	v_xor_b32_e32 v7, v7, v39
	v_and_b32_e32 v39, 0xffffff00, v7
	v_sub_i16 v38, v39, v38 clamp
	v_lshlrev_b16_e32 v39, 8, v7
	v_lshlrev_b16_e32 v5, 8, v5
	v_and_b32_e32 v38, 0xffffff00, v38
	v_sub_i16 v5, v39, v5 clamp
	v_or_b32_sdwa v5, v5, v38 dst_sel:DWORD dst_unused:UNUSED_PAD src0_sel:BYTE_1 src1_sel:DWORD
	v_and_b32_sdwa v38, v7, s19 dst_sel:DWORD dst_unused:UNUSED_PAD src0_sel:WORD_1 src1_sel:DWORD
	v_sub_i16 v36, v38, v36 clamp
	v_lshlrev_b16_sdwa v7, v28, v7 dst_sel:DWORD dst_unused:UNUSED_PAD src0_sel:DWORD src1_sel:WORD_1
	v_lshlrev_b16_e32 v35, 8, v35
	v_and_b32_e32 v36, 0xffffff00, v36
	v_sub_i16 v7, v7, v35 clamp
	v_or_b32_sdwa v7, v7, v36 dst_sel:WORD_1 dst_unused:UNUSED_PAD src0_sel:BYTE_1 src1_sel:DWORD
	v_lshlrev_b16_sdwa v35, v29, v37 dst_sel:DWORD dst_unused:UNUSED_PAD src0_sel:DWORD src1_sel:WORD_1
	v_or_b32_sdwa v5, v5, v7 dst_sel:DWORD dst_unused:UNUSED_PAD src0_sel:WORD_0 src1_sel:DWORD
	v_mov_b32_e32 v7, 0
	v_dot4c_i32_i8_e32 v7, v6, v1
	global_load_dwordx2 v[0:1], v0, s[12:13]
	v_dot4c_i32_i8_e32 v7, v5, v2
	v_lshrrev_b32_e32 v2, 25, v37
	v_bcnt_u32_b32 v5, v2, 0
	v_and_b32_e32 v5, 1, v5
	v_alignbit_b32 v5, v5, v37, 25
	v_mul_lo_u32 v5, v5, s18
	v_and_b32_e32 v6, 0x8000000, v5
	v_lshrrev_b32_e32 v36, 8, v5
	v_lshrrev_b16_e32 v37, 1, v36
	v_cmp_ne_u16_sdwa s[12:13], v6, v9 src0_sel:BYTE_3 src1_sel:DWORD
	v_bfe_i32 v37, v37, 0, 1
	v_lshrrev_b32_e32 v38, 18, v5
	v_cndmask_b32_e64 v6, 0, -1, s[12:13]
	v_ashrrev_i16_e32 v35, 15, v35
	v_bfe_i32 v38, v38, 0, 1
	v_lshlrev_b16_e32 v6, 8, v6
	v_lshlrev_b16_e32 v37, 8, v37
	v_or_b32_sdwa v39, v38, v6 dst_sel:WORD_1 dst_unused:UNUSED_PAD src0_sel:BYTE_0 src1_sel:DWORD
	v_or_b32_sdwa v40, v35, v37 dst_sel:DWORD dst_unused:UNUSED_PAD src0_sel:BYTE_0 src1_sel:DWORD
	v_or_b32_sdwa v39, v40, v39 dst_sel:DWORD dst_unused:UNUSED_PAD src0_sel:WORD_0 src1_sel:DWORD
	v_lshlrev_b16_e32 v35, 8, v35
	v_bfe_i32 v2, v2, 4, 1
	s_waitcnt vmcnt(0)
	v_xor_b32_e32 v0, v0, v39
	v_and_b32_e32 v39, 0xffffff00, v0
	v_sub_i16 v37, v39, v37 clamp
	v_lshlrev_b16_e32 v39, 8, v0
	v_and_b32_e32 v37, 0xffffff00, v37
	v_sub_i16 v35, v39, v35 clamp
	v_or_b32_sdwa v35, v35, v37 dst_sel:DWORD dst_unused:UNUSED_PAD src0_sel:BYTE_1 src1_sel:DWORD
	v_and_b32_sdwa v37, v0, s19 dst_sel:DWORD dst_unused:UNUSED_PAD src0_sel:WORD_1 src1_sel:DWORD
	v_sub_i16 v6, v37, v6 clamp
	v_lshlrev_b16_sdwa v0, v28, v0 dst_sel:DWORD dst_unused:UNUSED_PAD src0_sel:DWORD src1_sel:WORD_1
	v_lshlrev_b16_e32 v37, 8, v38
	v_and_b32_e32 v6, 0xffffff00, v6
	v_sub_i16 v0, v0, v37 clamp
	v_or_b32_sdwa v0, v0, v6 dst_sel:WORD_1 dst_unused:UNUSED_PAD src0_sel:BYTE_1 src1_sel:DWORD
	v_and_b32_e32 v6, 0x80000000, v5
	v_or_b32_sdwa v0, v35, v0 dst_sel:DWORD dst_unused:UNUSED_PAD src0_sel:WORD_0 src1_sel:DWORD
	v_lshrrev_b16_e32 v35, 5, v36
	v_cmp_ne_u16_sdwa s[12:13], v6, v9 src0_sel:BYTE_3 src1_sel:DWORD
	v_bfe_i32 v35, v35, 0, 1
	v_lshrrev_b32_e32 v5, 22, v5
	v_cndmask_b32_e64 v6, 0, -1, s[12:13]
	v_bfe_i32 v5, v5, 0, 1
	v_lshlrev_b16_e32 v6, 8, v6
	v_lshlrev_b16_e32 v35, 8, v35
	v_or_b32_sdwa v36, v5, v6 dst_sel:WORD_1 dst_unused:UNUSED_PAD src0_sel:BYTE_0 src1_sel:DWORD
	v_or_b32_sdwa v37, v2, v35 dst_sel:DWORD dst_unused:UNUSED_PAD src0_sel:BYTE_0 src1_sel:DWORD
	v_or_b32_sdwa v36, v37, v36 dst_sel:DWORD dst_unused:UNUSED_PAD src0_sel:WORD_0 src1_sel:DWORD
	v_xor_b32_e32 v1, v1, v36
	v_and_b32_e32 v36, 0xffffff00, v1
	v_sub_i16 v35, v36, v35 clamp
	v_lshlrev_b16_e32 v36, 8, v1
	v_lshlrev_b16_e32 v2, 8, v2
	v_and_b32_e32 v35, 0xffffff00, v35
	v_sub_i16 v2, v36, v2 clamp
	v_or_b32_sdwa v2, v2, v35 dst_sel:DWORD dst_unused:UNUSED_PAD src0_sel:BYTE_1 src1_sel:DWORD
	v_and_b32_sdwa v35, v1, s19 dst_sel:DWORD dst_unused:UNUSED_PAD src0_sel:WORD_1 src1_sel:DWORD
	v_sub_i16 v6, v35, v6 clamp
	v_lshlrev_b16_sdwa v1, v28, v1 dst_sel:DWORD dst_unused:UNUSED_PAD src0_sel:DWORD src1_sel:WORD_1
	v_lshlrev_b16_e32 v5, 8, v5
	v_and_b32_e32 v6, 0xffffff00, v6
	v_sub_i16 v1, v1, v5 clamp
	v_or_b32_sdwa v1, v1, v6 dst_sel:WORD_1 dst_unused:UNUSED_PAD src0_sel:BYTE_1 src1_sel:DWORD
	v_dot4c_i32_i8_e32 v7, v0, v3
	v_or_b32_sdwa v1, v2, v1 dst_sel:DWORD dst_unused:UNUSED_PAD src0_sel:WORD_0 src1_sel:DWORD
	v_dot4c_i32_i8_e32 v7, v1, v33
	global_load_ushort v0, v[20:21], off
	global_load_ubyte v1, v[18:19], off offset:66
	global_load_ubyte v2, v[22:23], off offset:66
	v_add_u32_e32 v6, v7, v34
	s_waitcnt vmcnt(1)
	v_lshrrev_b32_e32 v5, 4, v1
	s_waitcnt vmcnt(0)
	v_lshrrev_b32_e32 v3, 4, v2
	v_mul_lo_u32 v3, v7, v3
	v_add_u32_e32 v7, v32, v31
	v_lshrrev_b32_e32 v18, 31, v7
	v_and_b32_e32 v1, 15, v1
	v_add_u32_e32 v7, v7, v18
	v_lshrrev_b32_e32 v18, 31, v6
	v_and_b32_e32 v2, 15, v2
	v_mul_lo_u32 v1, v31, v1
	v_mul_lo_u32 v5, v32, v5
	v_ashrrev_i32_e32 v7, 1, v7
	v_add_u32_e32 v6, v6, v18
	v_mul_lo_u32 v2, v34, v2
	v_ashrrev_i32_e32 v6, 1, v6
	v_add3_u32 v1, v5, v1, v7
	v_add3_u32 v2, v3, v2, v6
	v_ashrrev_i32_e32 v3, 31, v1
	v_lshrrev_b32_e32 v3, 30, v3
	v_add_u32_e32 v1, v1, v3
	v_ashrrev_i32_e32 v5, 2, v1
	v_ashrrev_i32_e32 v1, 31, v2
	v_lshrrev_b32_e32 v1, 30, v1
	v_add_u32_e32 v1, v2, v1
	v_ashrrev_i32_e32 v2, 2, v1
	v_cvt_f32_f16_e32 v1, v0
	v_cvt_f32_f16_e32 v0, v30
	v_cvt_f32_i32_e32 v3, v2
	v_cvt_f32_i32_e32 v2, v5
	v_pk_mul_f32 v[0:1], v[4:5], v[0:1] op_sel_hi:[0,1]
	v_pk_fma_f32 v[10:11], v[0:1], v[2:3], v[10:11]
	s_andn2_b64 exec, exec, s[4:5]
	s_cbranch_execnz .LBB170_9
; %bb.10:
	s_or_b64 exec, exec, s[4:5]
	ds_write2_b32 v24, v10, v11 offset1:1
.LBB170_11:
	s_or_b64 exec, exec, s[0:1]
	v_cmp_eq_u32_e32 vcc, 0, v26
	v_cmp_ne_u32_e64 s[0:1], 0, v26
	v_lshlrev_b32_e32 v0, 2, v25
	s_and_saveexec_b64 s[4:5], s[0:1]
	s_cbranch_execz .LBB170_13
; %bb.12:
	v_lshl_or_b32 v1, v26, 9, v0
	v_add_u32_e32 v1, 0xfffffe00, v1
	ds_write2st64_b32 v1, v10, v11 offset1:1
.LBB170_13:
	s_or_b64 exec, exec, s[4:5]
	s_waitcnt lgkmcnt(0)
	s_barrier
	s_and_saveexec_b64 s[0:1], vcc
	s_cbranch_execz .LBB170_16
; %bb.14:
	v_mbcnt_lo_u32_b32 v1, -1, 0
	v_mbcnt_hi_u32_b32 v1, -1, v1
	v_and_b32_e32 v2, 64, v1
	v_add_u32_e32 v6, 64, v2
	ds_read2st64_b32 v[2:3], v0 offset1:1
	ds_read2_b32 v[4:5], v24 offset1:1
	v_xor_b32_e32 v7, 32, v1
	v_cmp_lt_i32_e32 vcc, v7, v6
	s_load_dword s0, s[2:3], 0x58
	s_mov_b32 s5, 0
	v_cndmask_b32_e32 v7, v1, v7, vcc
	v_lshlrev_b32_e32 v7, 2, v7
	s_waitcnt lgkmcnt(0)
	v_pk_add_f32 v[2:3], v[2:3], v[4:5]
	ds_bpermute_b32 v4, v7, v2
	ds_bpermute_b32 v5, v7, v3
	v_xor_b32_e32 v7, 16, v1
	v_cmp_lt_i32_e32 vcc, v7, v6
	s_waitcnt lgkmcnt(0)
	v_pk_add_f32 v[2:3], v[2:3], v[4:5]
	v_cndmask_b32_e32 v7, v1, v7, vcc
	v_lshlrev_b32_e32 v7, 2, v7
	ds_bpermute_b32 v4, v7, v2
	ds_bpermute_b32 v5, v7, v3
	v_xor_b32_e32 v7, 8, v1
	v_cmp_lt_i32_e32 vcc, v7, v6
	s_waitcnt lgkmcnt(0)
	v_pk_add_f32 v[2:3], v[2:3], v[4:5]
	v_cndmask_b32_e32 v7, v1, v7, vcc
	v_lshlrev_b32_e32 v7, 2, v7
	;; [unrolled: 8-line block ×5, first 2 shown]
	ds_bpermute_b32 v4, v1, v2
	ds_bpermute_b32 v5, v1, v3
	v_or_b32_e32 v1, s7, v25
	v_cmp_gt_u32_e32 vcc, 2, v25
	v_cmp_gt_u32_e64 s[0:1], s0, v1
	s_and_b64 s[0:1], vcc, s[0:1]
	s_waitcnt lgkmcnt(0)
	v_pk_add_f32 v[2:3], v[2:3], v[4:5]
	ds_write2_b32 v24, v2, v3 offset1:1
	s_and_b64 exec, exec, s[0:1]
	s_cbranch_execz .LBB170_16
; %bb.15:
	s_load_dwordx2 s[0:1], s[2:3], 0x38
	s_mul_i32 s2, s20, s10
	v_add_u32_e32 v1, v24, v0
	s_add_i32 s2, s2, s7
	s_mul_i32 s6, s6, s14
	ds_read_b32 v1, v1
	s_add_i32 s4, s2, s6
	s_lshl_b64 s[2:3], s[4:5], 2
	s_waitcnt lgkmcnt(0)
	s_add_u32 s0, s0, s2
	s_addc_u32 s1, s1, s3
	global_store_dword v0, v1, s[0:1]
.LBB170_16:
	s_endpgm
	.section	.rodata,"a",@progbits
	.p2align	6, 0x0
	.amdhsa_kernel _ZL13mul_mat_vec_qIL9ggml_type17ELi1ELb0ELb1EEvPKvS2_PKi31ggml_cuda_mm_fusion_args_devicePfj15HIP_vector_typeIjLj3EEjjjS8_jjjS8_jjjj
		.amdhsa_group_segment_fixed_size 1536
		.amdhsa_private_segment_fixed_size 0
		.amdhsa_kernarg_size 144
		.amdhsa_user_sgpr_count 4
		.amdhsa_user_sgpr_dispatch_ptr 1
		.amdhsa_user_sgpr_queue_ptr 0
		.amdhsa_user_sgpr_kernarg_segment_ptr 1
		.amdhsa_user_sgpr_dispatch_id 0
		.amdhsa_user_sgpr_kernarg_preload_length 0
		.amdhsa_user_sgpr_kernarg_preload_offset 0
		.amdhsa_user_sgpr_private_segment_size 0
		.amdhsa_uses_dynamic_stack 0
		.amdhsa_enable_private_segment 0
		.amdhsa_system_sgpr_workgroup_id_x 1
		.amdhsa_system_sgpr_workgroup_id_y 1
		.amdhsa_system_sgpr_workgroup_id_z 1
		.amdhsa_system_sgpr_workgroup_info 0
		.amdhsa_system_vgpr_workitem_id 2
		.amdhsa_next_free_vgpr 48
		.amdhsa_next_free_sgpr 28
		.amdhsa_accum_offset 48
		.amdhsa_reserve_vcc 1
		.amdhsa_float_round_mode_32 0
		.amdhsa_float_round_mode_16_64 0
		.amdhsa_float_denorm_mode_32 3
		.amdhsa_float_denorm_mode_16_64 3
		.amdhsa_dx10_clamp 1
		.amdhsa_ieee_mode 1
		.amdhsa_fp16_overflow 0
		.amdhsa_tg_split 0
		.amdhsa_exception_fp_ieee_invalid_op 0
		.amdhsa_exception_fp_denorm_src 0
		.amdhsa_exception_fp_ieee_div_zero 0
		.amdhsa_exception_fp_ieee_overflow 0
		.amdhsa_exception_fp_ieee_underflow 0
		.amdhsa_exception_fp_ieee_inexact 0
		.amdhsa_exception_int_div_zero 0
	.end_amdhsa_kernel
	.section	.text._ZL13mul_mat_vec_qIL9ggml_type17ELi1ELb0ELb1EEvPKvS2_PKi31ggml_cuda_mm_fusion_args_devicePfj15HIP_vector_typeIjLj3EEjjjS8_jjjS8_jjjj,"axG",@progbits,_ZL13mul_mat_vec_qIL9ggml_type17ELi1ELb0ELb1EEvPKvS2_PKi31ggml_cuda_mm_fusion_args_devicePfj15HIP_vector_typeIjLj3EEjjjS8_jjjS8_jjjj,comdat
.Lfunc_end170:
	.size	_ZL13mul_mat_vec_qIL9ggml_type17ELi1ELb0ELb1EEvPKvS2_PKi31ggml_cuda_mm_fusion_args_devicePfj15HIP_vector_typeIjLj3EEjjjS8_jjjS8_jjjj, .Lfunc_end170-_ZL13mul_mat_vec_qIL9ggml_type17ELi1ELb0ELb1EEvPKvS2_PKi31ggml_cuda_mm_fusion_args_devicePfj15HIP_vector_typeIjLj3EEjjjS8_jjjS8_jjjj
                                        ; -- End function
	.section	.AMDGPU.csdata,"",@progbits
; Kernel info:
; codeLenInByte = 5180
; NumSgprs: 34
; NumVgprs: 48
; NumAgprs: 0
; TotalNumVgprs: 48
; ScratchSize: 0
; MemoryBound: 0
; FloatMode: 240
; IeeeMode: 1
; LDSByteSize: 1536 bytes/workgroup (compile time only)
; SGPRBlocks: 4
; VGPRBlocks: 5
; NumSGPRsForWavesPerEU: 34
; NumVGPRsForWavesPerEU: 48
; AccumOffset: 48
; Occupancy: 8
; WaveLimiterHint : 0
; COMPUTE_PGM_RSRC2:SCRATCH_EN: 0
; COMPUTE_PGM_RSRC2:USER_SGPR: 4
; COMPUTE_PGM_RSRC2:TRAP_HANDLER: 0
; COMPUTE_PGM_RSRC2:TGID_X_EN: 1
; COMPUTE_PGM_RSRC2:TGID_Y_EN: 1
; COMPUTE_PGM_RSRC2:TGID_Z_EN: 1
; COMPUTE_PGM_RSRC2:TIDIG_COMP_CNT: 2
; COMPUTE_PGM_RSRC3_GFX90A:ACCUM_OFFSET: 11
; COMPUTE_PGM_RSRC3_GFX90A:TG_SPLIT: 0
	.section	.text._ZL13mul_mat_vec_qIL9ggml_type17ELi1ELb1ELb0EEvPKvS2_PKi31ggml_cuda_mm_fusion_args_devicePfj15HIP_vector_typeIjLj3EEjjjS8_jjjS8_jjjj,"axG",@progbits,_ZL13mul_mat_vec_qIL9ggml_type17ELi1ELb1ELb0EEvPKvS2_PKi31ggml_cuda_mm_fusion_args_devicePfj15HIP_vector_typeIjLj3EEjjjS8_jjjS8_jjjj,comdat
	.globl	_ZL13mul_mat_vec_qIL9ggml_type17ELi1ELb1ELb0EEvPKvS2_PKi31ggml_cuda_mm_fusion_args_devicePfj15HIP_vector_typeIjLj3EEjjjS8_jjjS8_jjjj ; -- Begin function _ZL13mul_mat_vec_qIL9ggml_type17ELi1ELb1ELb0EEvPKvS2_PKi31ggml_cuda_mm_fusion_args_devicePfj15HIP_vector_typeIjLj3EEjjjS8_jjjS8_jjjj
	.p2align	8
	.type	_ZL13mul_mat_vec_qIL9ggml_type17ELi1ELb1ELb0EEvPKvS2_PKi31ggml_cuda_mm_fusion_args_devicePfj15HIP_vector_typeIjLj3EEjjjS8_jjjS8_jjjj,@function
_ZL13mul_mat_vec_qIL9ggml_type17ELi1ELb1ELb0EEvPKvS2_PKi31ggml_cuda_mm_fusion_args_devicePfj15HIP_vector_typeIjLj3EEjjjS8_jjjS8_jjjj: ; @_ZL13mul_mat_vec_qIL9ggml_type17ELi1ELb1ELb0EEvPKvS2_PKi31ggml_cuda_mm_fusion_args_devicePfj15HIP_vector_typeIjLj3EEjjjS8_jjjS8_jjjj
; %bb.0:
	s_load_dwordx8 s[16:23], s[0:1], 0x0
	s_load_dwordx4 s[36:39], s[0:1], 0x20
	s_load_dwordx4 s[8:11], s[0:1], 0x40
	s_load_dwordx4 s[24:27], s[0:1], 0x68
	s_mov_b32 s14, s3
	s_waitcnt lgkmcnt(0)
	s_cmp_lg_u64 s[20:21], 0
	s_cselect_b64 s[6:7], -1, 0
	s_cmp_eq_u64 s[20:21], 0
	s_mov_b64 s[12:13], 0
	s_cbranch_scc1 .LBB171_5
; %bb.1:
	s_mov_b32 s15, 0
	s_lshl_b64 s[28:29], s[14:15], 2
	s_add_u32 s20, s20, s28
	s_addc_u32 s21, s21, s29
	s_load_dword s5, s[20:21], 0x0
	s_load_dword s15, s[0:1], 0x50
	;; [unrolled: 1-line block ×3, first 2 shown]
	s_andn2_b64 vcc, exec, s[12:13]
	s_cbranch_vccnz .LBB171_3
.LBB171_2:
	s_load_dwordx2 s[12:13], s[0:1], 0x5c
	s_waitcnt lgkmcnt(0)
	s_mul_hi_u32 s3, s12, s14
	s_add_i32 s3, s14, s3
	s_lshr_b32 s5, s3, s13
.LBB171_3:
	s_andn2_b64 vcc, exec, s[6:7]
	s_cbranch_vccnz .LBB171_6
; %bb.4:
	s_mul_hi_u32 s3, s9, s14
	s_add_i32 s3, s14, s3
	s_lshr_b32 s3, s3, s10
	s_mul_i32 s3, s3, s11
	s_sub_i32 s34, s14, s3
	s_waitcnt lgkmcnt(0)
	s_mov_b32 s3, s5
	s_branch .LBB171_7
.LBB171_5:
                                        ; implicit-def: $sgpr5
	s_load_dword s15, s[0:1], 0x50
	s_load_dword s33, s[0:1], 0x78
	s_branch .LBB171_2
.LBB171_6:
	s_mov_b32 s3, s14
	s_mov_b32 s34, s14
.LBB171_7:
	s_load_dwordx4 s[28:31], s[0:1], 0x80
	v_bfe_u32 v34, v0, 10, 10
	v_and_b32_e32 v31, 0x3ff, v0
	s_cmp_lg_u64 s[22:23], 0
	v_or_b32_e32 v0, v34, v31
	s_cselect_b64 s[12:13], -1, 0
	v_cmp_eq_u32_e32 vcc, 0, v0
	s_mov_b32 s21, 0
	s_and_b64 s[40:41], vcc, s[12:13]
	v_mov_b32_e32 v32, 0
	s_mul_i32 s10, s3, s26
	v_lshlrev_b32_e32 v30, 2, v31
	v_mov_b32_e32 v33, 0
	s_and_saveexec_b64 s[6:7], s[40:41]
	s_cbranch_execz .LBB171_9
; %bb.8:
	s_waitcnt lgkmcnt(0)
	s_mul_i32 s20, s4, s30
	s_lshl_b64 s[40:41], s[20:21], 2
	s_add_u32 s3, s22, s40
	s_mov_b32 s11, s21
	s_addc_u32 s9, s23, s41
	s_lshl_b64 s[20:21], s[10:11], 2
	s_add_u32 s11, s3, s20
	s_addc_u32 s9, s9, s21
	s_ashr_i32 s3, s2, 31
	s_lshl_b64 s[20:21], s[2:3], 2
	s_add_u32 s20, s11, s20
	s_addc_u32 s21, s9, s21
	global_load_dword v33, v30, s[20:21]
.LBB171_9:
	s_or_b64 exec, exec, s[6:7]
	s_cmp_lg_u64 s[36:37], 0
	s_cselect_b64 s[20:21], -1, 0
	s_cmp_lg_u64 s[38:39], 0
	s_cselect_b64 s[6:7], -1, 0
	s_and_b64 s[22:23], s[6:7], s[20:21]
	s_and_b64 s[40:41], vcc, s[22:23]
	s_and_saveexec_b64 s[22:23], s[40:41]
	s_cbranch_execz .LBB171_11
; %bb.10:
	s_waitcnt lgkmcnt(0)
	s_mul_i32 s40, s4, s30
	s_mov_b32 s41, 0
	s_lshl_b64 s[42:43], s[40:41], 2
	s_add_u32 s3, s38, s42
	s_mov_b32 s11, s41
	s_addc_u32 s9, s39, s43
	s_lshl_b64 s[10:11], s[10:11], 2
	s_add_u32 s31, s3, s10
	s_addc_u32 s9, s9, s11
	s_ashr_i32 s3, s2, 31
	s_lshl_b64 s[10:11], s[2:3], 2
	s_add_u32 s10, s31, s10
	s_addc_u32 s11, s9, s11
	global_load_dword v32, v30, s[10:11]
.LBB171_11:
	s_or_b64 exec, exec, s[22:23]
	v_lshl_add_u32 v0, v34, 6, v31
	s_lshr_b32 s3, s8, 8
	v_lshrrev_b32_e32 v36, 3, v0
	v_cndmask_b32_e64 v1, 0, 1, s[20:21]
	v_cmp_gt_u32_e32 vcc, s3, v36
	v_mov_b32_e32 v37, 0
	v_cmp_ne_u32_e64 s[8:9], 1, v1
	v_mov_b32_e32 v35, 0
	s_and_saveexec_b64 s[10:11], vcc
	s_cbranch_execz .LBB171_17
; %bb.12:
	s_mul_hi_u32 s21, s27, s4
	s_add_i32 s21, s4, s21
	s_waitcnt lgkmcnt(0)
	s_lshr_b32 s21, s21, s33
	s_mul_i32 s5, s5, s24
	s_mul_i32 s21, s21, s28
	;; [unrolled: 1-line block ×4, first 2 shown]
	v_lshlrev_b32_e32 v1, 1, v31
	s_add_i32 s5, s21, s5
	v_and_b32_e32 v1, 14, v1
	s_add_i32 s5, s5, s15
	s_mul_hi_u32 s15, s20, 36
	s_mul_i32 s20, s20, 36
	v_lshlrev_b32_e32 v2, 1, v1
	v_lshrrev_b32_e32 v3, 3, v0
	v_mov_b32_e32 v0, s20
	v_mov_b32_e32 v1, s15
	s_movk_i32 s15, 0x120
	s_mul_i32 s22, s4, s29
	v_mad_u64_u32 v[0:1], s[20:21], v3, s15, v[0:1]
	v_and_b32_e32 v8, 7, v31
	v_mad_u64_u32 v[0:1], s[20:21], s22, 36, v[0:1]
	v_mad_u64_u32 v[0:1], s[20:21], v8, 36, v[0:1]
	v_mov_b32_e32 v9, 0
	v_lshl_add_u64 v[0:1], v[0:1], 0, s[18:19]
	v_lshl_add_u64 v[10:11], v[0:1], 0, 16
	s_mov_b64 s[18:19], 0
	s_movk_i32 s15, 0x4a
	v_mov_b64_e32 v[12:13], s[16:17]
	v_lshlrev_b32_e32 v14, 1, v2
	v_mov_b32_e32 v15, v9
	s_mov_b32 s22, 0x1010101
	s_movk_i32 s23, 0xff00
	s_mov_b64 s[16:17], 0x1200
	v_mov_b32_e32 v38, 8
	v_mov_b32_e32 v39, 6
	;; [unrolled: 1-line block ×4, first 2 shown]
	s_branch .LBB171_14
.LBB171_13:                             ;   in Loop: Header=BB171_14 Depth=1
	v_lshrrev_b16_e32 v26, 9, v18
	v_bcnt_u32_b32 v27, v26, 0
	v_and_b32_e32 v27, 1, v27
	v_lshl_or_b32 v27, v27, 7, v26
	v_mul_lo_u32 v27, v27, s22
	v_and_b32_e32 v28, 0x8000000, v27
	v_lshrrev_b32_e32 v43, 8, v27
	v_lshrrev_b16_e32 v44, 1, v43
	v_cmp_ne_u16_sdwa s[20:21], v28, v9 src0_sel:BYTE_3 src1_sel:DWORD
	v_lshlrev_b16_e32 v29, 6, v18
	v_bfe_i32 v44, v44, 0, 1
	v_lshrrev_b32_e32 v45, 18, v27
	v_cndmask_b32_e64 v28, 0, -1, s[20:21]
	v_ashrrev_i16_e32 v29, 15, v29
	v_bfe_i32 v45, v45, 0, 1
	v_lshlrev_b16_e32 v28, 8, v28
	v_lshlrev_b16_e32 v44, 8, v44
	v_or_b32_sdwa v46, v45, v28 dst_sel:WORD_1 dst_unused:UNUSED_PAD src0_sel:BYTE_0 src1_sel:DWORD
	v_or_b32_sdwa v47, v29, v44 dst_sel:DWORD dst_unused:UNUSED_PAD src0_sel:BYTE_0 src1_sel:DWORD
	v_or_b32_sdwa v46, v47, v46 dst_sel:DWORD dst_unused:UNUSED_PAD src0_sel:WORD_0 src1_sel:DWORD
	s_waitcnt vmcnt(3)
	v_xor_b32_e32 v24, v24, v46
	v_and_b32_e32 v46, 0xffffff00, v24
	v_sub_i16 v44, v46, v44 clamp
	v_lshlrev_b16_e32 v46, 8, v24
	v_lshlrev_b16_e32 v29, 8, v29
	v_and_b32_e32 v44, 0xffffff00, v44
	v_sub_i16 v29, v46, v29 clamp
	v_or_b32_sdwa v29, v29, v44 dst_sel:DWORD dst_unused:UNUSED_PAD src0_sel:BYTE_1 src1_sel:DWORD
	v_and_b32_sdwa v44, v24, s23 dst_sel:DWORD dst_unused:UNUSED_PAD src0_sel:WORD_1 src1_sel:DWORD
	v_sub_i16 v28, v44, v28 clamp
	v_lshlrev_b16_sdwa v24, v38, v24 dst_sel:DWORD dst_unused:UNUSED_PAD src0_sel:DWORD src1_sel:WORD_1
	v_lshlrev_b16_e32 v44, 8, v45
	v_and_b32_e32 v28, 0xffffff00, v28
	v_sub_i16 v24, v24, v44 clamp
	v_or_b32_sdwa v24, v24, v28 dst_sel:WORD_1 dst_unused:UNUSED_PAD src0_sel:BYTE_1 src1_sel:DWORD
	v_and_b32_e32 v28, 0x80000000, v27
	v_or_b32_sdwa v24, v29, v24 dst_sel:DWORD dst_unused:UNUSED_PAD src0_sel:WORD_0 src1_sel:DWORD
	v_lshrrev_b16_e32 v29, 5, v43
	v_cmp_ne_u16_sdwa s[20:21], v28, v9 src0_sel:BYTE_3 src1_sel:DWORD
	v_bfe_i32 v29, v29, 0, 1
	v_lshrrev_b32_e32 v27, 22, v27
	v_cndmask_b32_e64 v28, 0, -1, s[20:21]
	v_bfe_i32 v26, v26, 4, 1
	v_bfe_i32 v27, v27, 0, 1
	v_lshlrev_b16_e32 v28, 8, v28
	v_lshlrev_b16_e32 v29, 8, v29
	v_or_b32_sdwa v43, v27, v28 dst_sel:WORD_1 dst_unused:UNUSED_PAD src0_sel:BYTE_0 src1_sel:DWORD
	v_or_b32_sdwa v44, v26, v29 dst_sel:DWORD dst_unused:UNUSED_PAD src0_sel:BYTE_0 src1_sel:DWORD
	v_or_b32_sdwa v43, v44, v43 dst_sel:DWORD dst_unused:UNUSED_PAD src0_sel:WORD_0 src1_sel:DWORD
	v_xor_b32_e32 v25, v25, v43
	v_and_b32_e32 v43, 0xffffff00, v25
	v_sub_i16 v29, v43, v29 clamp
	v_lshlrev_b16_e32 v43, 8, v25
	v_lshlrev_b16_e32 v26, 8, v26
	v_and_b32_e32 v29, 0xffffff00, v29
	v_sub_i16 v26, v43, v26 clamp
	v_or_b32_sdwa v26, v26, v29 dst_sel:DWORD dst_unused:UNUSED_PAD src0_sel:BYTE_1 src1_sel:DWORD
	v_and_b32_sdwa v29, v25, s23 dst_sel:DWORD dst_unused:UNUSED_PAD src0_sel:WORD_1 src1_sel:DWORD
	v_sub_i16 v28, v29, v28 clamp
	v_lshlrev_b16_sdwa v25, v38, v25 dst_sel:DWORD dst_unused:UNUSED_PAD src0_sel:DWORD src1_sel:WORD_1
	v_lshlrev_b16_e32 v27, 8, v27
	v_and_b32_e32 v28, 0xffffff00, v28
	v_sub_i16 v25, v25, v27 clamp
	v_or_b32_sdwa v25, v25, v28 dst_sel:WORD_1 dst_unused:UNUSED_PAD src0_sel:BYTE_1 src1_sel:DWORD
	v_add_u32_e32 v36, 16, v36
	v_or_b32_sdwa v25, v26, v25 dst_sel:DWORD dst_unused:UNUSED_PAD src0_sel:WORD_0 src1_sel:DWORD
	v_mov_b32_e32 v26, 0
	v_dot4c_i32_i8_e32 v26, v24, v5
	v_lshrrev_b32_e32 v5, 25, v18
	v_dot4c_i32_i8_e32 v26, v25, v6
	v_bcnt_u32_b32 v6, v5, 0
	v_and_b32_e32 v6, 1, v6
	v_alignbit_b32 v6, v6, v18, 25
	v_mul_lo_u32 v6, v6, s22
	v_and_b32_e32 v24, 0x8000000, v6
	v_lshrrev_b32_e32 v25, 8, v6
	v_lshrrev_b16_e32 v27, 1, v25
	v_cmp_ne_u16_sdwa s[20:21], v24, v9 src0_sel:BYTE_3 src1_sel:DWORD
	v_lshlrev_b16_sdwa v18, v39, v18 dst_sel:DWORD dst_unused:UNUSED_PAD src0_sel:DWORD src1_sel:WORD_1
	v_bfe_i32 v27, v27, 0, 1
	v_lshrrev_b32_e32 v28, 18, v6
	v_cndmask_b32_e64 v24, 0, -1, s[20:21]
	v_ashrrev_i16_e32 v18, 15, v18
	v_bfe_i32 v28, v28, 0, 1
	v_lshlrev_b16_e32 v27, 8, v27
	v_lshlrev_b16_e32 v24, 8, v24
	v_or_b32_sdwa v29, v18, v27 dst_sel:DWORD dst_unused:UNUSED_PAD src0_sel:BYTE_0 src1_sel:DWORD
	v_or_b32_sdwa v43, v28, v24 dst_sel:WORD_1 dst_unused:UNUSED_PAD src0_sel:BYTE_0 src1_sel:DWORD
	v_lshlrev_b16_e32 v18, 8, v18
	v_or_b32_sdwa v29, v29, v43 dst_sel:DWORD dst_unused:UNUSED_PAD src0_sel:WORD_0 src1_sel:DWORD
	s_waitcnt vmcnt(2)
	v_xor_b32_e32 v22, v22, v29
	v_and_b32_e32 v29, 0xffffff00, v22
	v_sub_i16 v27, v29, v27 clamp
	v_lshlrev_b16_e32 v29, 8, v22
	v_and_b32_e32 v27, 0xffffff00, v27
	v_sub_i16 v18, v29, v18 clamp
	v_or_b32_sdwa v18, v18, v27 dst_sel:DWORD dst_unused:UNUSED_PAD src0_sel:BYTE_1 src1_sel:DWORD
	v_and_b32_sdwa v27, v22, s23 dst_sel:DWORD dst_unused:UNUSED_PAD src0_sel:WORD_1 src1_sel:DWORD
	v_sub_i16 v24, v27, v24 clamp
	v_lshlrev_b16_sdwa v22, v38, v22 dst_sel:DWORD dst_unused:UNUSED_PAD src0_sel:DWORD src1_sel:WORD_1
	v_lshlrev_b16_e32 v27, 8, v28
	v_and_b32_e32 v24, 0xffffff00, v24
	v_sub_i16 v22, v22, v27 clamp
	v_or_b32_sdwa v22, v22, v24 dst_sel:WORD_1 dst_unused:UNUSED_PAD src0_sel:BYTE_1 src1_sel:DWORD
	v_lshrrev_b16_e32 v24, 5, v25
	v_or_b32_sdwa v18, v18, v22 dst_sel:DWORD dst_unused:UNUSED_PAD src0_sel:WORD_0 src1_sel:DWORD
	v_and_b32_e32 v22, 0x80000000, v6
	v_cmp_ne_u16_sdwa s[20:21], v22, v9 src0_sel:BYTE_3 src1_sel:DWORD
	v_bfe_i32 v24, v24, 0, 1
	v_lshrrev_b32_e32 v6, 22, v6
	v_cndmask_b32_e64 v22, 0, -1, s[20:21]
	v_bfe_i32 v5, v5, 4, 1
	v_bfe_i32 v6, v6, 0, 1
	v_lshlrev_b16_e32 v24, 8, v24
	v_lshlrev_b16_e32 v22, 8, v22
	v_or_b32_sdwa v25, v5, v24 dst_sel:DWORD dst_unused:UNUSED_PAD src0_sel:BYTE_0 src1_sel:DWORD
	v_or_b32_sdwa v27, v6, v22 dst_sel:WORD_1 dst_unused:UNUSED_PAD src0_sel:BYTE_0 src1_sel:DWORD
	v_lshlrev_b16_e32 v5, 8, v5
	v_or_b32_sdwa v25, v25, v27 dst_sel:DWORD dst_unused:UNUSED_PAD src0_sel:WORD_0 src1_sel:DWORD
	v_xor_b32_e32 v23, v23, v25
	v_and_b32_e32 v25, 0xffffff00, v23
	v_sub_i16 v24, v25, v24 clamp
	v_lshlrev_b16_e32 v25, 8, v23
	v_and_b32_e32 v24, 0xffffff00, v24
	v_sub_i16 v5, v25, v5 clamp
	v_or_b32_sdwa v5, v5, v24 dst_sel:DWORD dst_unused:UNUSED_PAD src0_sel:BYTE_1 src1_sel:DWORD
	v_and_b32_sdwa v24, v23, s23 dst_sel:DWORD dst_unused:UNUSED_PAD src0_sel:WORD_1 src1_sel:DWORD
	v_sub_i16 v22, v24, v22 clamp
	v_lshlrev_b16_sdwa v23, v38, v23 dst_sel:DWORD dst_unused:UNUSED_PAD src0_sel:DWORD src1_sel:WORD_1
	v_lshlrev_b16_e32 v6, 8, v6
	v_and_b32_e32 v22, 0xffffff00, v22
	v_sub_i16 v6, v23, v6 clamp
	v_or_b32_sdwa v6, v6, v22 dst_sel:WORD_1 dst_unused:UNUSED_PAD src0_sel:BYTE_1 src1_sel:DWORD
	v_dot4c_i32_i8_e32 v26, v18, v7
	v_or_b32_sdwa v5, v5, v6 dst_sel:DWORD dst_unused:UNUSED_PAD src0_sel:WORD_0 src1_sel:DWORD
	v_dot4c_i32_i8_e32 v26, v5, v0
	v_lshrrev_b16_e32 v0, 9, v19
	v_bcnt_u32_b32 v5, v0, 0
	v_and_b32_e32 v5, 1, v5
	v_lshl_or_b32 v5, v5, 7, v0
	v_mul_lo_u32 v5, v5, s22
	v_and_b32_e32 v6, 0x8000000, v5
	v_lshrrev_b32_e32 v18, 8, v5
	v_lshrrev_b16_e32 v22, 1, v18
	v_cmp_ne_u16_sdwa s[20:21], v6, v9 src0_sel:BYTE_3 src1_sel:DWORD
	v_lshlrev_b16_e32 v7, 6, v19
	v_bfe_i32 v22, v22, 0, 1
	v_lshrrev_b32_e32 v23, 18, v5
	v_cndmask_b32_e64 v6, 0, -1, s[20:21]
	v_ashrrev_i16_e32 v7, 15, v7
	v_bfe_i32 v23, v23, 0, 1
	v_lshlrev_b16_e32 v6, 8, v6
	v_lshlrev_b16_e32 v22, 8, v22
	v_or_b32_sdwa v24, v23, v6 dst_sel:WORD_1 dst_unused:UNUSED_PAD src0_sel:BYTE_0 src1_sel:DWORD
	v_or_b32_sdwa v25, v7, v22 dst_sel:DWORD dst_unused:UNUSED_PAD src0_sel:BYTE_0 src1_sel:DWORD
	v_or_b32_sdwa v24, v25, v24 dst_sel:DWORD dst_unused:UNUSED_PAD src0_sel:WORD_0 src1_sel:DWORD
	s_waitcnt vmcnt(1)
	v_xor_b32_e32 v20, v20, v24
	v_and_b32_e32 v24, 0xffffff00, v20
	v_sub_i16 v22, v24, v22 clamp
	v_lshlrev_b16_e32 v24, 8, v20
	v_lshlrev_b16_e32 v7, 8, v7
	v_and_b32_e32 v22, 0xffffff00, v22
	v_sub_i16 v7, v24, v7 clamp
	v_or_b32_sdwa v7, v7, v22 dst_sel:DWORD dst_unused:UNUSED_PAD src0_sel:BYTE_1 src1_sel:DWORD
	v_and_b32_sdwa v22, v20, s23 dst_sel:DWORD dst_unused:UNUSED_PAD src0_sel:WORD_1 src1_sel:DWORD
	v_sub_i16 v6, v22, v6 clamp
	v_lshlrev_b16_sdwa v20, v38, v20 dst_sel:DWORD dst_unused:UNUSED_PAD src0_sel:DWORD src1_sel:WORD_1
	v_lshlrev_b16_e32 v22, 8, v23
	v_and_b32_e32 v6, 0xffffff00, v6
	v_sub_i16 v20, v20, v22 clamp
	v_or_b32_sdwa v6, v20, v6 dst_sel:WORD_1 dst_unused:UNUSED_PAD src0_sel:BYTE_1 src1_sel:DWORD
	v_lshrrev_b16_e32 v18, 5, v18
	v_or_b32_sdwa v6, v7, v6 dst_sel:DWORD dst_unused:UNUSED_PAD src0_sel:WORD_0 src1_sel:DWORD
	v_and_b32_e32 v7, 0x80000000, v5
	v_cmp_ne_u16_sdwa s[20:21], v7, v9 src0_sel:BYTE_3 src1_sel:DWORD
	v_bfe_i32 v18, v18, 0, 1
	v_lshrrev_b32_e32 v5, 22, v5
	v_cndmask_b32_e64 v7, 0, -1, s[20:21]
	v_bfe_i32 v0, v0, 4, 1
	v_bfe_i32 v5, v5, 0, 1
	v_lshlrev_b16_e32 v7, 8, v7
	v_lshlrev_b16_e32 v18, 8, v18
	v_or_b32_sdwa v20, v5, v7 dst_sel:WORD_1 dst_unused:UNUSED_PAD src0_sel:BYTE_0 src1_sel:DWORD
	v_or_b32_sdwa v22, v0, v18 dst_sel:DWORD dst_unused:UNUSED_PAD src0_sel:BYTE_0 src1_sel:DWORD
	v_or_b32_sdwa v20, v22, v20 dst_sel:DWORD dst_unused:UNUSED_PAD src0_sel:WORD_0 src1_sel:DWORD
	v_xor_b32_e32 v20, v21, v20
	v_and_b32_e32 v21, 0xffffff00, v20
	v_sub_i16 v18, v21, v18 clamp
	v_lshlrev_b16_e32 v21, 8, v20
	v_lshlrev_b16_e32 v0, 8, v0
	v_and_b32_e32 v18, 0xffffff00, v18
	v_sub_i16 v0, v21, v0 clamp
	v_or_b32_sdwa v0, v0, v18 dst_sel:DWORD dst_unused:UNUSED_PAD src0_sel:BYTE_1 src1_sel:DWORD
	v_and_b32_sdwa v18, v20, s23 dst_sel:DWORD dst_unused:UNUSED_PAD src0_sel:WORD_1 src1_sel:DWORD
	v_sub_i16 v7, v18, v7 clamp
	v_lshlrev_b16_sdwa v18, v38, v20 dst_sel:DWORD dst_unused:UNUSED_PAD src0_sel:DWORD src1_sel:WORD_1
	v_lshlrev_b16_e32 v5, 8, v5
	v_and_b32_e32 v7, 0xffffff00, v7
	v_sub_i16 v5, v18, v5 clamp
	v_or_b32_sdwa v5, v5, v7 dst_sel:WORD_1 dst_unused:UNUSED_PAD src0_sel:BYTE_1 src1_sel:DWORD
	v_cmp_le_u32_e32 vcc, s3, v36
	v_or_b32_sdwa v0, v0, v5 dst_sel:DWORD dst_unused:UNUSED_PAD src0_sel:WORD_0 src1_sel:DWORD
	v_mov_b32_e32 v5, 0
	v_dot4c_i32_i8_e32 v5, v6, v1
	v_dot4c_i32_i8_e32 v5, v0, v2
	v_lshrrev_b32_e32 v0, 25, v19
	v_bcnt_u32_b32 v1, v0, 0
	v_and_b32_e32 v1, 1, v1
	v_alignbit_b32 v1, v1, v19, 25
	v_mul_lo_u32 v1, v1, s22
	v_and_b32_e32 v2, 0x8000000, v1
	v_lshrrev_b32_e32 v7, 8, v1
	v_lshrrev_b16_e32 v18, 1, v7
	v_cmp_ne_u16_sdwa s[20:21], v2, v9 src0_sel:BYTE_3 src1_sel:DWORD
	v_lshlrev_b16_sdwa v6, v39, v19 dst_sel:DWORD dst_unused:UNUSED_PAD src0_sel:DWORD src1_sel:WORD_1
	v_bfe_i32 v18, v18, 0, 1
	v_lshrrev_b32_e32 v19, 18, v1
	v_cndmask_b32_e64 v2, 0, -1, s[20:21]
	v_ashrrev_i16_e32 v6, 15, v6
	v_bfe_i32 v19, v19, 0, 1
	v_lshlrev_b16_e32 v18, 8, v18
	v_lshlrev_b16_e32 v2, 8, v2
	v_or_b32_sdwa v20, v6, v18 dst_sel:DWORD dst_unused:UNUSED_PAD src0_sel:BYTE_0 src1_sel:DWORD
	v_or_b32_sdwa v21, v19, v2 dst_sel:WORD_1 dst_unused:UNUSED_PAD src0_sel:BYTE_0 src1_sel:DWORD
	v_lshlrev_b16_e32 v6, 8, v6
	v_or_b32_sdwa v20, v20, v21 dst_sel:DWORD dst_unused:UNUSED_PAD src0_sel:WORD_0 src1_sel:DWORD
	s_waitcnt vmcnt(0)
	v_xor_b32_e32 v16, v16, v20
	v_and_b32_e32 v20, 0xffffff00, v16
	v_sub_i16 v18, v20, v18 clamp
	v_lshlrev_b16_e32 v20, 8, v16
	v_and_b32_e32 v18, 0xffffff00, v18
	v_sub_i16 v6, v20, v6 clamp
	v_or_b32_sdwa v6, v6, v18 dst_sel:DWORD dst_unused:UNUSED_PAD src0_sel:BYTE_1 src1_sel:DWORD
	v_and_b32_sdwa v18, v16, s23 dst_sel:DWORD dst_unused:UNUSED_PAD src0_sel:WORD_1 src1_sel:DWORD
	v_sub_i16 v2, v18, v2 clamp
	v_lshlrev_b16_sdwa v16, v38, v16 dst_sel:DWORD dst_unused:UNUSED_PAD src0_sel:DWORD src1_sel:WORD_1
	v_lshlrev_b16_e32 v18, 8, v19
	v_and_b32_e32 v2, 0xffffff00, v2
	v_sub_i16 v16, v16, v18 clamp
	v_or_b32_sdwa v2, v16, v2 dst_sel:WORD_1 dst_unused:UNUSED_PAD src0_sel:BYTE_1 src1_sel:DWORD
	v_lshrrev_b16_e32 v7, 5, v7
	v_or_b32_sdwa v2, v6, v2 dst_sel:DWORD dst_unused:UNUSED_PAD src0_sel:WORD_0 src1_sel:DWORD
	v_and_b32_e32 v6, 0x80000000, v1
	v_cmp_ne_u16_sdwa s[20:21], v6, v9 src0_sel:BYTE_3 src1_sel:DWORD
	v_bfe_i32 v7, v7, 0, 1
	v_lshrrev_b32_e32 v1, 22, v1
	v_cndmask_b32_e64 v6, 0, -1, s[20:21]
	v_bfe_i32 v0, v0, 4, 1
	v_bfe_i32 v1, v1, 0, 1
	v_lshlrev_b16_e32 v7, 8, v7
	v_lshlrev_b16_e32 v6, 8, v6
	v_or_b32_sdwa v16, v0, v7 dst_sel:DWORD dst_unused:UNUSED_PAD src0_sel:BYTE_0 src1_sel:DWORD
	v_or_b32_sdwa v18, v1, v6 dst_sel:WORD_1 dst_unused:UNUSED_PAD src0_sel:BYTE_0 src1_sel:DWORD
	v_lshlrev_b16_e32 v0, 8, v0
	v_or_b32_sdwa v16, v16, v18 dst_sel:DWORD dst_unused:UNUSED_PAD src0_sel:WORD_0 src1_sel:DWORD
	v_xor_b32_e32 v16, v17, v16
	v_and_b32_e32 v17, 0xffffff00, v16
	v_sub_i16 v7, v17, v7 clamp
	v_lshlrev_b16_e32 v17, 8, v16
	v_and_b32_e32 v7, 0xffffff00, v7
	v_sub_i16 v0, v17, v0 clamp
	v_or_b32_sdwa v0, v0, v7 dst_sel:DWORD dst_unused:UNUSED_PAD src0_sel:BYTE_1 src1_sel:DWORD
	v_and_b32_sdwa v7, v16, s23 dst_sel:DWORD dst_unused:UNUSED_PAD src0_sel:WORD_1 src1_sel:DWORD
	v_sub_i16 v6, v7, v6 clamp
	v_lshlrev_b16_sdwa v7, v38, v16 dst_sel:DWORD dst_unused:UNUSED_PAD src0_sel:DWORD src1_sel:WORD_1
	v_lshlrev_b16_e32 v1, 8, v1
	v_and_b32_e32 v6, 0xffffff00, v6
	v_sub_i16 v1, v7, v1 clamp
	v_or_b32_sdwa v1, v1, v6 dst_sel:WORD_1 dst_unused:UNUSED_PAD src0_sel:BYTE_1 src1_sel:DWORD
	v_dot4c_i32_i8_e32 v5, v2, v3
	v_or_b32_sdwa v0, v0, v1 dst_sel:DWORD dst_unused:UNUSED_PAD src0_sel:WORD_0 src1_sel:DWORD
	v_dot4c_i32_i8_e32 v5, v0, v41
	v_bfe_u32 v0, v40, 4, 4
	v_and_b32_e32 v1, 15, v40
	v_mul_lo_u32 v1, v26, v1
	v_add_u32_e32 v2, v5, v26
	v_lshrrev_b32_e32 v3, 31, v2
	v_add_u32_e32 v2, v2, v3
	v_mul_lo_u32 v0, v5, v0
	v_ashrrev_i32_e32 v2, 1, v2
	v_add3_u32 v0, v0, v1, v2
	v_ashrrev_i32_e32 v1, 31, v0
	v_lshrrev_b32_e32 v1, 30, v1
	v_add_u32_e32 v0, v0, v1
	v_ashrrev_i32_e32 v0, 2, v0
	v_cvt_f32_f16_e32 v1, v42
	v_cvt_f32_i32_e32 v0, v0
	s_or_b64 s[18:19], vcc, s[18:19]
	v_lshl_add_u64 v[10:11], v[10:11], 0, s[16:17]
	v_mul_f32_e32 v1, v1, v4
	v_fmac_f32_e32 v37, v1, v0
	s_andn2_b64 exec, exec, s[18:19]
	s_cbranch_execz .LBB171_16
.LBB171_14:                             ; =>This Inner Loop Header: Depth=1
	v_add_u32_e32 v26, s5, v36
	v_mad_i64_i32 v[16:17], s[20:21], v26, s15, v[12:13]
	v_lshl_add_u64 v[0:1], v[16:17], 0, v[14:15]
	global_load_dwordx2 v[18:19], v[0:1], off offset:2
	v_lshl_add_u64 v[20:21], v[16:17], 0, v[8:9]
	global_load_ubyte v40, v[20:21], off offset:66
	global_load_dwordx4 v[4:7], v[10:11], off offset:-16
	global_load_dwordx4 v[0:3], v[10:11], off
	global_load_dword v41, v[10:11], off offset:16
	global_load_ushort v42, v[16:17], off
	s_getpc_b64 s[20:21]
	s_add_u32 s20, s20, _ZL10iq2xs_grid@rel32@lo+4
	s_addc_u32 s21, s21, _ZL10iq2xs_grid@rel32@hi+12
	s_and_b64 vcc, exec, s[8:9]
	s_waitcnt vmcnt(3)
	v_cvt_f32_f16_e32 v4, v4
	v_and_b32_e32 v16, 0x1ff01ff, v18
	v_and_b32_e32 v17, 0x1ff01ff, v19
	v_and_b32_e32 v20, 0x1ff, v16
	v_lshrrev_b32_e32 v27, 13, v16
	v_and_b32_e32 v16, 0x1ff, v17
	v_lshlrev_b32_e32 v29, 3, v20
	v_lshrrev_b32_e32 v28, 13, v17
	v_lshlrev_b32_e32 v43, 3, v16
	global_load_dwordx2 v[24:25], v29, s[20:21]
	global_load_dwordx2 v[22:23], v27, s[20:21]
	;; [unrolled: 1-line block ×4, first 2 shown]
	s_cbranch_vccnz .LBB171_13
; %bb.15:                               ;   in Loop: Header=BB171_14 Depth=1
	v_mov_b64_e32 v[28:29], s[36:37]
	v_mad_i64_i32 v[26:27], s[24:25], v26, s15, v[28:29]
	v_lshl_add_u64 v[46:47], v[26:27], 0, v[8:9]
	v_lshl_add_u64 v[44:45], v[26:27], 0, v[14:15]
	global_load_ubyte v43, v[46:47], off offset:66
	global_load_dwordx2 v[28:29], v[44:45], off offset:2
	s_waitcnt vmcnt(0)
	v_and_b32_e32 v46, 0x1ff01ff, v28
	v_and_b32_e32 v44, 0x1ff, v46
	v_lshlrev_b32_e32 v44, 3, v44
	global_load_dwordx2 v[44:45], v44, s[20:21]
	v_lshrrev_b16_e32 v47, 9, v28
	v_bcnt_u32_b32 v48, v47, 0
	v_and_b32_e32 v48, 1, v48
	v_lshl_or_b32 v48, v48, 7, v47
	v_mul_lo_u32 v48, v48, s22
	v_and_b32_e32 v49, 0x8000000, v48
	v_lshrrev_b32_e32 v51, 8, v48
	v_lshrrev_b16_e32 v52, 1, v51
	v_cmp_ne_u16_sdwa s[24:25], v49, v9 src0_sel:BYTE_3 src1_sel:DWORD
	v_lshlrev_b16_e32 v50, 6, v28
	v_bfe_i32 v52, v52, 0, 1
	v_lshrrev_b32_e32 v53, 18, v48
	v_cndmask_b32_e64 v49, 0, -1, s[24:25]
	v_ashrrev_i16_e32 v50, 15, v50
	v_bfe_i32 v53, v53, 0, 1
	v_lshlrev_b16_e32 v49, 8, v49
	v_lshlrev_b16_e32 v52, 8, v52
	v_or_b32_sdwa v54, v53, v49 dst_sel:WORD_1 dst_unused:UNUSED_PAD src0_sel:BYTE_0 src1_sel:DWORD
	v_or_b32_sdwa v55, v50, v52 dst_sel:DWORD dst_unused:UNUSED_PAD src0_sel:BYTE_0 src1_sel:DWORD
	v_or_b32_sdwa v54, v55, v54 dst_sel:DWORD dst_unused:UNUSED_PAD src0_sel:WORD_0 src1_sel:DWORD
	v_lshlrev_b16_e32 v50, 8, v50
	v_bfe_i32 v47, v47, 4, 1
	global_load_ushort v26, v[26:27], off
	s_waitcnt vmcnt(1)
	v_xor_b32_e32 v44, v44, v54
	v_and_b32_e32 v54, 0xffffff00, v44
	v_sub_i16 v52, v54, v52 clamp
	v_lshlrev_b16_e32 v54, 8, v44
	v_and_b32_e32 v52, 0xffffff00, v52
	v_sub_i16 v50, v54, v50 clamp
	v_or_b32_sdwa v50, v50, v52 dst_sel:DWORD dst_unused:UNUSED_PAD src0_sel:BYTE_1 src1_sel:DWORD
	v_and_b32_sdwa v52, v44, s23 dst_sel:DWORD dst_unused:UNUSED_PAD src0_sel:WORD_1 src1_sel:DWORD
	v_sub_i16 v49, v52, v49 clamp
	v_lshlrev_b16_sdwa v44, v38, v44 dst_sel:DWORD dst_unused:UNUSED_PAD src0_sel:DWORD src1_sel:WORD_1
	v_lshlrev_b16_e32 v52, 8, v53
	v_and_b32_e32 v49, 0xffffff00, v49
	v_sub_i16 v44, v44, v52 clamp
	v_or_b32_sdwa v44, v44, v49 dst_sel:WORD_1 dst_unused:UNUSED_PAD src0_sel:BYTE_1 src1_sel:DWORD
	v_and_b32_e32 v49, 0x80000000, v48
	v_or_b32_sdwa v44, v50, v44 dst_sel:DWORD dst_unused:UNUSED_PAD src0_sel:WORD_0 src1_sel:DWORD
	v_lshrrev_b16_e32 v50, 5, v51
	v_cmp_ne_u16_sdwa s[24:25], v49, v9 src0_sel:BYTE_3 src1_sel:DWORD
	v_bfe_i32 v50, v50, 0, 1
	v_lshrrev_b32_e32 v48, 22, v48
	v_cndmask_b32_e64 v49, 0, -1, s[24:25]
	v_bfe_i32 v48, v48, 0, 1
	v_lshlrev_b16_e32 v49, 8, v49
	v_lshlrev_b16_e32 v50, 8, v50
	v_or_b32_sdwa v51, v48, v49 dst_sel:WORD_1 dst_unused:UNUSED_PAD src0_sel:BYTE_0 src1_sel:DWORD
	v_or_b32_sdwa v52, v47, v50 dst_sel:DWORD dst_unused:UNUSED_PAD src0_sel:BYTE_0 src1_sel:DWORD
	v_or_b32_sdwa v51, v52, v51 dst_sel:DWORD dst_unused:UNUSED_PAD src0_sel:WORD_0 src1_sel:DWORD
	v_xor_b32_e32 v45, v45, v51
	v_and_b32_e32 v51, 0xffffff00, v45
	v_sub_i16 v50, v51, v50 clamp
	v_lshlrev_b16_e32 v51, 8, v45
	v_lshlrev_b16_e32 v47, 8, v47
	v_and_b32_e32 v50, 0xffffff00, v50
	v_sub_i16 v47, v51, v47 clamp
	v_or_b32_sdwa v47, v47, v50 dst_sel:DWORD dst_unused:UNUSED_PAD src0_sel:BYTE_1 src1_sel:DWORD
	v_and_b32_sdwa v50, v45, s23 dst_sel:DWORD dst_unused:UNUSED_PAD src0_sel:WORD_1 src1_sel:DWORD
	v_sub_i16 v49, v50, v49 clamp
	v_lshlrev_b16_sdwa v45, v38, v45 dst_sel:DWORD dst_unused:UNUSED_PAD src0_sel:DWORD src1_sel:WORD_1
	v_lshlrev_b16_e32 v48, 8, v48
	v_and_b32_e32 v49, 0xffffff00, v49
	v_sub_i16 v45, v45, v48 clamp
	v_or_b32_sdwa v45, v45, v49 dst_sel:WORD_1 dst_unused:UNUSED_PAD src0_sel:BYTE_1 src1_sel:DWORD
	s_waitcnt vmcnt(0)
	v_cvt_f32_f16_e32 v26, v26
	v_or_b32_sdwa v45, v47, v45 dst_sel:DWORD dst_unused:UNUSED_PAD src0_sel:WORD_0 src1_sel:DWORD
	v_mov_b32_e32 v47, 0
	v_dot4c_i32_i8_e32 v47, v44, v5
	v_lshrrev_b32_e32 v44, 13, v46
	v_dot4c_i32_i8_e32 v47, v45, v6
	global_load_dwordx2 v[44:45], v44, s[20:21]
	v_lshrrev_b32_e32 v46, 25, v28
	v_bcnt_u32_b32 v48, v46, 0
	v_and_b32_e32 v48, 1, v48
	v_alignbit_b32 v48, v48, v28, 25
	v_mul_lo_u32 v48, v48, s22
	v_and_b32_e32 v49, 0x8000000, v48
	v_lshrrev_b32_e32 v50, 8, v48
	v_lshrrev_b16_e32 v51, 1, v50
	v_cmp_ne_u16_sdwa s[24:25], v49, v9 src0_sel:BYTE_3 src1_sel:DWORD
	v_lshlrev_b16_sdwa v28, v39, v28 dst_sel:DWORD dst_unused:UNUSED_PAD src0_sel:DWORD src1_sel:WORD_1
	v_bfe_i32 v51, v51, 0, 1
	v_lshrrev_b32_e32 v52, 18, v48
	v_cndmask_b32_e64 v49, 0, -1, s[24:25]
	v_ashrrev_i16_e32 v28, 15, v28
	v_bfe_i32 v52, v52, 0, 1
	v_lshlrev_b16_e32 v49, 8, v49
	v_lshlrev_b16_e32 v51, 8, v51
	v_or_b32_sdwa v53, v52, v49 dst_sel:WORD_1 dst_unused:UNUSED_PAD src0_sel:BYTE_0 src1_sel:DWORD
	v_or_b32_sdwa v54, v28, v51 dst_sel:DWORD dst_unused:UNUSED_PAD src0_sel:BYTE_0 src1_sel:DWORD
	v_or_b32_sdwa v53, v54, v53 dst_sel:DWORD dst_unused:UNUSED_PAD src0_sel:WORD_0 src1_sel:DWORD
	v_lshlrev_b16_e32 v28, 8, v28
	v_bfe_i32 v46, v46, 4, 1
	v_mul_f32_e32 v26, v4, v26
	s_waitcnt vmcnt(0)
	v_xor_b32_e32 v44, v44, v53
	v_and_b32_e32 v53, 0xffffff00, v44
	v_sub_i16 v51, v53, v51 clamp
	v_lshlrev_b16_e32 v53, 8, v44
	v_and_b32_e32 v51, 0xffffff00, v51
	v_sub_i16 v28, v53, v28 clamp
	v_or_b32_sdwa v28, v28, v51 dst_sel:DWORD dst_unused:UNUSED_PAD src0_sel:BYTE_1 src1_sel:DWORD
	v_and_b32_sdwa v51, v44, s23 dst_sel:DWORD dst_unused:UNUSED_PAD src0_sel:WORD_1 src1_sel:DWORD
	v_sub_i16 v49, v51, v49 clamp
	v_lshlrev_b16_sdwa v44, v38, v44 dst_sel:DWORD dst_unused:UNUSED_PAD src0_sel:DWORD src1_sel:WORD_1
	v_lshlrev_b16_e32 v51, 8, v52
	v_and_b32_e32 v49, 0xffffff00, v49
	v_sub_i16 v44, v44, v51 clamp
	v_or_b32_sdwa v44, v44, v49 dst_sel:WORD_1 dst_unused:UNUSED_PAD src0_sel:BYTE_1 src1_sel:DWORD
	v_lshrrev_b16_e32 v49, 5, v50
	v_or_b32_sdwa v28, v28, v44 dst_sel:DWORD dst_unused:UNUSED_PAD src0_sel:WORD_0 src1_sel:DWORD
	v_and_b32_e32 v44, 0x80000000, v48
	v_cmp_ne_u16_sdwa s[24:25], v44, v9 src0_sel:BYTE_3 src1_sel:DWORD
	v_bfe_i32 v49, v49, 0, 1
	v_lshrrev_b32_e32 v48, 22, v48
	v_cndmask_b32_e64 v44, 0, -1, s[24:25]
	v_bfe_i32 v48, v48, 0, 1
	v_lshlrev_b16_e32 v44, 8, v44
	v_lshlrev_b16_e32 v49, 8, v49
	v_or_b32_sdwa v50, v48, v44 dst_sel:WORD_1 dst_unused:UNUSED_PAD src0_sel:BYTE_0 src1_sel:DWORD
	v_or_b32_sdwa v51, v46, v49 dst_sel:DWORD dst_unused:UNUSED_PAD src0_sel:BYTE_0 src1_sel:DWORD
	v_or_b32_sdwa v50, v51, v50 dst_sel:DWORD dst_unused:UNUSED_PAD src0_sel:WORD_0 src1_sel:DWORD
	v_xor_b32_e32 v45, v45, v50
	v_and_b32_e32 v50, 0xffffff00, v45
	v_sub_i16 v49, v50, v49 clamp
	v_lshlrev_b16_e32 v50, 8, v45
	v_lshlrev_b16_e32 v46, 8, v46
	v_and_b32_e32 v49, 0xffffff00, v49
	v_sub_i16 v46, v50, v46 clamp
	v_or_b32_sdwa v46, v46, v49 dst_sel:DWORD dst_unused:UNUSED_PAD src0_sel:BYTE_1 src1_sel:DWORD
	v_and_b32_sdwa v49, v45, s23 dst_sel:DWORD dst_unused:UNUSED_PAD src0_sel:WORD_1 src1_sel:DWORD
	v_sub_i16 v44, v49, v44 clamp
	v_lshlrev_b16_sdwa v45, v38, v45 dst_sel:DWORD dst_unused:UNUSED_PAD src0_sel:DWORD src1_sel:WORD_1
	v_lshlrev_b16_e32 v48, 8, v48
	v_and_b32_e32 v44, 0xffffff00, v44
	v_sub_i16 v45, v45, v48 clamp
	v_or_b32_sdwa v44, v45, v44 dst_sel:WORD_1 dst_unused:UNUSED_PAD src0_sel:BYTE_1 src1_sel:DWORD
	v_dot4c_i32_i8_e32 v47, v28, v7
	v_or_b32_sdwa v44, v46, v44 dst_sel:DWORD dst_unused:UNUSED_PAD src0_sel:WORD_0 src1_sel:DWORD
	v_and_b32_e32 v28, 0x1ff01ff, v29
	v_dot4c_i32_i8_e32 v47, v44, v0
	v_and_b32_e32 v44, 0x1ff, v28
	v_lshlrev_b32_e32 v44, 3, v44
	global_load_dwordx2 v[44:45], v44, s[20:21]
	v_lshrrev_b16_e32 v46, 9, v29
	v_bcnt_u32_b32 v48, v46, 0
	v_and_b32_e32 v48, 1, v48
	v_lshl_or_b32 v48, v48, 7, v46
	v_mul_lo_u32 v48, v48, s22
	v_and_b32_e32 v49, 0x8000000, v48
	v_lshrrev_b32_e32 v51, 8, v48
	v_lshrrev_b16_e32 v52, 1, v51
	v_cmp_ne_u16_sdwa s[24:25], v49, v9 src0_sel:BYTE_3 src1_sel:DWORD
	v_lshlrev_b16_e32 v50, 6, v29
	v_bfe_i32 v52, v52, 0, 1
	v_lshrrev_b32_e32 v53, 18, v48
	v_cndmask_b32_e64 v49, 0, -1, s[24:25]
	v_ashrrev_i16_e32 v50, 15, v50
	v_bfe_i32 v53, v53, 0, 1
	v_lshlrev_b16_e32 v49, 8, v49
	v_lshlrev_b16_e32 v52, 8, v52
	v_or_b32_sdwa v54, v53, v49 dst_sel:WORD_1 dst_unused:UNUSED_PAD src0_sel:BYTE_0 src1_sel:DWORD
	v_or_b32_sdwa v55, v50, v52 dst_sel:DWORD dst_unused:UNUSED_PAD src0_sel:BYTE_0 src1_sel:DWORD
	v_or_b32_sdwa v54, v55, v54 dst_sel:DWORD dst_unused:UNUSED_PAD src0_sel:WORD_0 src1_sel:DWORD
	v_lshlrev_b16_e32 v50, 8, v50
	v_bfe_i32 v46, v46, 4, 1
	v_lshrrev_b32_e32 v28, 13, v28
	s_waitcnt vmcnt(0)
	v_xor_b32_e32 v44, v44, v54
	v_and_b32_e32 v54, 0xffffff00, v44
	v_sub_i16 v52, v54, v52 clamp
	v_lshlrev_b16_e32 v54, 8, v44
	v_and_b32_e32 v52, 0xffffff00, v52
	v_sub_i16 v50, v54, v50 clamp
	v_or_b32_sdwa v50, v50, v52 dst_sel:DWORD dst_unused:UNUSED_PAD src0_sel:BYTE_1 src1_sel:DWORD
	v_and_b32_sdwa v52, v44, s23 dst_sel:DWORD dst_unused:UNUSED_PAD src0_sel:WORD_1 src1_sel:DWORD
	v_sub_i16 v49, v52, v49 clamp
	v_lshlrev_b16_sdwa v44, v38, v44 dst_sel:DWORD dst_unused:UNUSED_PAD src0_sel:DWORD src1_sel:WORD_1
	v_lshlrev_b16_e32 v52, 8, v53
	v_and_b32_e32 v49, 0xffffff00, v49
	v_sub_i16 v44, v44, v52 clamp
	v_or_b32_sdwa v44, v44, v49 dst_sel:WORD_1 dst_unused:UNUSED_PAD src0_sel:BYTE_1 src1_sel:DWORD
	v_and_b32_e32 v49, 0x80000000, v48
	v_or_b32_sdwa v44, v50, v44 dst_sel:DWORD dst_unused:UNUSED_PAD src0_sel:WORD_0 src1_sel:DWORD
	v_lshrrev_b16_e32 v50, 5, v51
	v_cmp_ne_u16_sdwa s[24:25], v49, v9 src0_sel:BYTE_3 src1_sel:DWORD
	v_bfe_i32 v50, v50, 0, 1
	v_lshrrev_b32_e32 v48, 22, v48
	v_cndmask_b32_e64 v49, 0, -1, s[24:25]
	v_bfe_i32 v48, v48, 0, 1
	v_lshlrev_b16_e32 v49, 8, v49
	v_lshlrev_b16_e32 v50, 8, v50
	v_or_b32_sdwa v51, v48, v49 dst_sel:WORD_1 dst_unused:UNUSED_PAD src0_sel:BYTE_0 src1_sel:DWORD
	v_or_b32_sdwa v52, v46, v50 dst_sel:DWORD dst_unused:UNUSED_PAD src0_sel:BYTE_0 src1_sel:DWORD
	v_or_b32_sdwa v51, v52, v51 dst_sel:DWORD dst_unused:UNUSED_PAD src0_sel:WORD_0 src1_sel:DWORD
	v_xor_b32_e32 v45, v45, v51
	v_and_b32_e32 v51, 0xffffff00, v45
	v_sub_i16 v50, v51, v50 clamp
	v_lshlrev_b16_e32 v51, 8, v45
	v_lshlrev_b16_e32 v46, 8, v46
	v_and_b32_e32 v50, 0xffffff00, v50
	v_sub_i16 v46, v51, v46 clamp
	v_or_b32_sdwa v46, v46, v50 dst_sel:DWORD dst_unused:UNUSED_PAD src0_sel:BYTE_1 src1_sel:DWORD
	v_and_b32_sdwa v50, v45, s23 dst_sel:DWORD dst_unused:UNUSED_PAD src0_sel:WORD_1 src1_sel:DWORD
	v_sub_i16 v49, v50, v49 clamp
	v_lshlrev_b16_sdwa v45, v38, v45 dst_sel:DWORD dst_unused:UNUSED_PAD src0_sel:DWORD src1_sel:WORD_1
	v_lshlrev_b16_e32 v48, 8, v48
	v_and_b32_e32 v49, 0xffffff00, v49
	v_sub_i16 v45, v45, v48 clamp
	v_or_b32_sdwa v45, v45, v49 dst_sel:WORD_1 dst_unused:UNUSED_PAD src0_sel:BYTE_1 src1_sel:DWORD
	s_nop 0
	v_or_b32_sdwa v45, v46, v45 dst_sel:DWORD dst_unused:UNUSED_PAD src0_sel:WORD_0 src1_sel:DWORD
	v_mov_b32_e32 v46, 0
	v_dot4c_i32_i8_e32 v46, v44, v1
	v_dot4c_i32_i8_e32 v46, v45, v2
	global_load_dwordx2 v[44:45], v28, s[20:21]
	v_lshrrev_b32_e32 v28, 25, v29
	v_bcnt_u32_b32 v48, v28, 0
	v_and_b32_e32 v48, 1, v48
	v_alignbit_b32 v48, v48, v29, 25
	v_mul_lo_u32 v48, v48, s22
	v_and_b32_e32 v49, 0x8000000, v48
	v_lshrrev_b32_e32 v50, 8, v48
	v_lshrrev_b16_e32 v51, 1, v50
	v_cmp_ne_u16_sdwa s[20:21], v49, v9 src0_sel:BYTE_3 src1_sel:DWORD
	v_lshlrev_b16_sdwa v29, v39, v29 dst_sel:DWORD dst_unused:UNUSED_PAD src0_sel:DWORD src1_sel:WORD_1
	v_bfe_i32 v51, v51, 0, 1
	v_lshrrev_b32_e32 v52, 18, v48
	v_cndmask_b32_e64 v49, 0, -1, s[20:21]
	v_ashrrev_i16_e32 v29, 15, v29
	v_bfe_i32 v52, v52, 0, 1
	v_lshlrev_b16_e32 v49, 8, v49
	v_lshlrev_b16_e32 v51, 8, v51
	v_or_b32_sdwa v53, v52, v49 dst_sel:WORD_1 dst_unused:UNUSED_PAD src0_sel:BYTE_0 src1_sel:DWORD
	v_or_b32_sdwa v54, v29, v51 dst_sel:DWORD dst_unused:UNUSED_PAD src0_sel:BYTE_0 src1_sel:DWORD
	v_or_b32_sdwa v53, v54, v53 dst_sel:DWORD dst_unused:UNUSED_PAD src0_sel:WORD_0 src1_sel:DWORD
	v_lshlrev_b16_e32 v29, 8, v29
	v_bfe_i32 v28, v28, 4, 1
	s_waitcnt vmcnt(0)
	v_xor_b32_e32 v44, v44, v53
	v_and_b32_e32 v53, 0xffffff00, v44
	v_sub_i16 v51, v53, v51 clamp
	v_lshlrev_b16_e32 v53, 8, v44
	v_and_b32_e32 v51, 0xffffff00, v51
	v_sub_i16 v29, v53, v29 clamp
	v_or_b32_sdwa v29, v29, v51 dst_sel:DWORD dst_unused:UNUSED_PAD src0_sel:BYTE_1 src1_sel:DWORD
	v_and_b32_sdwa v51, v44, s23 dst_sel:DWORD dst_unused:UNUSED_PAD src0_sel:WORD_1 src1_sel:DWORD
	v_sub_i16 v49, v51, v49 clamp
	v_lshlrev_b16_sdwa v44, v38, v44 dst_sel:DWORD dst_unused:UNUSED_PAD src0_sel:DWORD src1_sel:WORD_1
	v_lshlrev_b16_e32 v51, 8, v52
	v_and_b32_e32 v49, 0xffffff00, v49
	v_sub_i16 v44, v44, v51 clamp
	v_or_b32_sdwa v44, v44, v49 dst_sel:WORD_1 dst_unused:UNUSED_PAD src0_sel:BYTE_1 src1_sel:DWORD
	v_lshrrev_b16_e32 v49, 5, v50
	v_or_b32_sdwa v29, v29, v44 dst_sel:DWORD dst_unused:UNUSED_PAD src0_sel:WORD_0 src1_sel:DWORD
	v_and_b32_e32 v44, 0x80000000, v48
	v_cmp_ne_u16_sdwa s[20:21], v44, v9 src0_sel:BYTE_3 src1_sel:DWORD
	v_bfe_i32 v49, v49, 0, 1
	v_lshrrev_b32_e32 v48, 22, v48
	v_cndmask_b32_e64 v44, 0, -1, s[20:21]
	v_bfe_i32 v48, v48, 0, 1
	v_lshlrev_b16_e32 v44, 8, v44
	v_lshlrev_b16_e32 v49, 8, v49
	v_or_b32_sdwa v50, v48, v44 dst_sel:WORD_1 dst_unused:UNUSED_PAD src0_sel:BYTE_0 src1_sel:DWORD
	v_or_b32_sdwa v51, v28, v49 dst_sel:DWORD dst_unused:UNUSED_PAD src0_sel:BYTE_0 src1_sel:DWORD
	v_or_b32_sdwa v50, v51, v50 dst_sel:DWORD dst_unused:UNUSED_PAD src0_sel:WORD_0 src1_sel:DWORD
	v_xor_b32_e32 v45, v45, v50
	v_and_b32_e32 v50, 0xffffff00, v45
	v_sub_i16 v49, v50, v49 clamp
	v_lshlrev_b16_e32 v50, 8, v45
	v_lshlrev_b16_e32 v28, 8, v28
	v_and_b32_e32 v49, 0xffffff00, v49
	v_sub_i16 v28, v50, v28 clamp
	v_or_b32_sdwa v28, v28, v49 dst_sel:DWORD dst_unused:UNUSED_PAD src0_sel:BYTE_1 src1_sel:DWORD
	v_and_b32_sdwa v49, v45, s23 dst_sel:DWORD dst_unused:UNUSED_PAD src0_sel:WORD_1 src1_sel:DWORD
	v_sub_i16 v44, v49, v44 clamp
	v_lshlrev_b16_sdwa v45, v38, v45 dst_sel:DWORD dst_unused:UNUSED_PAD src0_sel:DWORD src1_sel:WORD_1
	v_lshlrev_b16_e32 v48, 8, v48
	v_and_b32_e32 v44, 0xffffff00, v44
	v_sub_i16 v45, v45, v48 clamp
	v_or_b32_sdwa v44, v45, v44 dst_sel:WORD_1 dst_unused:UNUSED_PAD src0_sel:BYTE_1 src1_sel:DWORD
	v_dot4c_i32_i8_e32 v46, v29, v3
	v_or_b32_sdwa v28, v28, v44 dst_sel:DWORD dst_unused:UNUSED_PAD src0_sel:WORD_0 src1_sel:DWORD
	v_dot4c_i32_i8_e32 v46, v28, v41
	v_lshrrev_b32_e32 v28, 4, v43
	v_and_b32_e32 v29, 15, v43
	v_mul_lo_u32 v29, v47, v29
	v_add_u32_e32 v43, v46, v47
	v_lshrrev_b32_e32 v44, 31, v43
	v_add_u32_e32 v43, v43, v44
	v_mul_lo_u32 v28, v46, v28
	v_ashrrev_i32_e32 v43, 1, v43
	v_add3_u32 v28, v28, v29, v43
	v_ashrrev_i32_e32 v29, 31, v28
	v_lshrrev_b32_e32 v29, 30, v29
	v_add_u32_e32 v28, v28, v29
	v_ashrrev_i32_e32 v28, 2, v28
	v_cvt_f32_i32_e32 v27, v28
	v_fmac_f32_e32 v35, v26, v27
	s_branch .LBB171_13
.LBB171_16:
	s_or_b64 exec, exec, s[18:19]
.LBB171_17:
	s_or_b64 exec, exec, s[10:11]
	s_load_dword s3, s[0:1], 0x30
	v_cmp_eq_u32_e64 s[10:11], 0, v34
	v_cmp_ne_u32_e32 vcc, 0, v34
	s_and_saveexec_b64 s[16:17], vcc
	s_cbranch_execz .LBB171_20
; %bb.18:
	v_add_u32_e32 v0, -1, v34
	v_lshl_add_u32 v0, v0, 8, v30
	s_and_b64 vcc, exec, s[8:9]
	ds_write_b32 v0, v37
	s_cbranch_vccnz .LBB171_20
; %bb.19:
	ds_write_b32 v0, v35 offset:256
.LBB171_20:
	s_or_b64 exec, exec, s[16:17]
	s_waitcnt lgkmcnt(0)
	s_barrier
	s_and_saveexec_b64 s[16:17], s[10:11]
	s_cbranch_execz .LBB171_49
; %bb.21:
	ds_read_b32 v0, v30
	s_and_b64 vcc, exec, s[8:9]
	s_cbranch_vccnz .LBB171_23
; %bb.22:
	ds_read_b32 v1, v30 offset:256
	s_waitcnt lgkmcnt(0)
	v_add_f32_e32 v35, v35, v1
.LBB171_23:
	s_waitcnt lgkmcnt(0)
	v_add_f32_e32 v1, v37, v0
	v_mbcnt_lo_u32_b32 v0, -1, 0
	v_mbcnt_hi_u32_b32 v4, -1, v0
	v_and_b32_e32 v0, 64, v4
	v_add_u32_e32 v7, 64, v0
	v_xor_b32_e32 v0, 32, v4
	v_cmp_lt_i32_e32 vcc, v0, v7
	v_xor_b32_e32 v3, 16, v4
	v_xor_b32_e32 v5, 8, v4
	v_cndmask_b32_e32 v0, v4, v0, vcc
	v_lshlrev_b32_e32 v0, 2, v0
	ds_bpermute_b32 v2, v0, v1
	v_cmp_lt_i32_e32 vcc, v3, v7
	v_xor_b32_e32 v6, 4, v4
	v_xor_b32_e32 v8, 2, v4
	;; [unrolled: 1-line block ×3, first 2 shown]
	s_waitcnt lgkmcnt(0)
	v_add_f32_e32 v2, v1, v2
	v_cndmask_b32_e32 v1, v4, v3, vcc
	v_lshlrev_b32_e32 v1, 2, v1
	ds_bpermute_b32 v3, v1, v2
	v_cmp_lt_i32_e32 vcc, v5, v7
	s_waitcnt lgkmcnt(0)
	v_add_f32_e32 v2, v2, v3
	v_cndmask_b32_e32 v3, v4, v5, vcc
	v_lshlrev_b32_e32 v3, 2, v3
	ds_bpermute_b32 v5, v3, v2
	v_cmp_lt_i32_e32 vcc, v6, v7
	;; [unrolled: 6-line block ×4, first 2 shown]
	s_waitcnt lgkmcnt(0)
	v_add_f32_e32 v2, v2, v8
	v_cndmask_b32_e32 v4, v4, v9, vcc
	v_lshlrev_b32_e32 v7, 2, v4
	ds_bpermute_b32 v4, v7, v2
	s_and_b64 vcc, exec, s[8:9]
	s_cbranch_vccnz .LBB171_25
; %bb.24:
	ds_bpermute_b32 v0, v0, v35
	s_waitcnt lgkmcnt(0)
	v_add_f32_e32 v0, v35, v0
	ds_bpermute_b32 v1, v1, v0
	s_waitcnt lgkmcnt(0)
	v_add_f32_e32 v0, v0, v1
	;; [unrolled: 3-line block ×6, first 2 shown]
.LBB171_25:
	v_cmp_eq_u32_e32 vcc, 0, v31
	s_and_b64 exec, exec, vcc
	s_cbranch_execz .LBB171_49
; %bb.26:
	s_waitcnt lgkmcnt(0)
	v_add_f32_e32 v0, v2, v4
	s_waitcnt vmcnt(0)
	v_add_f32_e32 v1, v33, v0
	s_and_b64 vcc, exec, s[8:9]
	v_cndmask_b32_e64 v0, v0, v1, s[12:13]
	s_cbranch_vccnz .LBB171_48
; %bb.27:
	v_add_f32_e32 v1, v32, v35
	v_cndmask_b32_e64 v1, v35, v1, s[6:7]
	s_cmp_lt_i32 s3, 2
	s_mov_b64 s[6:7], 0
	s_cbranch_scc1 .LBB171_31
; %bb.28:
	s_cmp_gt_i32 s3, 2
	s_cbranch_scc0 .LBB171_32
; %bb.29:
	s_cmp_eq_u32 s3, 3
	s_cbranch_scc0 .LBB171_33
; %bb.30:
	v_max_f32_e32 v2, v1, v1
	v_min_f32_e32 v4, 0x40e00000, v2
	v_mul_f32_e32 v3, 0xbfd9db23, v4
	s_mov_b32 s5, 0x3fb8aa3b
	v_mul_f32_e32 v2, 0x3fb8aa3b, v3
	v_fma_f32 v5, v3, s5, -v2
	v_rndne_f32_e32 v6, v2
	v_fmamk_f32 v5, v3, 0x32a5705f, v5
	v_sub_f32_e32 v2, v2, v6
	v_add_f32_e32 v2, v2, v5
	v_exp_f32_e32 v5, v2
	v_cvt_i32_f32_e32 v6, v6
	s_mov_b32 s5, 0xc2ce8ed0
	v_max_f32_e32 v2, v0, v0
	v_cmp_ngt_f32_e32 vcc, s5, v3
	v_ldexp_f32 v5, v5, v6
	s_mov_b32 s5, 0x42b17218
	v_min_f32_e32 v2, 0x40e00000, v2
	v_cndmask_b32_e32 v5, 0, v5, vcc
	v_mov_b32_e32 v6, 0x7f800000
	v_cmp_nlt_f32_e32 vcc, s5, v3
	v_max_f32_e32 v2, 0xc0e00000, v2
	s_nop 0
	v_cndmask_b32_e32 v3, v6, v5, vcc
	v_pk_add_f32 v[2:3], v[2:3], 1.0 op_sel_hi:[1,0]
	s_nop 0
	v_div_scale_f32 v5, s[8:9], v3, v3, v4
	v_rcp_f32_e32 v6, v5
	s_mov_b64 s[8:9], 0
	v_fma_f32 v7, -v5, v6, 1.0
	v_fmac_f32_e32 v6, v7, v6
	v_div_scale_f32 v7, vcc, v4, v3, v4
	v_mul_f32_e32 v8, v7, v6
	v_fma_f32 v9, -v5, v8, v7
	v_fmac_f32_e32 v8, v9, v6
	v_fma_f32 v5, -v5, v8, v7
	v_div_fmas_f32 v5, v5, v6, v8
	v_div_fixup_f32 v3, v5, v3, v4
	v_mul_f32_e32 v2, v2, v3
	s_branch .LBB171_34
.LBB171_31:
                                        ; implicit-def: $vgpr2
	s_mov_b64 s[8:9], 0
	s_cbranch_execnz .LBB171_38
	s_branch .LBB171_39
.LBB171_32:
	s_mov_b64 s[10:11], -1
	s_mov_b64 s[8:9], 0
                                        ; implicit-def: $vgpr2
	s_branch .LBB171_35
.LBB171_33:
	s_mov_b64 s[8:9], -1
                                        ; implicit-def: $vgpr2
.LBB171_34:
	s_mov_b64 s[10:11], 0
.LBB171_35:
	s_and_b64 vcc, exec, s[10:11]
	s_cbranch_vccz .LBB171_37
; %bb.36:
	v_mul_f32_e32 v2, 0xbfb8aa3b, v1
	s_mov_b32 s5, 0xbfb8aa3b
	v_rndne_f32_e32 v3, v2
	v_sub_f32_e32 v4, v2, v3
	v_fma_f32 v2, v1, s5, -v2
	v_fmamk_f32 v2, v1, 0xb2a5705f, v2
	v_add_f32_e32 v2, v4, v2
	v_exp_f32_e32 v2, v2
	v_cvt_i32_f32_e32 v3, v3
	s_mov_b32 s5, 0x42ce8ed0
	v_cmp_nlt_f32_e32 vcc, s5, v1
	s_mov_b32 s5, 0xc2b17218
	v_ldexp_f32 v2, v2, v3
	v_cndmask_b32_e32 v2, 0, v2, vcc
	v_mov_b32_e32 v3, 0x7f800000
	v_cmp_ngt_f32_e32 vcc, s5, v1
	s_nop 1
	v_cndmask_b32_e32 v2, v3, v2, vcc
	v_add_f32_e32 v2, 1.0, v2
	v_div_scale_f32 v3, s[10:11], v2, v2, v1
	v_rcp_f32_e32 v4, v3
	s_nop 0
	v_fma_f32 v5, -v3, v4, 1.0
	v_fmac_f32_e32 v4, v5, v4
	v_div_scale_f32 v5, vcc, v1, v2, v1
	v_mul_f32_e32 v6, v5, v4
	v_fma_f32 v7, -v3, v6, v5
	v_fmac_f32_e32 v6, v7, v4
	v_fma_f32 v3, -v3, v6, v5
	v_div_fmas_f32 v3, v3, v4, v6
	v_div_fixup_f32 v2, v3, v2, v1
	v_mul_f32_e32 v2, v0, v2
.LBB171_37:
	s_branch .LBB171_39
.LBB171_38:
	s_cmp_lg_u32 s3, 1
	s_mov_b64 s[6:7], -1
	s_cselect_b64 s[8:9], -1, 0
                                        ; implicit-def: $vgpr2
.LBB171_39:
	s_andn2_b64 vcc, exec, s[8:9]
	s_cbranch_vccz .LBB171_41
; %bb.40:
	s_andn2_b64 vcc, exec, s[6:7]
	s_cbranch_vccz .LBB171_42
	s_branch .LBB171_47
.LBB171_41:
	v_mul_f32_e32 v2, v0, v1
	s_cbranch_execnz .LBB171_47
.LBB171_42:
	v_mul_f32_e32 v3, 0x3d372713, v1
	v_mul_f32_e32 v2, 0x3f4c422a, v1
	v_fma_f32 v3, v1, v3, 1.0
	v_mul_f32_e32 v2, v2, v3
	s_mov_b32 s3, 0x3f200000
	v_cmp_nlt_f32_e64 s[6:7], |v2|, s3
                                        ; implicit-def: $vgpr3
	s_and_saveexec_b64 s[8:9], s[6:7]
	s_xor_b64 s[6:7], exec, s[8:9]
	s_cbranch_execz .LBB171_44
; %bb.43:
	v_add_f32_e64 v3, |v2|, |v2|
	v_mul_f32_e32 v4, 0x3fb8aa3b, v3
	s_mov_b32 s3, 0x3fb8aa3b
	v_rndne_f32_e32 v5, v4
	v_sub_f32_e32 v6, v4, v5
	v_fma_f32 v4, v3, s3, -v4
	v_fmamk_f32 v4, v3, 0x32a5705f, v4
	v_add_f32_e32 v4, v6, v4
	v_exp_f32_e32 v4, v4
	v_cvt_i32_f32_e32 v5, v5
	s_mov_b32 s3, 0xc2ce8ed0
	v_cmp_ngt_f32_e32 vcc, s3, v3
	s_mov_b32 s3, 0x42b17218
	v_ldexp_f32 v4, v4, v5
	v_cndmask_b32_e32 v4, 0, v4, vcc
	v_mov_b32_e32 v5, 0x7f800000
	v_cmp_nlt_f32_e32 vcc, s3, v3
	s_nop 1
	v_cndmask_b32_e32 v3, v5, v4, vcc
	v_add_f32_e32 v3, 1.0, v3
	v_rcp_f32_e32 v3, v3
	s_nop 0
	v_fma_f32 v3, v3, -2.0, 1.0
.LBB171_44:
	s_andn2_saveexec_b64 s[6:7], s[6:7]
; %bb.45:
	v_mul_f32_e32 v3, v2, v2
	v_mov_b32_e32 v4, 0x3ca908c9
	v_fmac_f32_e32 v4, 0xbbbac73d, v3
	v_fmaak_f32 v4, v3, v4, 0xbd5c1c4e
	v_fmaak_f32 v4, v3, v4, 0x3e088382
	;; [unrolled: 1-line block ×3, first 2 shown]
	v_mul_f32_e64 v4, |v2|, v4
	v_fma_f32 v3, v3, v4, |v2|
; %bb.46:
	s_or_b64 exec, exec, s[6:7]
	s_brev_b32 s3, -2
	v_bfi_b32 v2, s3, v3, v2
	v_mul_f32_e32 v1, 0.5, v1
	v_add_f32_e32 v2, 1.0, v2
	v_mul_f32_e32 v1, v1, v2
	v_mul_f32_e32 v2, v0, v1
.LBB171_47:
	v_mov_b32_e32 v0, v2
.LBB171_48:
	s_load_dwordx2 s[0:1], s[0:1], 0x38
	s_mul_i32 s3, s14, s26
	s_mul_i32 s4, s4, s30
	s_add_i32 s2, s3, s2
	s_add_i32 s2, s2, s4
	s_mov_b32 s3, 0
	s_lshl_b64 s[2:3], s[2:3], 2
	s_waitcnt lgkmcnt(0)
	s_add_u32 s0, s0, s2
	s_addc_u32 s1, s1, s3
	global_store_dword v30, v0, s[0:1]
.LBB171_49:
	s_endpgm
	.section	.rodata,"a",@progbits
	.p2align	6, 0x0
	.amdhsa_kernel _ZL13mul_mat_vec_qIL9ggml_type17ELi1ELb1ELb0EEvPKvS2_PKi31ggml_cuda_mm_fusion_args_devicePfj15HIP_vector_typeIjLj3EEjjjS8_jjjS8_jjjj
		.amdhsa_group_segment_fixed_size 512
		.amdhsa_private_segment_fixed_size 0
		.amdhsa_kernarg_size 144
		.amdhsa_user_sgpr_count 2
		.amdhsa_user_sgpr_dispatch_ptr 0
		.amdhsa_user_sgpr_queue_ptr 0
		.amdhsa_user_sgpr_kernarg_segment_ptr 1
		.amdhsa_user_sgpr_dispatch_id 0
		.amdhsa_user_sgpr_kernarg_preload_length 0
		.amdhsa_user_sgpr_kernarg_preload_offset 0
		.amdhsa_user_sgpr_private_segment_size 0
		.amdhsa_uses_dynamic_stack 0
		.amdhsa_enable_private_segment 0
		.amdhsa_system_sgpr_workgroup_id_x 1
		.amdhsa_system_sgpr_workgroup_id_y 1
		.amdhsa_system_sgpr_workgroup_id_z 1
		.amdhsa_system_sgpr_workgroup_info 0
		.amdhsa_system_vgpr_workitem_id 1
		.amdhsa_next_free_vgpr 56
		.amdhsa_next_free_sgpr 44
		.amdhsa_accum_offset 56
		.amdhsa_reserve_vcc 1
		.amdhsa_float_round_mode_32 0
		.amdhsa_float_round_mode_16_64 0
		.amdhsa_float_denorm_mode_32 3
		.amdhsa_float_denorm_mode_16_64 3
		.amdhsa_dx10_clamp 1
		.amdhsa_ieee_mode 1
		.amdhsa_fp16_overflow 0
		.amdhsa_tg_split 0
		.amdhsa_exception_fp_ieee_invalid_op 0
		.amdhsa_exception_fp_denorm_src 0
		.amdhsa_exception_fp_ieee_div_zero 0
		.amdhsa_exception_fp_ieee_overflow 0
		.amdhsa_exception_fp_ieee_underflow 0
		.amdhsa_exception_fp_ieee_inexact 0
		.amdhsa_exception_int_div_zero 0
	.end_amdhsa_kernel
	.section	.text._ZL13mul_mat_vec_qIL9ggml_type17ELi1ELb1ELb0EEvPKvS2_PKi31ggml_cuda_mm_fusion_args_devicePfj15HIP_vector_typeIjLj3EEjjjS8_jjjS8_jjjj,"axG",@progbits,_ZL13mul_mat_vec_qIL9ggml_type17ELi1ELb1ELb0EEvPKvS2_PKi31ggml_cuda_mm_fusion_args_devicePfj15HIP_vector_typeIjLj3EEjjjS8_jjjS8_jjjj,comdat
.Lfunc_end171:
	.size	_ZL13mul_mat_vec_qIL9ggml_type17ELi1ELb1ELb0EEvPKvS2_PKi31ggml_cuda_mm_fusion_args_devicePfj15HIP_vector_typeIjLj3EEjjjS8_jjjS8_jjjj, .Lfunc_end171-_ZL13mul_mat_vec_qIL9ggml_type17ELi1ELb1ELb0EEvPKvS2_PKi31ggml_cuda_mm_fusion_args_devicePfj15HIP_vector_typeIjLj3EEjjjS8_jjjS8_jjjj
                                        ; -- End function
	.section	.AMDGPU.csdata,"",@progbits
; Kernel info:
; codeLenInByte = 6208
; NumSgprs: 50
; NumVgprs: 56
; NumAgprs: 0
; TotalNumVgprs: 56
; ScratchSize: 0
; MemoryBound: 0
; FloatMode: 240
; IeeeMode: 1
; LDSByteSize: 512 bytes/workgroup (compile time only)
; SGPRBlocks: 6
; VGPRBlocks: 6
; NumSGPRsForWavesPerEU: 50
; NumVGPRsForWavesPerEU: 56
; AccumOffset: 56
; Occupancy: 8
; WaveLimiterHint : 0
; COMPUTE_PGM_RSRC2:SCRATCH_EN: 0
; COMPUTE_PGM_RSRC2:USER_SGPR: 2
; COMPUTE_PGM_RSRC2:TRAP_HANDLER: 0
; COMPUTE_PGM_RSRC2:TGID_X_EN: 1
; COMPUTE_PGM_RSRC2:TGID_Y_EN: 1
; COMPUTE_PGM_RSRC2:TGID_Z_EN: 1
; COMPUTE_PGM_RSRC2:TIDIG_COMP_CNT: 1
; COMPUTE_PGM_RSRC3_GFX90A:ACCUM_OFFSET: 13
; COMPUTE_PGM_RSRC3_GFX90A:TG_SPLIT: 0
	.section	.text._ZL13mul_mat_vec_qIL9ggml_type17ELi1ELb0ELb0EEvPKvS2_PKi31ggml_cuda_mm_fusion_args_devicePfj15HIP_vector_typeIjLj3EEjjjS8_jjjS8_jjjj,"axG",@progbits,_ZL13mul_mat_vec_qIL9ggml_type17ELi1ELb0ELb0EEvPKvS2_PKi31ggml_cuda_mm_fusion_args_devicePfj15HIP_vector_typeIjLj3EEjjjS8_jjjS8_jjjj,comdat
	.globl	_ZL13mul_mat_vec_qIL9ggml_type17ELi1ELb0ELb0EEvPKvS2_PKi31ggml_cuda_mm_fusion_args_devicePfj15HIP_vector_typeIjLj3EEjjjS8_jjjS8_jjjj ; -- Begin function _ZL13mul_mat_vec_qIL9ggml_type17ELi1ELb0ELb0EEvPKvS2_PKi31ggml_cuda_mm_fusion_args_devicePfj15HIP_vector_typeIjLj3EEjjjS8_jjjS8_jjjj
	.p2align	8
	.type	_ZL13mul_mat_vec_qIL9ggml_type17ELi1ELb0ELb0EEvPKvS2_PKi31ggml_cuda_mm_fusion_args_devicePfj15HIP_vector_typeIjLj3EEjjjS8_jjjS8_jjjj,@function
_ZL13mul_mat_vec_qIL9ggml_type17ELi1ELb0ELb0EEvPKvS2_PKi31ggml_cuda_mm_fusion_args_devicePfj15HIP_vector_typeIjLj3EEjjjS8_jjjS8_jjjj: ; @_ZL13mul_mat_vec_qIL9ggml_type17ELi1ELb0ELb0EEvPKvS2_PKi31ggml_cuda_mm_fusion_args_devicePfj15HIP_vector_typeIjLj3EEjjjS8_jjjS8_jjjj
; %bb.0:
	s_load_dwordx2 s[8:9], s[0:1], 0x10
	s_load_dwordx4 s[16:19], s[0:1], 0x40
	s_mov_b32 s20, s3
	s_mov_b64 s[12:13], 0
	s_waitcnt lgkmcnt(0)
	s_cmp_lg_u64 s[8:9], 0
	s_cselect_b64 s[6:7], -1, 0
	s_cmp_eq_u64 s[8:9], 0
	s_cbranch_scc1 .LBB172_5
; %bb.1:
	s_mov_b32 s21, 0
	s_lshl_b64 s[10:11], s[20:21], 2
	s_add_u32 s8, s8, s10
	s_addc_u32 s9, s9, s11
	s_load_dword s5, s[8:9], 0x0
	s_nop 0
	s_load_dwordx4 s[8:11], s[0:1], 0x68
	s_load_dword s21, s[0:1], 0x50
	s_andn2_b64 vcc, exec, s[12:13]
	s_cbranch_vccnz .LBB172_3
.LBB172_2:
	s_load_dwordx2 s[12:13], s[0:1], 0x5c
	s_waitcnt lgkmcnt(0)
	s_mul_hi_u32 s3, s12, s20
	s_add_i32 s3, s20, s3
	s_lshr_b32 s5, s3, s13
.LBB172_3:
	s_load_dword s22, s[0:1], 0x78
	s_andn2_b64 vcc, exec, s[6:7]
	s_cbranch_vccnz .LBB172_6
; %bb.4:
	s_mul_hi_u32 s3, s17, s20
	s_add_i32 s3, s20, s3
	s_lshr_b32 s3, s3, s18
	s_mul_i32 s3, s3, s19
	s_sub_i32 s17, s20, s3
	s_branch .LBB172_7
.LBB172_5:
                                        ; implicit-def: $sgpr5
	s_load_dwordx4 s[8:11], s[0:1], 0x68
	s_load_dword s21, s[0:1], 0x50
	s_branch .LBB172_2
.LBB172_6:
	s_mov_b32 s17, s20
.LBB172_7:
	s_load_dwordx4 s[12:15], s[0:1], 0x80
	v_bfe_u32 v17, v0, 10, 10
	v_and_b32_e32 v16, 0x3ff, v0
	v_lshl_add_u32 v2, v17, 6, v16
	s_lshr_b32 s3, s16, 8
	v_lshrrev_b32_e32 v18, 3, v2
	v_cmp_gt_u32_e32 vcc, s3, v18
	v_mov_b32_e32 v19, 0
	s_and_saveexec_b64 s[6:7], vcc
	s_cbranch_execz .LBB172_11
; %bb.8:
	s_waitcnt lgkmcnt(0)
	s_mul_i32 s5, s5, s8
	s_mul_hi_u32 s8, s11, s4
	s_add_i32 s8, s4, s8
	s_lshr_b32 s8, s8, s22
	s_mul_i32 s9, s17, s9
	s_mul_i32 s8, s8, s12
	s_load_dwordx4 s[24:27], s[0:1], 0x0
	s_add_i32 s5, s8, s5
	s_mul_hi_u32 s8, s9, 36
	s_mul_i32 s9, s9, 36
	v_lshlrev_b32_e32 v0, 1, v16
	v_lshrrev_b32_e32 v4, 3, v2
	v_mov_b32_e32 v2, s9
	v_mov_b32_e32 v3, s8
	s_movk_i32 s8, 0x120
	s_mul_i32 s13, s4, s13
	v_and_b32_e32 v0, 14, v0
	v_mad_u64_u32 v[2:3], s[8:9], v4, s8, v[2:3]
	v_lshlrev_b32_e32 v6, 1, v0
	v_and_b32_e32 v0, 7, v16
	v_mad_u64_u32 v[2:3], s[8:9], s13, 36, v[2:3]
	v_mad_u64_u32 v[2:3], s[8:9], v0, 36, v[2:3]
	s_mul_i32 s15, s2, s21
	v_mov_b32_e32 v1, 0
	s_waitcnt lgkmcnt(0)
	v_lshl_add_u64 v[2:3], v[2:3], 0, s[26:27]
	s_add_i32 s5, s5, s15
	v_lshl_add_u64 v[2:3], v[2:3], 0, 16
	s_mov_b64 s[8:9], 0
	s_movk_i32 s11, 0x4a
	v_mov_b64_e32 v[4:5], s[24:25]
	v_lshlrev_b32_e32 v6, 1, v6
	v_mov_b32_e32 v7, v1
	s_mov_b32 s15, 0x1010101
	s_movk_i32 s18, 0xff00
	s_mov_b64 s[12:13], 0x1200
	v_mov_b32_e32 v20, 8
	v_mov_b32_e32 v21, 6
	;; [unrolled: 1-line block ×3, first 2 shown]
.LBB172_9:                              ; =>This Inner Loop Header: Depth=1
	v_add_u32_e32 v8, s5, v18
	v_mad_i64_i32 v[10:11], s[22:23], v8, s11, v[4:5]
	v_lshl_add_u64 v[12:13], v[10:11], 0, v[6:7]
	v_lshl_add_u64 v[14:15], v[10:11], 0, v[0:1]
	global_load_dwordx2 v[8:9], v[12:13], off offset:2
	global_load_ubyte v22, v[14:15], off offset:66
	global_load_ushort v23, v[10:11], off
	s_getpc_b64 s[16:17]
	s_add_u32 s16, s16, _ZL10iq2xs_grid@rel32@lo+4
	s_addc_u32 s17, s17, _ZL10iq2xs_grid@rel32@hi+12
	v_add_u32_e32 v18, 16, v18
	v_cmp_le_u32_e32 vcc, s3, v18
	s_or_b64 s[8:9], vcc, s[8:9]
	s_waitcnt vmcnt(2)
	v_and_b32_e32 v10, 0x1ff01ff, v8
	v_lshrrev_b16_e32 v11, 9, v8
	v_lshlrev_b16_e32 v12, 6, v8
	v_lshrrev_b32_e32 v13, 25, v8
	v_and_b32_e32 v15, 0x1ff01ff, v9
	v_lshrrev_b16_e32 v24, 9, v9
	v_lshlrev_b16_sdwa v14, v21, v8 dst_sel:DWORD dst_unused:UNUSED_PAD src0_sel:DWORD src1_sel:WORD_1
	v_lshrrev_b32_e32 v26, 25, v9
	v_and_b32_e32 v28, 0x1ff, v10
	v_bcnt_u32_b32 v29, v11, 0
	v_ashrrev_i16_e32 v30, 15, v12
	v_lshrrev_b32_e32 v32, 13, v10
	v_bcnt_u32_b32 v10, v13, 0
	v_bfe_i32 v34, v13, 4, 1
	v_and_b32_e32 v12, 0x1ff, v15
	v_bcnt_u32_b32 v13, v24, 0
	v_lshlrev_b16_e32 v25, 6, v9
	v_ashrrev_i16_e32 v33, 15, v14
	v_lshrrev_b32_e32 v37, 13, v15
	v_bcnt_u32_b32 v14, v26, 0
	v_lshlrev_b32_e32 v28, 3, v28
	v_and_b32_e32 v15, 1, v29
	v_and_b32_e32 v10, 1, v10
	v_lshlrev_b32_e32 v29, 3, v12
	v_and_b32_e32 v12, 1, v13
	v_bfe_i32 v31, v11, 4, 1
	v_ashrrev_i16_e32 v35, 15, v25
	v_bfe_i32 v36, v24, 4, 1
	v_and_b32_e32 v38, 1, v14
	v_lshl_or_b32 v39, v15, 7, v11
	v_alignbit_b32 v8, v10, v8, 25
	v_lshl_or_b32 v40, v12, 7, v24
	global_load_dwordx2 v[10:11], v28, s[16:17]
	global_load_dwordx2 v[12:13], v32, s[16:17]
	;; [unrolled: 1-line block ×4, first 2 shown]
	v_mul_lo_u32 v28, v39, s15
	v_and_b32_e32 v32, 0x8000000, v28
	v_mul_lo_u32 v8, v8, s15
	v_and_b32_e32 v39, 0x80000000, v28
	v_cmp_ne_u16_sdwa s[16:17], v32, v1 src0_sel:BYTE_3 src1_sel:DWORD
	v_mul_lo_u32 v29, v40, s15
	v_and_b32_e32 v40, 0x8000000, v8
	v_cndmask_b32_e64 v32, 0, -1, s[16:17]
	v_cmp_ne_u16_sdwa s[16:17], v39, v1 src0_sel:BYTE_3 src1_sel:DWORD
	v_and_b32_e32 v43, 0x80000000, v8
	v_lshlrev_b16_sdwa v27, v21, v9 dst_sel:DWORD dst_unused:UNUSED_PAD src0_sel:DWORD src1_sel:WORD_1
	v_cndmask_b32_e64 v39, 0, -1, s[16:17]
	v_cmp_ne_u16_sdwa s[16:17], v40, v1 src0_sel:BYTE_3 src1_sel:DWORD
	v_alignbit_b32 v9, v38, v9, 25
	v_lshrrev_b32_e32 v41, 8, v8
	v_lshrrev_b32_e32 v42, 18, v8
	;; [unrolled: 1-line block ×3, first 2 shown]
	v_and_b32_e32 v44, 0x8000000, v29
	v_cndmask_b32_e64 v40, 0, -1, s[16:17]
	v_cmp_ne_u16_sdwa s[16:17], v43, v1 src0_sel:BYTE_3 src1_sel:DWORD
	v_mul_lo_u32 v9, v9, s15
	v_and_b32_e32 v47, 0x80000000, v29
	v_bfe_i32 v54, v8, 0, 1
	v_cndmask_b32_e64 v8, 0, -1, s[16:17]
	v_cmp_ne_u16_sdwa s[16:17], v44, v1 src0_sel:BYTE_3 src1_sel:DWORD
	v_lshrrev_b32_e32 v37, 8, v28
	v_and_b32_e32 v48, 0x8000000, v9
	v_cndmask_b32_e64 v44, 0, -1, s[16:17]
	v_cmp_ne_u16_sdwa s[16:17], v47, v1 src0_sel:BYTE_3 src1_sel:DWORD
	v_lshrrev_b32_e32 v45, 8, v29
	v_and_b32_e32 v51, 0x80000000, v9
	v_lshrrev_b16_e32 v52, 1, v37
	v_cndmask_b32_e64 v47, 0, -1, s[16:17]
	v_cmp_ne_u16_sdwa s[16:17], v48, v1 src0_sel:BYTE_3 src1_sel:DWORD
	v_lshrrev_b32_e32 v38, 18, v28
	v_lshrrev_b32_e32 v49, 8, v9
	;; [unrolled: 1-line block ×4, first 2 shown]
	v_lshrrev_b16_e32 v37, 5, v37
	v_lshrrev_b16_e32 v53, 1, v41
	;; [unrolled: 1-line block ×3, first 2 shown]
	v_cndmask_b32_e64 v48, 0, -1, s[16:17]
	v_cmp_ne_u16_sdwa s[16:17], v51, v1 src0_sel:BYTE_3 src1_sel:DWORD
	v_bfe_i32 v51, v52, 0, 1
	v_lshrrev_b32_e32 v28, 22, v28
	v_bfe_i32 v38, v38, 0, 1
	v_lshrrev_b16_e32 v45, 5, v45
	v_lshrrev_b16_e32 v55, 1, v49
	v_bfe_i32 v56, v9, 0, 1
	v_cndmask_b32_e64 v9, 0, -1, s[16:17]
	v_lshlrev_b16_e32 v32, 8, v32
	v_bfe_i32 v37, v37, 0, 1
	v_bfe_i32 v52, v53, 0, 1
	v_lshlrev_b16_e32 v53, 8, v8
	v_bfe_i32 v8, v43, 0, 1
	v_lshlrev_b16_e32 v51, 8, v51
	v_bfe_i32 v28, v28, 0, 1
	v_lshrrev_b16_e32 v41, 5, v41
	v_lshlrev_b16_e32 v39, 8, v39
	v_lshlrev_b16_e32 v43, 8, v44
	v_bfe_i32 v44, v45, 0, 1
	v_lshlrev_b16_e32 v45, 8, v47
	v_bfe_i32 v47, v55, 0, 1
	v_lshlrev_b16_e32 v55, 8, v9
	v_or_b32_sdwa v9, v38, v32 dst_sel:WORD_1 dst_unused:UNUSED_PAD src0_sel:BYTE_0 src1_sel:DWORD
	v_lshlrev_b16_e32 v37, 8, v37
	v_lshlrev_b16_e32 v61, 8, v8
	v_or_b32_sdwa v8, v30, v51 dst_sel:DWORD dst_unused:UNUSED_PAD src0_sel:BYTE_0 src1_sel:DWORD
	v_lshrrev_b32_e32 v46, 18, v29
	v_bfe_i32 v41, v41, 0, 1
	v_or_b32_sdwa v57, v28, v39 dst_sel:WORD_1 dst_unused:UNUSED_PAD src0_sel:BYTE_0 src1_sel:DWORD
	v_or_b32_sdwa v8, v8, v9 dst_sel:DWORD dst_unused:UNUSED_PAD src0_sel:WORD_0 src1_sel:DWORD
	v_or_b32_sdwa v9, v31, v37 dst_sel:DWORD dst_unused:UNUSED_PAD src0_sel:BYTE_0 src1_sel:DWORD
	v_bfe_i32 v46, v46, 0, 1
	v_lshlrev_b16_e32 v41, 8, v41
	v_or_b32_sdwa v9, v9, v57 dst_sel:DWORD dst_unused:UNUSED_PAD src0_sel:WORD_0 src1_sel:DWORD
	v_lshrrev_b32_e32 v29, 22, v29
	v_bfe_i32 v42, v42, 0, 1
	v_lshlrev_b16_e32 v40, 8, v40
	v_lshlrev_b16_e32 v52, 8, v52
	v_or_b32_sdwa v59, v54, v53 dst_sel:WORD_1 dst_unused:UNUSED_PAD src0_sel:BYTE_0 src1_sel:DWORD
	v_or_b32_sdwa v60, v46, v43 dst_sel:WORD_1 dst_unused:UNUSED_PAD src0_sel:BYTE_0 src1_sel:DWORD
	s_waitcnt vmcnt(3)
	v_xor_b32_e32 v62, v10, v8
	v_xor_b32_e32 v63, v11, v9
	v_or_b32_sdwa v10, v34, v41 dst_sel:DWORD dst_unused:UNUSED_PAD src0_sel:BYTE_0 src1_sel:DWORD
	v_or_b32_sdwa v11, v35, v61 dst_sel:DWORD dst_unused:UNUSED_PAD src0_sel:BYTE_0 src1_sel:DWORD
	v_bfe_i32 v29, v29, 0, 1
	v_or_b32_sdwa v58, v42, v40 dst_sel:WORD_1 dst_unused:UNUSED_PAD src0_sel:BYTE_0 src1_sel:DWORD
	v_lshlrev_b16_e32 v44, 8, v44
	v_or_b32_sdwa v9, v33, v52 dst_sel:DWORD dst_unused:UNUSED_PAD src0_sel:BYTE_0 src1_sel:DWORD
	v_or_b32_sdwa v10, v10, v59 dst_sel:DWORD dst_unused:UNUSED_PAD src0_sel:WORD_0 src1_sel:DWORD
	v_or_b32_sdwa v11, v11, v60 dst_sel:DWORD dst_unused:UNUSED_PAD src0_sel:WORD_0 src1_sel:DWORD
	v_lshrrev_b16_e32 v49, 5, v49
	v_or_b32_sdwa v57, v29, v45 dst_sel:WORD_1 dst_unused:UNUSED_PAD src0_sel:BYTE_0 src1_sel:DWORD
	v_or_b32_sdwa v9, v9, v58 dst_sel:DWORD dst_unused:UNUSED_PAD src0_sel:WORD_0 src1_sel:DWORD
	v_or_b32_sdwa v58, v36, v44 dst_sel:DWORD dst_unused:UNUSED_PAD src0_sel:BYTE_0 src1_sel:DWORD
	s_waitcnt vmcnt(2)
	v_xor_b32_e32 v60, v13, v10
	s_waitcnt vmcnt(1)
	v_xor_b32_e32 v64, v14, v11
	v_lshlrev_b16_e32 v13, 8, v30
	v_lshlrev_b16_e32 v14, 8, v31
	;; [unrolled: 1-line block ×4, first 2 shown]
	v_ashrrev_i16_e32 v27, 15, v27
	v_bfe_i32 v50, v50, 0, 1
	v_lshlrev_b16_e32 v48, 8, v48
	v_bfe_i32 v49, v49, 0, 1
	v_lshlrev_b16_e32 v47, 8, v47
	v_or_b32_sdwa v57, v58, v57 dst_sel:DWORD dst_unused:UNUSED_PAD src0_sel:WORD_0 src1_sel:DWORD
	v_sub_i16 v38, v38, v13 clamp
	v_and_b32_sdwa v13, v62, s18 dst_sel:DWORD dst_unused:UNUSED_PAD src0_sel:WORD_1 src1_sel:DWORD
	v_bfe_i32 v26, v26, 4, 1
	v_or_b32_sdwa v8, v50, v48 dst_sel:WORD_1 dst_unused:UNUSED_PAD src0_sel:BYTE_0 src1_sel:DWORD
	v_or_b32_sdwa v58, v27, v47 dst_sel:DWORD dst_unused:UNUSED_PAD src0_sel:BYTE_0 src1_sel:DWORD
	v_lshlrev_b16_e32 v49, 8, v49
	v_xor_b32_e32 v57, v15, v57
	v_lshlrev_b16_e32 v15, 8, v33
	v_lshlrev_b16_e32 v33, 8, v42
	v_lshlrev_b16_sdwa v42, v20, v62 dst_sel:DWORD dst_unused:UNUSED_PAD src0_sel:DWORD src1_sel:WORD_1
	v_sub_i16 v32, v13, v32 clamp
	v_and_b32_e32 v13, 0xffffff00, v63
	v_or_b32_sdwa v58, v58, v8 dst_sel:DWORD dst_unused:UNUSED_PAD src0_sel:WORD_0 src1_sel:DWORD
	v_or_b32_sdwa v8, v56, v55 dst_sel:WORD_1 dst_unused:UNUSED_PAD src0_sel:BYTE_0 src1_sel:DWORD
	v_or_b32_sdwa v59, v26, v49 dst_sel:DWORD dst_unused:UNUSED_PAD src0_sel:BYTE_0 src1_sel:DWORD
	v_xor_b32_e32 v12, v12, v9
	v_lshlrev_b16_e32 v30, 8, v34
	v_and_b32_e32 v34, 0xffffff00, v62
	v_sub_i16 v31, v42, v31 clamp
	v_lshlrev_b16_e32 v42, 8, v63
	v_sub_i16 v37, v13, v37 clamp
	v_and_b32_sdwa v13, v63, s18 dst_sel:DWORD dst_unused:UNUSED_PAD src0_sel:WORD_1 src1_sel:DWORD
	v_or_b32_sdwa v59, v59, v8 dst_sel:DWORD dst_unused:UNUSED_PAD src0_sel:WORD_0 src1_sel:DWORD
	v_lshlrev_b16_e32 v28, 8, v28
	v_sub_i16 v34, v34, v51 clamp
	v_lshlrev_b16_sdwa v51, v20, v63 dst_sel:DWORD dst_unused:UNUSED_PAD src0_sel:DWORD src1_sel:WORD_1
	v_sub_i16 v42, v42, v14 clamp
	v_and_b32_e32 v14, 0xffffff00, v12
	v_sub_i16 v39, v13, v39 clamp
	v_lshlrev_b16_e32 v13, 8, v12
	s_waitcnt vmcnt(0)
	v_xor_b32_e32 v25, v25, v59
	v_sub_i16 v28, v51, v28 clamp
	v_and_b32_sdwa v51, v12, s18 dst_sel:DWORD dst_unused:UNUSED_PAD src0_sel:WORD_1 src1_sel:DWORD
	v_lshlrev_b16_sdwa v12, v20, v12 dst_sel:DWORD dst_unused:UNUSED_PAD src0_sel:DWORD src1_sel:WORD_1
	v_sub_i16 v52, v14, v52 clamp
	v_and_b32_e32 v14, 0xffffff00, v60
	v_sub_i16 v59, v13, v15 clamp
	v_lshlrev_b16_e32 v13, 8, v60
	v_and_b32_sdwa v15, v60, s18 dst_sel:DWORD dst_unused:UNUSED_PAD src0_sel:WORD_1 src1_sel:DWORD
	global_load_dwordx4 v[8:11], v[2:3], off offset:-16
	v_sub_i16 v40, v51, v40 clamp
	v_sub_i16 v33, v12, v33 clamp
	v_sub_i16 v41, v14, v41 clamp
	v_sub_i16 v30, v13, v30 clamp
	v_sub_i16 v51, v15, v53 clamp
	global_load_dwordx4 v[12:15], v[2:3], off
	v_xor_b32_e32 v24, v24, v58
	global_load_dword v58, v[2:3], off offset:16
	v_lshlrev_b16_e32 v53, 8, v54
	v_lshlrev_b16_sdwa v54, v20, v60 dst_sel:DWORD dst_unused:UNUSED_PAD src0_sel:DWORD src1_sel:WORD_1
	v_sub_i16 v53, v54, v53 clamp
	v_and_b32_e32 v54, 0xffffff00, v64
	v_sub_i16 v54, v54, v61 clamp
	v_lshlrev_b16_e32 v46, 8, v46
	v_lshlrev_b16_sdwa v61, v20, v64 dst_sel:DWORD dst_unused:UNUSED_PAD src0_sel:DWORD src1_sel:WORD_1
	v_sub_i16 v46, v61, v46 clamp
	v_and_b32_e32 v61, 0xffffff00, v57
	v_lshlrev_b16_e32 v36, 8, v36
	v_sub_i16 v44, v61, v44 clamp
	v_lshlrev_b16_e32 v61, 8, v57
	v_sub_i16 v36, v61, v36 clamp
	v_and_b32_sdwa v61, v57, s18 dst_sel:DWORD dst_unused:UNUSED_PAD src0_sel:WORD_1 src1_sel:DWORD
	v_lshlrev_b16_e32 v29, 8, v29
	v_lshlrev_b16_sdwa v57, v20, v57 dst_sel:DWORD dst_unused:UNUSED_PAD src0_sel:DWORD src1_sel:WORD_1
	v_sub_i16 v29, v57, v29 clamp
	v_and_b32_e32 v57, 0xffffff00, v24
	v_lshlrev_b16_e32 v35, 8, v35
	v_lshlrev_b16_e32 v60, 8, v64
	;; [unrolled: 1-line block ×3, first 2 shown]
	v_sub_i16 v47, v57, v47 clamp
	v_lshlrev_b16_e32 v57, 8, v24
	v_sub_i16 v35, v60, v35 clamp
	v_and_b32_sdwa v60, v64, s18 dst_sel:DWORD dst_unused:UNUSED_PAD src0_sel:WORD_1 src1_sel:DWORD
	v_sub_i16 v27, v57, v27 clamp
	v_and_b32_sdwa v57, v24, s18 dst_sel:DWORD dst_unused:UNUSED_PAD src0_sel:WORD_1 src1_sel:DWORD
	v_lshlrev_b16_e32 v50, 8, v50
	v_lshlrev_b16_sdwa v24, v20, v24 dst_sel:DWORD dst_unused:UNUSED_PAD src0_sel:DWORD src1_sel:WORD_1
	v_sub_i16 v43, v60, v43 clamp
	v_sub_i16 v24, v24, v50 clamp
	v_and_b32_e32 v50, 0xffffff00, v25
	v_sub_i16 v45, v61, v45 clamp
	v_lshlrev_b16_e32 v26, 8, v26
	v_sub_i16 v49, v50, v49 clamp
	v_lshlrev_b16_e32 v50, 8, v25
	v_and_b32_e32 v34, 0xffffff00, v34
	v_and_b32_e32 v32, 0xffffff00, v32
	;; [unrolled: 1-line block ×8, first 2 shown]
	v_sub_i16 v48, v57, v48 clamp
	v_sub_i16 v26, v50, v26 clamp
	v_and_b32_sdwa v50, v25, s18 dst_sel:DWORD dst_unused:UNUSED_PAD src0_sel:WORD_1 src1_sel:DWORD
	v_and_b32_e32 v44, 0xffffff00, v44
	v_and_b32_e32 v45, 0xffffff00, v45
	v_or_b32_sdwa v34, v38, v34 dst_sel:DWORD dst_unused:UNUSED_PAD src0_sel:BYTE_1 src1_sel:DWORD
	v_or_b32_sdwa v31, v31, v32 dst_sel:WORD_1 dst_unused:UNUSED_PAD src0_sel:BYTE_1 src1_sel:DWORD
	v_or_b32_sdwa v32, v42, v37 dst_sel:DWORD dst_unused:UNUSED_PAD src0_sel:BYTE_1 src1_sel:DWORD
	v_or_b32_sdwa v28, v28, v39 dst_sel:WORD_1 dst_unused:UNUSED_PAD src0_sel:BYTE_1 src1_sel:DWORD
	;; [unrolled: 2-line block ×4, first 2 shown]
	v_mov_b32_e32 v60, 0
	v_mov_b32_e32 v61, 0
	v_sub_i16 v50, v50, v55 clamp
	v_lshlrev_b16_e32 v56, 8, v56
	v_lshlrev_b16_sdwa v25, v20, v25 dst_sel:DWORD dst_unused:UNUSED_PAD src0_sel:DWORD src1_sel:WORD_1
	v_and_b32_e32 v47, 0xffffff00, v47
	v_and_b32_e32 v48, 0xffffff00, v48
	v_or_b32_sdwa v36, v36, v44 dst_sel:DWORD dst_unused:UNUSED_PAD src0_sel:BYTE_1 src1_sel:DWORD
	v_or_b32_sdwa v29, v29, v45 dst_sel:WORD_1 dst_unused:UNUSED_PAD src0_sel:BYTE_1 src1_sel:DWORD
	v_or_b32_sdwa v31, v34, v31 dst_sel:DWORD dst_unused:UNUSED_PAD src0_sel:WORD_0 src1_sel:DWORD
	v_or_b32_sdwa v28, v32, v28 dst_sel:DWORD dst_unused:UNUSED_PAD src0_sel:WORD_0 src1_sel:DWORD
	;; [unrolled: 1-line block ×4, first 2 shown]
	v_sub_i16 v25, v25, v56 clamp
	v_and_b32_e32 v41, 0xffffff00, v41
	v_and_b32_e32 v51, 0xffffff00, v51
	;; [unrolled: 1-line block ×4, first 2 shown]
	v_or_b32_sdwa v27, v27, v47 dst_sel:DWORD dst_unused:UNUSED_PAD src0_sel:BYTE_1 src1_sel:DWORD
	v_or_b32_sdwa v24, v24, v48 dst_sel:WORD_1 dst_unused:UNUSED_PAD src0_sel:BYTE_1 src1_sel:DWORD
	v_or_b32_sdwa v29, v36, v29 dst_sel:DWORD dst_unused:UNUSED_PAD src0_sel:WORD_0 src1_sel:DWORD
	s_waitcnt vmcnt(2)
	v_dot4c_i32_i8_e32 v60, v31, v9
	s_waitcnt vmcnt(1)
	v_dot4c_i32_i8_e32 v61, v33, v13
	v_or_b32_sdwa v30, v30, v41 dst_sel:DWORD dst_unused:UNUSED_PAD src0_sel:BYTE_1 src1_sel:DWORD
	v_or_b32_sdwa v38, v53, v51 dst_sel:WORD_1 dst_unused:UNUSED_PAD src0_sel:BYTE_1 src1_sel:DWORD
	v_or_b32_sdwa v26, v26, v49 dst_sel:DWORD dst_unused:UNUSED_PAD src0_sel:BYTE_1 src1_sel:DWORD
	v_or_b32_sdwa v25, v25, v50 dst_sel:WORD_1 dst_unused:UNUSED_PAD src0_sel:BYTE_1 src1_sel:DWORD
	v_or_b32_sdwa v24, v27, v24 dst_sel:DWORD dst_unused:UNUSED_PAD src0_sel:WORD_0 src1_sel:DWORD
	v_dot4c_i32_i8_e32 v60, v28, v10
	v_dot4c_i32_i8_e32 v61, v29, v14
	v_or_b32_sdwa v30, v30, v38 dst_sel:DWORD dst_unused:UNUSED_PAD src0_sel:WORD_0 src1_sel:DWORD
	v_or_b32_sdwa v25, v26, v25 dst_sel:DWORD dst_unused:UNUSED_PAD src0_sel:WORD_0 src1_sel:DWORD
	v_dot4c_i32_i8_e32 v60, v32, v11
	v_dot4c_i32_i8_e32 v61, v24, v15
	;; [unrolled: 1-line block ×3, first 2 shown]
	s_waitcnt vmcnt(0)
	v_dot4c_i32_i8_e32 v61, v25, v58
	v_lshrrev_b32_e32 v55, 4, v22
	v_and_b32_e32 v22, 15, v22
	v_mul_lo_u32 v9, v60, v22
	v_add_u32_e32 v11, v61, v60
	v_lshrrev_b32_e32 v12, 31, v11
	v_add_u32_e32 v11, v11, v12
	v_mul_lo_u32 v10, v61, v55
	v_ashrrev_i32_e32 v11, 1, v11
	v_add3_u32 v9, v10, v9, v11
	v_ashrrev_i32_e32 v10, 31, v9
	v_lshrrev_b32_e32 v10, 30, v10
	v_add_u32_e32 v9, v9, v10
	v_cvt_f32_f16_e32 v8, v8
	v_cvt_f32_f16_e32 v23, v23
	v_ashrrev_i32_e32 v9, 2, v9
	v_cvt_f32_i32_e32 v9, v9
	v_lshl_add_u64 v[2:3], v[2:3], 0, s[12:13]
	v_mul_f32_e32 v8, v23, v8
	v_fmac_f32_e32 v19, v8, v9
	s_andn2_b64 exec, exec, s[8:9]
	s_cbranch_execnz .LBB172_9
; %bb.10:
	s_or_b64 exec, exec, s[8:9]
.LBB172_11:
	s_or_b64 exec, exec, s[6:7]
	v_cmp_eq_u32_e32 vcc, 0, v17
	v_cmp_ne_u32_e64 s[6:7], 0, v17
	v_lshlrev_b32_e32 v0, 2, v16
	s_waitcnt lgkmcnt(0)
	s_and_saveexec_b64 s[8:9], s[6:7]
	s_cbranch_execz .LBB172_13
; %bb.12:
	v_lshlrev_b32_e32 v1, 8, v17
	s_movk_i32 s3, 0xff00
	v_add3_u32 v1, v1, v0, s3
	ds_write_b32 v1, v19
.LBB172_13:
	s_or_b64 exec, exec, s[8:9]
	s_waitcnt lgkmcnt(0)
	s_barrier
	s_and_saveexec_b64 s[6:7], vcc
	s_cbranch_execz .LBB172_16
; %bb.14:
	v_mbcnt_lo_u32_b32 v1, -1, 0
	ds_read_b32 v0, v0
	v_mbcnt_hi_u32_b32 v1, -1, v1
	v_and_b32_e32 v2, 64, v1
	v_add_u32_e32 v2, 64, v2
	v_xor_b32_e32 v3, 32, v1
	v_cmp_lt_i32_e32 vcc, v3, v2
	s_waitcnt lgkmcnt(0)
	v_add_f32_e32 v0, v19, v0
	s_mov_b32 s3, 0
	v_cndmask_b32_e32 v3, v1, v3, vcc
	v_lshlrev_b32_e32 v3, 2, v3
	ds_bpermute_b32 v3, v3, v0
	s_waitcnt lgkmcnt(0)
	v_add_f32_e32 v0, v0, v3
	v_xor_b32_e32 v3, 16, v1
	v_cmp_lt_i32_e32 vcc, v3, v2
	s_nop 1
	v_cndmask_b32_e32 v3, v1, v3, vcc
	v_lshlrev_b32_e32 v3, 2, v3
	ds_bpermute_b32 v3, v3, v0
	s_waitcnt lgkmcnt(0)
	v_add_f32_e32 v0, v0, v3
	v_xor_b32_e32 v3, 8, v1
	v_cmp_lt_i32_e32 vcc, v3, v2
	s_nop 1
	;; [unrolled: 8-line block ×5, first 2 shown]
	v_cndmask_b32_e32 v1, v1, v3, vcc
	v_lshlrev_b32_e32 v1, 2, v1
	ds_bpermute_b32 v1, v1, v0
	v_cmp_eq_u32_e32 vcc, 0, v16
	s_and_b64 exec, exec, vcc
	s_cbranch_execz .LBB172_16
; %bb.15:
	s_load_dwordx2 s[0:1], s[0:1], 0x38
	s_mul_i32 s5, s20, s10
	s_mul_i32 s4, s4, s14
	s_add_i32 s2, s5, s2
	s_add_i32 s2, s2, s4
	s_lshl_b64 s[2:3], s[2:3], 2
	s_waitcnt lgkmcnt(0)
	s_add_u32 s0, s0, s2
	s_addc_u32 s1, s1, s3
	v_mov_b32_e32 v2, 0
	v_add_f32_e32 v0, v0, v1
	global_store_dword v2, v0, s[0:1]
.LBB172_16:
	s_endpgm
	.section	.rodata,"a",@progbits
	.p2align	6, 0x0
	.amdhsa_kernel _ZL13mul_mat_vec_qIL9ggml_type17ELi1ELb0ELb0EEvPKvS2_PKi31ggml_cuda_mm_fusion_args_devicePfj15HIP_vector_typeIjLj3EEjjjS8_jjjS8_jjjj
		.amdhsa_group_segment_fixed_size 256
		.amdhsa_private_segment_fixed_size 0
		.amdhsa_kernarg_size 144
		.amdhsa_user_sgpr_count 2
		.amdhsa_user_sgpr_dispatch_ptr 0
		.amdhsa_user_sgpr_queue_ptr 0
		.amdhsa_user_sgpr_kernarg_segment_ptr 1
		.amdhsa_user_sgpr_dispatch_id 0
		.amdhsa_user_sgpr_kernarg_preload_length 0
		.amdhsa_user_sgpr_kernarg_preload_offset 0
		.amdhsa_user_sgpr_private_segment_size 0
		.amdhsa_uses_dynamic_stack 0
		.amdhsa_enable_private_segment 0
		.amdhsa_system_sgpr_workgroup_id_x 1
		.amdhsa_system_sgpr_workgroup_id_y 1
		.amdhsa_system_sgpr_workgroup_id_z 1
		.amdhsa_system_sgpr_workgroup_info 0
		.amdhsa_system_vgpr_workitem_id 1
		.amdhsa_next_free_vgpr 65
		.amdhsa_next_free_sgpr 28
		.amdhsa_accum_offset 68
		.amdhsa_reserve_vcc 1
		.amdhsa_float_round_mode_32 0
		.amdhsa_float_round_mode_16_64 0
		.amdhsa_float_denorm_mode_32 3
		.amdhsa_float_denorm_mode_16_64 3
		.amdhsa_dx10_clamp 1
		.amdhsa_ieee_mode 1
		.amdhsa_fp16_overflow 0
		.amdhsa_tg_split 0
		.amdhsa_exception_fp_ieee_invalid_op 0
		.amdhsa_exception_fp_denorm_src 0
		.amdhsa_exception_fp_ieee_div_zero 0
		.amdhsa_exception_fp_ieee_overflow 0
		.amdhsa_exception_fp_ieee_underflow 0
		.amdhsa_exception_fp_ieee_inexact 0
		.amdhsa_exception_int_div_zero 0
	.end_amdhsa_kernel
	.section	.text._ZL13mul_mat_vec_qIL9ggml_type17ELi1ELb0ELb0EEvPKvS2_PKi31ggml_cuda_mm_fusion_args_devicePfj15HIP_vector_typeIjLj3EEjjjS8_jjjS8_jjjj,"axG",@progbits,_ZL13mul_mat_vec_qIL9ggml_type17ELi1ELb0ELb0EEvPKvS2_PKi31ggml_cuda_mm_fusion_args_devicePfj15HIP_vector_typeIjLj3EEjjjS8_jjjS8_jjjj,comdat
.Lfunc_end172:
	.size	_ZL13mul_mat_vec_qIL9ggml_type17ELi1ELb0ELb0EEvPKvS2_PKi31ggml_cuda_mm_fusion_args_devicePfj15HIP_vector_typeIjLj3EEjjjS8_jjjS8_jjjj, .Lfunc_end172-_ZL13mul_mat_vec_qIL9ggml_type17ELi1ELb0ELb0EEvPKvS2_PKi31ggml_cuda_mm_fusion_args_devicePfj15HIP_vector_typeIjLj3EEjjjS8_jjjS8_jjjj
                                        ; -- End function
	.section	.AMDGPU.csdata,"",@progbits
; Kernel info:
; codeLenInByte = 2944
; NumSgprs: 34
; NumVgprs: 65
; NumAgprs: 0
; TotalNumVgprs: 65
; ScratchSize: 0
; MemoryBound: 0
; FloatMode: 240
; IeeeMode: 1
; LDSByteSize: 256 bytes/workgroup (compile time only)
; SGPRBlocks: 4
; VGPRBlocks: 8
; NumSGPRsForWavesPerEU: 34
; NumVGPRsForWavesPerEU: 65
; AccumOffset: 68
; Occupancy: 7
; WaveLimiterHint : 0
; COMPUTE_PGM_RSRC2:SCRATCH_EN: 0
; COMPUTE_PGM_RSRC2:USER_SGPR: 2
; COMPUTE_PGM_RSRC2:TRAP_HANDLER: 0
; COMPUTE_PGM_RSRC2:TGID_X_EN: 1
; COMPUTE_PGM_RSRC2:TGID_Y_EN: 1
; COMPUTE_PGM_RSRC2:TGID_Z_EN: 1
; COMPUTE_PGM_RSRC2:TIDIG_COMP_CNT: 1
; COMPUTE_PGM_RSRC3_GFX90A:ACCUM_OFFSET: 16
; COMPUTE_PGM_RSRC3_GFX90A:TG_SPLIT: 0
	.section	.text._ZL13mul_mat_vec_qIL9ggml_type17ELi2ELb0ELb0EEvPKvS2_PKi31ggml_cuda_mm_fusion_args_devicePfj15HIP_vector_typeIjLj3EEjjjS8_jjjS8_jjjj,"axG",@progbits,_ZL13mul_mat_vec_qIL9ggml_type17ELi2ELb0ELb0EEvPKvS2_PKi31ggml_cuda_mm_fusion_args_devicePfj15HIP_vector_typeIjLj3EEjjjS8_jjjS8_jjjj,comdat
	.globl	_ZL13mul_mat_vec_qIL9ggml_type17ELi2ELb0ELb0EEvPKvS2_PKi31ggml_cuda_mm_fusion_args_devicePfj15HIP_vector_typeIjLj3EEjjjS8_jjjS8_jjjj ; -- Begin function _ZL13mul_mat_vec_qIL9ggml_type17ELi2ELb0ELb0EEvPKvS2_PKi31ggml_cuda_mm_fusion_args_devicePfj15HIP_vector_typeIjLj3EEjjjS8_jjjS8_jjjj
	.p2align	8
	.type	_ZL13mul_mat_vec_qIL9ggml_type17ELi2ELb0ELb0EEvPKvS2_PKi31ggml_cuda_mm_fusion_args_devicePfj15HIP_vector_typeIjLj3EEjjjS8_jjjS8_jjjj,@function
_ZL13mul_mat_vec_qIL9ggml_type17ELi2ELb0ELb0EEvPKvS2_PKi31ggml_cuda_mm_fusion_args_devicePfj15HIP_vector_typeIjLj3EEjjjS8_jjjS8_jjjj: ; @_ZL13mul_mat_vec_qIL9ggml_type17ELi2ELb0ELb0EEvPKvS2_PKi31ggml_cuda_mm_fusion_args_devicePfj15HIP_vector_typeIjLj3EEjjjS8_jjjS8_jjjj
; %bb.0:
	s_load_dwordx2 s[20:21], s[0:1], 0x4
	s_load_dword s7, s[2:3], 0x40
	s_load_dwordx4 s[8:11], s[2:3], 0x50
	s_load_dword s27, s[2:3], 0x60
	s_load_dwordx4 s[12:15], s[2:3], 0x68
	s_load_dword s26, s[2:3], 0x78
	s_load_dwordx4 s[16:19], s[2:3], 0x80
	s_waitcnt lgkmcnt(0)
	s_lshr_b32 s0, s20, 16
	v_bfe_u32 v28, v0, 10, 10
	v_and_b32_e32 v26, 0x3ff, v0
	s_mul_i32 s0, s0, s21
	v_mul_u32_u24_e32 v1, s21, v28
	v_mad_u32_u24 v1, s0, v26, v1
	v_bfe_u32 v0, v0, 20, 10
	v_lshl_add_u32 v5, v28, 6, v26
	v_add_lshl_u32 v4, v1, v0, 4
	s_lshr_b32 s7, s7, 8
	v_mov_b32_e32 v0, 0
	v_lshrrev_b32_e32 v29, 3, v5
	v_add_u32_e32 v27, 0x400, v4
	s_lshl_b32 s4, s4, 1
	v_mov_b32_e32 v1, v0
	v_mov_b32_e32 v2, v0
	;; [unrolled: 1-line block ×3, first 2 shown]
	v_cmp_gt_u32_e32 vcc, s7, v29
	ds_write_b128 v4, v[0:3] offset:1024
	s_and_saveexec_b64 s[0:1], vcc
	s_cbranch_execz .LBB173_4
; %bb.1:
	s_load_dwordx4 s[20:23], s[2:3], 0x0
	s_mul_i32 s17, s6, s17
	s_mul_i32 s24, s17, 36
	;; [unrolled: 1-line block ×3, first 2 shown]
	s_mul_hi_u32 s19, s17, 36
	s_waitcnt lgkmcnt(0)
	s_add_u32 s24, s22, s24
	s_addc_u32 s19, s23, s19
	s_mul_i32 s28, s13, 36
	s_mul_hi_u32 s29, s13, 36
	s_add_u32 s24, s24, s28
	s_mul_hi_u32 s11, s11, s5
	s_addc_u32 s25, s19, s29
	s_add_i32 s11, s5, s11
	s_lshr_b32 s11, s11, s27
	s_mul_i32 s11, s11, s12
	s_mul_hi_u32 s12, s15, s6
	s_add_i32 s12, s6, s12
	s_lshr_b32 s12, s12, s26
	s_mul_i32 s12, s12, s16
	s_add_i32 s15, s12, s11
	s_add_i32 s12, s4, 1
	s_mul_i32 s13, s4, s8
	s_mul_i32 s8, s8, s12
	s_add_i32 s11, s15, s13
	s_add_i32 s15, s15, s8
	s_movk_i32 s8, 0x120
	v_mov_b64_e32 v[2:3], s[28:29]
	v_lshl_add_u32 v30, v29, 3, s9
	v_mad_u64_u32 v[2:3], s[8:9], v29, s8, v[2:3]
	v_lshlrev_b32_e32 v0, 1, v26
	v_and_b32_e32 v12, 7, v26
	v_mad_u64_u32 v[2:3], s[8:9], s17, 36, v[2:3]
	v_and_b32_e32 v0, 14, v0
	v_mad_u64_u32 v[2:3], s[8:9], v12, 36, v[2:3]
	v_lshlrev_b32_e32 v0, 1, v0
	v_mov_b32_e32 v13, 0
	v_lshl_add_u64 v[2:3], v[2:3], 0, s[22:23]
	v_lshl_add_u64 v[14:15], v[2:3], 0, 16
	s_mov_b64 s[8:9], 0
	s_movk_i32 s19, 0x4a
	v_mov_b64_e32 v[16:17], s[20:21]
	v_lshlrev_b32_e32 v18, 1, v0
	v_mov_b32_e32 v19, v13
	s_mov_b32 s20, 0x1010101
	s_movk_i32 s21, 0xff00
	s_mov_b64 s[12:13], 0x1200
	v_mov_b32_e32 v31, 8
	v_mov_b32_e32 v32, 6
	;; [unrolled: 1-line block ×6, first 2 shown]
.LBB173_2:                              ; =>This Inner Loop Header: Depth=1
	v_add_u32_e32 v20, s11, v29
	v_mad_i64_i32 v[22:23], s[16:17], v20, s19, v[16:17]
	v_lshl_add_u64 v[20:21], v[22:23], 0, v[18:19]
	global_load_dword v50, v[14:15], off offset:16
	global_load_dwordx4 v[4:7], v[14:15], off
	global_load_dwordx4 v[8:11], v[14:15], off offset:-16
	global_load_dwordx2 v[24:25], v[20:21], off offset:2
	s_getpc_b64 s[16:17]
	s_add_u32 s16, s16, _ZL10iq2xs_grid@rel32@lo+4
	s_addc_u32 s17, s17, _ZL10iq2xs_grid@rel32@hi+12
	v_lshl_add_u64 v[20:21], v[22:23], 0, v[12:13]
	v_mov_b32_e32 v45, 0
	v_lshl_add_u64 v[14:15], v[14:15], 0, s[12:13]
	s_waitcnt vmcnt(1)
	v_cvt_f32_f16_e32 v8, v8
	s_waitcnt vmcnt(0)
	v_and_b32_e32 v33, 0x1ff, v24
	v_lshlrev_b32_e32 v33, 3, v33
	global_load_dwordx2 v[34:35], v33, s[16:17]
	v_lshrrev_b16_e32 v36, 9, v24
	v_bcnt_u32_b32 v33, v36, 0
	v_and_b32_e32 v33, 1, v33
	v_lshl_or_b32 v33, v33, 7, v36
	v_mul_lo_u32 v37, v33, s20
	v_and_b32_e32 v33, 0x8000000, v37
	v_lshrrev_b32_e32 v39, 8, v37
	v_lshrrev_b16_e32 v40, 1, v39
	v_cmp_ne_u16_sdwa s[22:23], v33, v13 src0_sel:BYTE_3 src1_sel:DWORD
	v_lshlrev_b16_e32 v38, 6, v24
	v_bfe_i32 v40, v40, 0, 1
	v_lshrrev_b32_e32 v41, 18, v37
	v_cndmask_b32_e64 v33, 0, -1, s[22:23]
	v_ashrrev_i16_e32 v38, 15, v38
	v_bfe_i32 v41, v41, 0, 1
	v_lshlrev_b16_e32 v33, 8, v33
	v_lshlrev_b16_e32 v40, 8, v40
	v_or_b32_sdwa v42, v41, v33 dst_sel:WORD_1 dst_unused:UNUSED_PAD src0_sel:BYTE_0 src1_sel:DWORD
	v_or_b32_sdwa v43, v38, v40 dst_sel:DWORD dst_unused:UNUSED_PAD src0_sel:BYTE_0 src1_sel:DWORD
	v_or_b32_sdwa v42, v43, v42 dst_sel:DWORD dst_unused:UNUSED_PAD src0_sel:WORD_0 src1_sel:DWORD
	v_lshlrev_b16_e32 v38, 8, v38
	v_bfe_i32 v36, v36, 4, 1
	s_waitcnt vmcnt(0)
	v_xor_b32_e32 v34, v34, v42
	v_and_b32_e32 v42, 0xffffff00, v34
	v_sub_i16 v40, v42, v40 clamp
	v_lshlrev_b16_e32 v42, 8, v34
	v_and_b32_e32 v40, 0xffffff00, v40
	v_sub_i16 v38, v42, v38 clamp
	v_or_b32_sdwa v38, v38, v40 dst_sel:DWORD dst_unused:UNUSED_PAD src0_sel:BYTE_1 src1_sel:DWORD
	v_and_b32_sdwa v40, v34, s21 dst_sel:DWORD dst_unused:UNUSED_PAD src0_sel:WORD_1 src1_sel:DWORD
	v_sub_i16 v33, v40, v33 clamp
	v_lshlrev_b16_sdwa v34, v31, v34 dst_sel:DWORD dst_unused:UNUSED_PAD src0_sel:DWORD src1_sel:WORD_1
	v_lshlrev_b16_e32 v40, 8, v41
	v_and_b32_e32 v33, 0xffffff00, v33
	v_sub_i16 v34, v34, v40 clamp
	v_or_b32_sdwa v33, v34, v33 dst_sel:WORD_1 dst_unused:UNUSED_PAD src0_sel:BYTE_1 src1_sel:DWORD
	v_and_b32_e32 v34, 0x80000000, v37
	v_or_b32_sdwa v33, v38, v33 dst_sel:DWORD dst_unused:UNUSED_PAD src0_sel:WORD_0 src1_sel:DWORD
	v_lshrrev_b16_e32 v38, 5, v39
	v_cmp_ne_u16_sdwa s[22:23], v34, v13 src0_sel:BYTE_3 src1_sel:DWORD
	v_bfe_i32 v38, v38, 0, 1
	v_lshrrev_b32_e32 v37, 22, v37
	v_cndmask_b32_e64 v34, 0, -1, s[22:23]
	v_bfe_i32 v37, v37, 0, 1
	v_lshlrev_b16_e32 v34, 8, v34
	v_lshlrev_b16_e32 v38, 8, v38
	v_or_b32_sdwa v39, v37, v34 dst_sel:WORD_1 dst_unused:UNUSED_PAD src0_sel:BYTE_0 src1_sel:DWORD
	v_or_b32_sdwa v40, v36, v38 dst_sel:DWORD dst_unused:UNUSED_PAD src0_sel:BYTE_0 src1_sel:DWORD
	v_or_b32_sdwa v39, v40, v39 dst_sel:DWORD dst_unused:UNUSED_PAD src0_sel:WORD_0 src1_sel:DWORD
	v_xor_b32_e32 v35, v35, v39
	v_and_b32_e32 v39, 0xffffff00, v35
	v_sub_i16 v38, v39, v38 clamp
	v_lshlrev_b16_e32 v39, 8, v35
	v_lshlrev_b16_e32 v36, 8, v36
	v_and_b32_e32 v38, 0xffffff00, v38
	v_sub_i16 v36, v39, v36 clamp
	v_or_b32_sdwa v36, v36, v38 dst_sel:DWORD dst_unused:UNUSED_PAD src0_sel:BYTE_1 src1_sel:DWORD
	v_and_b32_sdwa v38, v35, s21 dst_sel:DWORD dst_unused:UNUSED_PAD src0_sel:WORD_1 src1_sel:DWORD
	v_sub_i16 v34, v38, v34 clamp
	v_lshlrev_b16_sdwa v35, v31, v35 dst_sel:DWORD dst_unused:UNUSED_PAD src0_sel:DWORD src1_sel:WORD_1
	v_lshlrev_b16_e32 v37, 8, v37
	v_and_b32_e32 v34, 0xffffff00, v34
	v_sub_i16 v35, v35, v37 clamp
	v_or_b32_sdwa v34, v35, v34 dst_sel:WORD_1 dst_unused:UNUSED_PAD src0_sel:BYTE_1 src1_sel:DWORD
	v_lshrrev_b32_e32 v35, 13, v24
	v_and_b32_e32 v35, 0xff8, v35
	v_or_b32_sdwa v34, v36, v34 dst_sel:DWORD dst_unused:UNUSED_PAD src0_sel:WORD_0 src1_sel:DWORD
	global_load_dwordx2 v[36:37], v35, s[16:17]
	v_lshrrev_b32_e32 v35, 25, v24
	v_bcnt_u32_b32 v35, v35, 0
	v_and_b32_e32 v35, 1, v35
	v_alignbit_b32 v35, v35, v24, 25
	v_mul_lo_u32 v38, v35, s20
	v_and_b32_e32 v35, 0x8000000, v38
	v_lshrrev_b32_e32 v40, 8, v38
	v_lshrrev_b16_e32 v41, 1, v40
	v_cmp_ne_u16_sdwa s[22:23], v35, v13 src0_sel:BYTE_3 src1_sel:DWORD
	v_lshlrev_b16_sdwa v39, v32, v24 dst_sel:DWORD dst_unused:UNUSED_PAD src0_sel:DWORD src1_sel:WORD_1
	v_bfe_i32 v41, v41, 0, 1
	v_lshrrev_b32_e32 v42, 18, v38
	v_cndmask_b32_e64 v35, 0, -1, s[22:23]
	v_ashrrev_i16_e32 v39, 15, v39
	v_bfe_i32 v42, v42, 0, 1
	v_lshlrev_b16_e32 v35, 8, v35
	v_lshlrev_b16_e32 v41, 8, v41
	v_or_b32_sdwa v43, v42, v35 dst_sel:WORD_1 dst_unused:UNUSED_PAD src0_sel:BYTE_0 src1_sel:DWORD
	v_or_b32_sdwa v44, v39, v41 dst_sel:DWORD dst_unused:UNUSED_PAD src0_sel:BYTE_0 src1_sel:DWORD
	v_or_b32_sdwa v43, v44, v43 dst_sel:DWORD dst_unused:UNUSED_PAD src0_sel:WORD_0 src1_sel:DWORD
	v_lshlrev_b16_e32 v39, 8, v39
	v_bfe_i32 v24, v24, 29, 1
	v_dot4c_i32_i8_e32 v45, v33, v9
	v_dot4c_i32_i8_e32 v45, v34, v10
	s_waitcnt vmcnt(0)
	v_xor_b32_e32 v36, v36, v43
	v_and_b32_e32 v43, 0xffffff00, v36
	v_sub_i16 v41, v43, v41 clamp
	v_lshlrev_b16_e32 v43, 8, v36
	v_and_b32_e32 v41, 0xffffff00, v41
	v_sub_i16 v39, v43, v39 clamp
	v_or_b32_sdwa v39, v39, v41 dst_sel:DWORD dst_unused:UNUSED_PAD src0_sel:BYTE_1 src1_sel:DWORD
	v_and_b32_sdwa v41, v36, s21 dst_sel:DWORD dst_unused:UNUSED_PAD src0_sel:WORD_1 src1_sel:DWORD
	v_sub_i16 v35, v41, v35 clamp
	v_lshlrev_b16_sdwa v36, v31, v36 dst_sel:DWORD dst_unused:UNUSED_PAD src0_sel:DWORD src1_sel:WORD_1
	v_lshlrev_b16_e32 v41, 8, v42
	v_and_b32_e32 v35, 0xffffff00, v35
	v_sub_i16 v36, v36, v41 clamp
	v_or_b32_sdwa v35, v36, v35 dst_sel:WORD_1 dst_unused:UNUSED_PAD src0_sel:BYTE_1 src1_sel:DWORD
	v_and_b32_e32 v36, 0x80000000, v38
	v_or_b32_sdwa v35, v39, v35 dst_sel:DWORD dst_unused:UNUSED_PAD src0_sel:WORD_0 src1_sel:DWORD
	v_lshrrev_b16_e32 v39, 5, v40
	v_cmp_ne_u16_sdwa s[22:23], v36, v13 src0_sel:BYTE_3 src1_sel:DWORD
	v_bfe_i32 v39, v39, 0, 1
	v_lshrrev_b32_e32 v38, 22, v38
	v_cndmask_b32_e64 v36, 0, -1, s[22:23]
	v_bfe_i32 v38, v38, 0, 1
	v_lshlrev_b16_e32 v36, 8, v36
	v_lshlrev_b16_e32 v39, 8, v39
	v_or_b32_sdwa v40, v38, v36 dst_sel:WORD_1 dst_unused:UNUSED_PAD src0_sel:BYTE_0 src1_sel:DWORD
	v_or_b32_sdwa v41, v24, v39 dst_sel:DWORD dst_unused:UNUSED_PAD src0_sel:BYTE_0 src1_sel:DWORD
	v_or_b32_sdwa v40, v41, v40 dst_sel:DWORD dst_unused:UNUSED_PAD src0_sel:WORD_0 src1_sel:DWORD
	v_xor_b32_e32 v37, v37, v40
	v_and_b32_e32 v40, 0xffffff00, v37
	v_sub_i16 v39, v40, v39 clamp
	v_lshlrev_b16_e32 v40, 8, v37
	v_lshlrev_b16_e32 v24, 8, v24
	v_and_b32_e32 v39, 0xffffff00, v39
	v_sub_i16 v24, v40, v24 clamp
	v_or_b32_sdwa v24, v24, v39 dst_sel:DWORD dst_unused:UNUSED_PAD src0_sel:BYTE_1 src1_sel:DWORD
	v_and_b32_sdwa v39, v37, s21 dst_sel:DWORD dst_unused:UNUSED_PAD src0_sel:WORD_1 src1_sel:DWORD
	v_sub_i16 v36, v39, v36 clamp
	v_lshlrev_b16_sdwa v37, v31, v37 dst_sel:DWORD dst_unused:UNUSED_PAD src0_sel:DWORD src1_sel:WORD_1
	v_lshlrev_b16_e32 v38, 8, v38
	v_and_b32_e32 v36, 0xffffff00, v36
	v_sub_i16 v37, v37, v38 clamp
	v_or_b32_sdwa v36, v37, v36 dst_sel:WORD_1 dst_unused:UNUSED_PAD src0_sel:BYTE_1 src1_sel:DWORD
	v_lshlrev_b16_e32 v41, 6, v25
	v_or_b32_sdwa v36, v24, v36 dst_sel:DWORD dst_unused:UNUSED_PAD src0_sel:WORD_0 src1_sel:DWORD
	v_and_b32_e32 v24, 0x1ff, v25
	v_lshlrev_b32_e32 v24, 3, v24
	global_load_dwordx2 v[38:39], v24, s[16:17]
	v_lshrrev_b16_e32 v24, 9, v25
	v_bcnt_u32_b32 v37, v24, 0
	v_and_b32_e32 v37, 1, v37
	v_lshl_or_b32 v37, v37, 7, v24
	v_mul_lo_u32 v40, v37, s20
	v_and_b32_e32 v37, 0x8000000, v40
	v_lshrrev_b32_e32 v42, 8, v40
	v_lshrrev_b16_e32 v43, 1, v42
	v_cmp_ne_u16_sdwa s[22:23], v37, v13 src0_sel:BYTE_3 src1_sel:DWORD
	v_bfe_i32 v43, v43, 0, 1
	v_lshrrev_b32_e32 v44, 18, v40
	v_cndmask_b32_e64 v37, 0, -1, s[22:23]
	v_ashrrev_i16_e32 v41, 15, v41
	v_bfe_i32 v44, v44, 0, 1
	v_lshlrev_b16_e32 v37, 8, v37
	v_lshlrev_b16_e32 v43, 8, v43
	v_or_b32_sdwa v46, v44, v37 dst_sel:WORD_1 dst_unused:UNUSED_PAD src0_sel:BYTE_0 src1_sel:DWORD
	v_or_b32_sdwa v47, v41, v43 dst_sel:DWORD dst_unused:UNUSED_PAD src0_sel:BYTE_0 src1_sel:DWORD
	v_or_b32_sdwa v46, v47, v46 dst_sel:DWORD dst_unused:UNUSED_PAD src0_sel:WORD_0 src1_sel:DWORD
	v_lshlrev_b16_e32 v41, 8, v41
	v_bfe_i32 v24, v24, 4, 1
	v_dot4c_i32_i8_e32 v45, v35, v11
	v_dot4c_i32_i8_e32 v45, v36, v4
	v_mov_b32_e32 v47, 0
	s_waitcnt vmcnt(0)
	v_xor_b32_e32 v38, v38, v46
	v_and_b32_e32 v46, 0xffffff00, v38
	v_sub_i16 v43, v46, v43 clamp
	v_lshlrev_b16_e32 v46, 8, v38
	v_and_b32_e32 v43, 0xffffff00, v43
	v_sub_i16 v41, v46, v41 clamp
	v_or_b32_sdwa v41, v41, v43 dst_sel:DWORD dst_unused:UNUSED_PAD src0_sel:BYTE_1 src1_sel:DWORD
	v_and_b32_sdwa v43, v38, s21 dst_sel:DWORD dst_unused:UNUSED_PAD src0_sel:WORD_1 src1_sel:DWORD
	v_sub_i16 v37, v43, v37 clamp
	v_lshlrev_b16_sdwa v38, v31, v38 dst_sel:DWORD dst_unused:UNUSED_PAD src0_sel:DWORD src1_sel:WORD_1
	v_lshlrev_b16_e32 v43, 8, v44
	v_and_b32_e32 v37, 0xffffff00, v37
	v_sub_i16 v38, v38, v43 clamp
	v_or_b32_sdwa v37, v38, v37 dst_sel:WORD_1 dst_unused:UNUSED_PAD src0_sel:BYTE_1 src1_sel:DWORD
	v_and_b32_e32 v38, 0x80000000, v40
	v_or_b32_sdwa v37, v41, v37 dst_sel:DWORD dst_unused:UNUSED_PAD src0_sel:WORD_0 src1_sel:DWORD
	v_lshrrev_b16_e32 v41, 5, v42
	v_cmp_ne_u16_sdwa s[22:23], v38, v13 src0_sel:BYTE_3 src1_sel:DWORD
	v_bfe_i32 v41, v41, 0, 1
	v_lshrrev_b32_e32 v40, 22, v40
	v_cndmask_b32_e64 v38, 0, -1, s[22:23]
	v_bfe_i32 v40, v40, 0, 1
	v_lshlrev_b16_e32 v38, 8, v38
	v_lshlrev_b16_e32 v41, 8, v41
	v_or_b32_sdwa v42, v40, v38 dst_sel:WORD_1 dst_unused:UNUSED_PAD src0_sel:BYTE_0 src1_sel:DWORD
	v_or_b32_sdwa v43, v24, v41 dst_sel:DWORD dst_unused:UNUSED_PAD src0_sel:BYTE_0 src1_sel:DWORD
	v_or_b32_sdwa v42, v43, v42 dst_sel:DWORD dst_unused:UNUSED_PAD src0_sel:WORD_0 src1_sel:DWORD
	v_xor_b32_e32 v39, v39, v42
	v_and_b32_e32 v42, 0xffffff00, v39
	v_sub_i16 v41, v42, v41 clamp
	v_lshlrev_b16_e32 v42, 8, v39
	v_lshlrev_b16_e32 v24, 8, v24
	v_and_b32_e32 v41, 0xffffff00, v41
	v_sub_i16 v24, v42, v24 clamp
	v_or_b32_sdwa v24, v24, v41 dst_sel:DWORD dst_unused:UNUSED_PAD src0_sel:BYTE_1 src1_sel:DWORD
	v_and_b32_sdwa v41, v39, s21 dst_sel:DWORD dst_unused:UNUSED_PAD src0_sel:WORD_1 src1_sel:DWORD
	v_sub_i16 v38, v41, v38 clamp
	v_lshlrev_b16_sdwa v39, v31, v39 dst_sel:DWORD dst_unused:UNUSED_PAD src0_sel:DWORD src1_sel:WORD_1
	v_lshlrev_b16_e32 v40, 8, v40
	v_and_b32_e32 v38, 0xffffff00, v38
	v_sub_i16 v39, v39, v40 clamp
	v_or_b32_sdwa v38, v39, v38 dst_sel:WORD_1 dst_unused:UNUSED_PAD src0_sel:BYTE_1 src1_sel:DWORD
	v_lshlrev_b16_sdwa v42, v32, v25 dst_sel:DWORD dst_unused:UNUSED_PAD src0_sel:DWORD src1_sel:WORD_1
	v_or_b32_sdwa v38, v24, v38 dst_sel:DWORD dst_unused:UNUSED_PAD src0_sel:WORD_0 src1_sel:DWORD
	v_lshrrev_b32_e32 v24, 13, v25
	v_and_b32_e32 v24, 0xff8, v24
	global_load_dwordx2 v[40:41], v24, s[16:17]
	v_lshrrev_b32_e32 v24, 25, v25
	v_bcnt_u32_b32 v24, v24, 0
	v_and_b32_e32 v24, 1, v24
	v_alignbit_b32 v24, v24, v25, 25
	v_mul_lo_u32 v24, v24, s20
	v_and_b32_e32 v39, 0x8000000, v24
	v_lshrrev_b32_e32 v43, 8, v24
	v_lshrrev_b16_e32 v44, 1, v43
	v_cmp_ne_u16_sdwa s[22:23], v39, v13 src0_sel:BYTE_3 src1_sel:DWORD
	v_bfe_i32 v44, v44, 0, 1
	v_lshrrev_b32_e32 v46, 18, v24
	v_cndmask_b32_e64 v39, 0, -1, s[22:23]
	v_ashrrev_i16_e32 v42, 15, v42
	v_bfe_i32 v46, v46, 0, 1
	v_lshlrev_b16_e32 v39, 8, v39
	v_lshlrev_b16_e32 v44, 8, v44
	v_or_b32_sdwa v48, v46, v39 dst_sel:WORD_1 dst_unused:UNUSED_PAD src0_sel:BYTE_0 src1_sel:DWORD
	v_or_b32_sdwa v49, v42, v44 dst_sel:DWORD dst_unused:UNUSED_PAD src0_sel:BYTE_0 src1_sel:DWORD
	v_or_b32_sdwa v48, v49, v48 dst_sel:DWORD dst_unused:UNUSED_PAD src0_sel:WORD_0 src1_sel:DWORD
	v_lshlrev_b16_e32 v42, 8, v42
	v_bfe_i32 v25, v25, 29, 1
	v_dot4c_i32_i8_e32 v47, v37, v5
	v_dot4c_i32_i8_e32 v47, v38, v6
	s_waitcnt vmcnt(0)
	v_xor_b32_e32 v40, v40, v48
	v_and_b32_e32 v48, 0xffffff00, v40
	v_sub_i16 v44, v48, v44 clamp
	v_lshlrev_b16_e32 v48, 8, v40
	v_and_b32_e32 v44, 0xffffff00, v44
	v_sub_i16 v42, v48, v42 clamp
	v_or_b32_sdwa v42, v42, v44 dst_sel:DWORD dst_unused:UNUSED_PAD src0_sel:BYTE_1 src1_sel:DWORD
	v_and_b32_sdwa v44, v40, s21 dst_sel:DWORD dst_unused:UNUSED_PAD src0_sel:WORD_1 src1_sel:DWORD
	v_sub_i16 v39, v44, v39 clamp
	v_lshlrev_b16_sdwa v40, v31, v40 dst_sel:DWORD dst_unused:UNUSED_PAD src0_sel:DWORD src1_sel:WORD_1
	v_lshlrev_b16_e32 v44, 8, v46
	v_and_b32_e32 v39, 0xffffff00, v39
	v_sub_i16 v40, v40, v44 clamp
	v_or_b32_sdwa v39, v40, v39 dst_sel:WORD_1 dst_unused:UNUSED_PAD src0_sel:BYTE_1 src1_sel:DWORD
	v_and_b32_e32 v40, 0x80000000, v24
	v_or_b32_sdwa v39, v42, v39 dst_sel:DWORD dst_unused:UNUSED_PAD src0_sel:WORD_0 src1_sel:DWORD
	v_lshrrev_b16_e32 v42, 5, v43
	v_cmp_ne_u16_sdwa s[22:23], v40, v13 src0_sel:BYTE_3 src1_sel:DWORD
	v_bfe_i32 v42, v42, 0, 1
	v_lshrrev_b32_e32 v24, 22, v24
	v_cndmask_b32_e64 v40, 0, -1, s[22:23]
	v_bfe_i32 v24, v24, 0, 1
	v_lshlrev_b16_e32 v40, 8, v40
	v_lshlrev_b16_e32 v42, 8, v42
	v_or_b32_sdwa v43, v24, v40 dst_sel:WORD_1 dst_unused:UNUSED_PAD src0_sel:BYTE_0 src1_sel:DWORD
	v_or_b32_sdwa v44, v25, v42 dst_sel:DWORD dst_unused:UNUSED_PAD src0_sel:BYTE_0 src1_sel:DWORD
	v_or_b32_sdwa v43, v44, v43 dst_sel:DWORD dst_unused:UNUSED_PAD src0_sel:WORD_0 src1_sel:DWORD
	v_xor_b32_e32 v41, v41, v43
	v_and_b32_e32 v43, 0xffffff00, v41
	v_sub_i16 v42, v43, v42 clamp
	v_lshlrev_b16_e32 v43, 8, v41
	v_lshlrev_b16_e32 v25, 8, v25
	v_and_b32_e32 v42, 0xffffff00, v42
	v_sub_i16 v25, v43, v25 clamp
	v_or_b32_sdwa v25, v25, v42 dst_sel:DWORD dst_unused:UNUSED_PAD src0_sel:BYTE_1 src1_sel:DWORD
	v_and_b32_sdwa v42, v41, s21 dst_sel:DWORD dst_unused:UNUSED_PAD src0_sel:WORD_1 src1_sel:DWORD
	v_sub_i16 v40, v42, v40 clamp
	v_lshlrev_b16_sdwa v41, v31, v41 dst_sel:DWORD dst_unused:UNUSED_PAD src0_sel:DWORD src1_sel:WORD_1
	v_lshlrev_b16_e32 v24, 8, v24
	v_and_b32_e32 v40, 0xffffff00, v40
	v_sub_i16 v24, v41, v24 clamp
	global_load_ushort v46, v[22:23], off
	v_add_u32_e32 v22, s15, v29
	v_or_b32_sdwa v24, v24, v40 dst_sel:WORD_1 dst_unused:UNUSED_PAD src0_sel:BYTE_1 src1_sel:DWORD
	v_mad_i64_i32 v[22:23], s[22:23], v22, s19, v[16:17]
	v_or_b32_sdwa v40, v25, v24 dst_sel:DWORD dst_unused:UNUSED_PAD src0_sel:WORD_0 src1_sel:DWORD
	v_lshl_add_u64 v[24:25], v[22:23], 0, v[18:19]
	global_load_dwordx2 v[52:53], v[24:25], off offset:2
	v_dot4c_i32_i8_e32 v47, v39, v7
	v_dot4c_i32_i8_e32 v47, v40, v50
	v_lshl_add_u64 v[24:25], v[22:23], 0, v[12:13]
	v_add_u32_e32 v29, 16, v29
	v_cmp_le_u32_e32 vcc, s7, v29
	s_or_b64 s[8:9], vcc, s[8:9]
	s_waitcnt vmcnt(0)
	v_and_b32_e32 v41, 0x1ff, v52
	v_lshlrev_b32_e32 v41, 3, v41
	global_load_dwordx2 v[42:43], v41, s[16:17]
	v_lshrrev_b16_e32 v44, 9, v52
	v_bcnt_u32_b32 v41, v44, 0
	v_and_b32_e32 v41, 1, v41
	v_lshl_or_b32 v41, v41, 7, v44
	v_mul_lo_u32 v48, v41, s20
	v_and_b32_e32 v41, 0x8000000, v48
	v_lshrrev_b32_e32 v51, 8, v48
	v_lshrrev_b16_e32 v54, 1, v51
	v_cmp_ne_u16_sdwa s[22:23], v41, v13 src0_sel:BYTE_3 src1_sel:DWORD
	v_lshlrev_b16_e32 v49, 6, v52
	v_bfe_i32 v54, v54, 0, 1
	v_lshrrev_b32_e32 v55, 18, v48
	v_cndmask_b32_e64 v41, 0, -1, s[22:23]
	v_ashrrev_i16_e32 v49, 15, v49
	v_bfe_i32 v55, v55, 0, 1
	v_lshlrev_b16_e32 v41, 8, v41
	v_lshlrev_b16_e32 v54, 8, v54
	v_or_b32_sdwa v56, v55, v41 dst_sel:WORD_1 dst_unused:UNUSED_PAD src0_sel:BYTE_0 src1_sel:DWORD
	v_or_b32_sdwa v57, v49, v54 dst_sel:DWORD dst_unused:UNUSED_PAD src0_sel:BYTE_0 src1_sel:DWORD
	v_or_b32_sdwa v56, v57, v56 dst_sel:DWORD dst_unused:UNUSED_PAD src0_sel:WORD_0 src1_sel:DWORD
	v_lshlrev_b16_e32 v49, 8, v49
	v_bfe_i32 v44, v44, 4, 1
	s_waitcnt vmcnt(0)
	v_xor_b32_e32 v42, v42, v56
	v_and_b32_e32 v56, 0xffffff00, v42
	v_sub_i16 v54, v56, v54 clamp
	v_lshlrev_b16_e32 v56, 8, v42
	v_and_b32_e32 v54, 0xffffff00, v54
	v_sub_i16 v49, v56, v49 clamp
	v_or_b32_sdwa v49, v49, v54 dst_sel:DWORD dst_unused:UNUSED_PAD src0_sel:BYTE_1 src1_sel:DWORD
	v_and_b32_sdwa v54, v42, s21 dst_sel:DWORD dst_unused:UNUSED_PAD src0_sel:WORD_1 src1_sel:DWORD
	v_sub_i16 v41, v54, v41 clamp
	v_lshlrev_b16_sdwa v42, v31, v42 dst_sel:DWORD dst_unused:UNUSED_PAD src0_sel:DWORD src1_sel:WORD_1
	v_lshlrev_b16_e32 v54, 8, v55
	v_and_b32_e32 v41, 0xffffff00, v41
	v_sub_i16 v42, v42, v54 clamp
	v_or_b32_sdwa v41, v42, v41 dst_sel:WORD_1 dst_unused:UNUSED_PAD src0_sel:BYTE_1 src1_sel:DWORD
	v_and_b32_e32 v42, 0x80000000, v48
	v_or_b32_sdwa v41, v49, v41 dst_sel:DWORD dst_unused:UNUSED_PAD src0_sel:WORD_0 src1_sel:DWORD
	v_lshrrev_b16_e32 v49, 5, v51
	v_cmp_ne_u16_sdwa s[22:23], v42, v13 src0_sel:BYTE_3 src1_sel:DWORD
	v_bfe_i32 v49, v49, 0, 1
	v_lshrrev_b32_e32 v48, 22, v48
	v_cndmask_b32_e64 v42, 0, -1, s[22:23]
	v_bfe_i32 v48, v48, 0, 1
	v_lshlrev_b16_e32 v42, 8, v42
	v_lshlrev_b16_e32 v49, 8, v49
	v_or_b32_sdwa v51, v48, v42 dst_sel:WORD_1 dst_unused:UNUSED_PAD src0_sel:BYTE_0 src1_sel:DWORD
	v_or_b32_sdwa v54, v44, v49 dst_sel:DWORD dst_unused:UNUSED_PAD src0_sel:BYTE_0 src1_sel:DWORD
	v_or_b32_sdwa v51, v54, v51 dst_sel:DWORD dst_unused:UNUSED_PAD src0_sel:WORD_0 src1_sel:DWORD
	v_xor_b32_e32 v43, v43, v51
	v_and_b32_e32 v51, 0xffffff00, v43
	v_sub_i16 v49, v51, v49 clamp
	v_lshlrev_b16_e32 v51, 8, v43
	v_lshlrev_b16_e32 v44, 8, v44
	v_and_b32_e32 v49, 0xffffff00, v49
	v_sub_i16 v44, v51, v44 clamp
	v_or_b32_sdwa v44, v44, v49 dst_sel:DWORD dst_unused:UNUSED_PAD src0_sel:BYTE_1 src1_sel:DWORD
	v_and_b32_sdwa v49, v43, s21 dst_sel:DWORD dst_unused:UNUSED_PAD src0_sel:WORD_1 src1_sel:DWORD
	v_lshlrev_b16_sdwa v43, v31, v43 dst_sel:DWORD dst_unused:UNUSED_PAD src0_sel:DWORD src1_sel:WORD_1
	v_lshlrev_b16_e32 v48, 8, v48
	v_sub_i16 v43, v43, v48 clamp
	v_mov_b32_e32 v48, 0
	v_dot4c_i32_i8_e32 v48, v41, v9
	v_lshrrev_b32_e32 v9, 13, v52
	v_and_b32_e32 v9, 0xff8, v9
	global_load_dwordx2 v[54:55], v9, s[16:17]
	v_sub_i16 v42, v49, v42 clamp
	v_lshrrev_b32_e32 v9, 25, v52
	v_and_b32_e32 v42, 0xffffff00, v42
	v_bcnt_u32_b32 v9, v9, 0
	v_or_b32_sdwa v42, v43, v42 dst_sel:WORD_1 dst_unused:UNUSED_PAD src0_sel:BYTE_1 src1_sel:DWORD
	v_and_b32_e32 v9, 1, v9
	v_or_b32_sdwa v42, v44, v42 dst_sel:DWORD dst_unused:UNUSED_PAD src0_sel:WORD_0 src1_sel:DWORD
	v_alignbit_b32 v9, v9, v52, 25
	v_dot4c_i32_i8_e32 v48, v42, v10
	v_mul_lo_u32 v10, v9, s20
	v_and_b32_e32 v9, 0x8000000, v10
	v_lshrrev_b32_e32 v44, 8, v10
	v_lshrrev_b16_e32 v49, 1, v44
	v_cmp_ne_u16_sdwa s[22:23], v9, v13 src0_sel:BYTE_3 src1_sel:DWORD
	v_lshlrev_b16_sdwa v43, v32, v52 dst_sel:DWORD dst_unused:UNUSED_PAD src0_sel:DWORD src1_sel:WORD_1
	v_bfe_i32 v49, v49, 0, 1
	v_lshrrev_b32_e32 v51, 18, v10
	v_cndmask_b32_e64 v9, 0, -1, s[22:23]
	v_ashrrev_i16_e32 v43, 15, v43
	v_bfe_i32 v51, v51, 0, 1
	v_lshlrev_b16_e32 v9, 8, v9
	v_lshlrev_b16_e32 v49, 8, v49
	v_or_b32_sdwa v56, v51, v9 dst_sel:WORD_1 dst_unused:UNUSED_PAD src0_sel:BYTE_0 src1_sel:DWORD
	v_or_b32_sdwa v57, v43, v49 dst_sel:DWORD dst_unused:UNUSED_PAD src0_sel:BYTE_0 src1_sel:DWORD
	v_or_b32_sdwa v56, v57, v56 dst_sel:DWORD dst_unused:UNUSED_PAD src0_sel:WORD_0 src1_sel:DWORD
	v_lshlrev_b16_e32 v43, 8, v43
	v_lshlrev_b16_e32 v51, 8, v51
	v_lshrrev_b16_e32 v44, 5, v44
	v_bfe_i32 v44, v44, 0, 1
	v_lshlrev_b16_e32 v44, 8, v44
	s_waitcnt vmcnt(0)
	v_xor_b32_e32 v54, v54, v56
	v_and_b32_e32 v56, 0xffffff00, v54
	v_sub_i16 v49, v56, v49 clamp
	v_lshlrev_b16_e32 v56, 8, v54
	v_and_b32_e32 v49, 0xffffff00, v49
	v_sub_i16 v43, v56, v43 clamp
	v_or_b32_sdwa v43, v43, v49 dst_sel:DWORD dst_unused:UNUSED_PAD src0_sel:BYTE_1 src1_sel:DWORD
	v_and_b32_sdwa v49, v54, s21 dst_sel:DWORD dst_unused:UNUSED_PAD src0_sel:WORD_1 src1_sel:DWORD
	v_sub_i16 v9, v49, v9 clamp
	v_lshlrev_b16_sdwa v49, v31, v54 dst_sel:DWORD dst_unused:UNUSED_PAD src0_sel:DWORD src1_sel:WORD_1
	v_and_b32_e32 v9, 0xffffff00, v9
	v_sub_i16 v49, v49, v51 clamp
	v_or_b32_sdwa v9, v49, v9 dst_sel:WORD_1 dst_unused:UNUSED_PAD src0_sel:BYTE_1 src1_sel:DWORD
	v_bfe_i32 v49, v52, 29, 1
	v_or_b32_sdwa v9, v43, v9 dst_sel:DWORD dst_unused:UNUSED_PAD src0_sel:WORD_0 src1_sel:DWORD
	v_and_b32_e32 v43, 0x80000000, v10
	v_cmp_ne_u16_sdwa s[22:23], v43, v13 src0_sel:BYTE_3 src1_sel:DWORD
	v_lshrrev_b32_e32 v10, 22, v10
	v_bfe_i32 v10, v10, 0, 1
	v_cndmask_b32_e64 v43, 0, -1, s[22:23]
	v_lshlrev_b16_e32 v43, 8, v43
	v_or_b32_sdwa v51, v10, v43 dst_sel:WORD_1 dst_unused:UNUSED_PAD src0_sel:BYTE_0 src1_sel:DWORD
	v_or_b32_sdwa v52, v49, v44 dst_sel:DWORD dst_unused:UNUSED_PAD src0_sel:BYTE_0 src1_sel:DWORD
	v_or_b32_sdwa v51, v52, v51 dst_sel:DWORD dst_unused:UNUSED_PAD src0_sel:WORD_0 src1_sel:DWORD
	v_xor_b32_e32 v51, v55, v51
	v_and_b32_e32 v52, 0xffffff00, v51
	v_sub_i16 v44, v52, v44 clamp
	v_lshlrev_b16_e32 v52, 8, v51
	v_lshlrev_b16_e32 v49, 8, v49
	v_and_b32_e32 v44, 0xffffff00, v44
	v_sub_i16 v49, v52, v49 clamp
	v_or_b32_sdwa v44, v49, v44 dst_sel:DWORD dst_unused:UNUSED_PAD src0_sel:BYTE_1 src1_sel:DWORD
	v_and_b32_sdwa v49, v51, s21 dst_sel:DWORD dst_unused:UNUSED_PAD src0_sel:WORD_1 src1_sel:DWORD
	v_sub_i16 v43, v49, v43 clamp
	v_lshlrev_b16_sdwa v49, v31, v51 dst_sel:DWORD dst_unused:UNUSED_PAD src0_sel:DWORD src1_sel:WORD_1
	v_lshlrev_b16_e32 v10, 8, v10
	v_and_b32_e32 v43, 0xffffff00, v43
	v_sub_i16 v10, v49, v10 clamp
	v_or_b32_sdwa v10, v10, v43 dst_sel:WORD_1 dst_unused:UNUSED_PAD src0_sel:BYTE_1 src1_sel:DWORD
	v_dot4c_i32_i8_e32 v48, v9, v11
	v_or_b32_sdwa v10, v44, v10 dst_sel:DWORD dst_unused:UNUSED_PAD src0_sel:WORD_0 src1_sel:DWORD
	v_dot4c_i32_i8_e32 v48, v10, v4
	v_and_b32_e32 v4, 0x1ff, v53
	v_lshlrev_b32_e32 v4, 3, v4
	global_load_dwordx2 v[54:55], v4, s[16:17]
	v_lshrrev_b16_e32 v4, 9, v53
	v_bcnt_u32_b32 v11, v4, 0
	v_and_b32_e32 v11, 1, v11
	v_lshl_or_b32 v11, v11, 7, v4
	v_mul_lo_u32 v43, v11, s20
	v_and_b32_e32 v11, 0x8000000, v43
	v_lshrrev_b32_e32 v49, 8, v43
	v_lshrrev_b16_e32 v51, 1, v49
	v_cmp_ne_u16_sdwa s[22:23], v11, v13 src0_sel:BYTE_3 src1_sel:DWORD
	v_lshlrev_b16_e32 v44, 6, v53
	v_bfe_i32 v51, v51, 0, 1
	v_lshrrev_b32_e32 v52, 18, v43
	v_cndmask_b32_e64 v11, 0, -1, s[22:23]
	v_ashrrev_i16_e32 v44, 15, v44
	v_bfe_i32 v52, v52, 0, 1
	v_lshlrev_b16_e32 v11, 8, v11
	v_lshlrev_b16_e32 v51, 8, v51
	v_or_b32_sdwa v56, v52, v11 dst_sel:WORD_1 dst_unused:UNUSED_PAD src0_sel:BYTE_0 src1_sel:DWORD
	v_or_b32_sdwa v57, v44, v51 dst_sel:DWORD dst_unused:UNUSED_PAD src0_sel:BYTE_0 src1_sel:DWORD
	v_or_b32_sdwa v56, v57, v56 dst_sel:DWORD dst_unused:UNUSED_PAD src0_sel:WORD_0 src1_sel:DWORD
	v_lshlrev_b16_e32 v44, 8, v44
	v_lshlrev_b16_e32 v52, 8, v52
	v_lshrrev_b16_e32 v49, 5, v49
	v_bfe_i32 v49, v49, 0, 1
	v_bfe_i32 v4, v4, 4, 1
	v_lshlrev_b16_e32 v49, 8, v49
	s_waitcnt vmcnt(0)
	v_xor_b32_e32 v54, v54, v56
	v_and_b32_e32 v56, 0xffffff00, v54
	v_sub_i16 v51, v56, v51 clamp
	v_lshlrev_b16_e32 v56, 8, v54
	v_and_b32_e32 v51, 0xffffff00, v51
	v_sub_i16 v44, v56, v44 clamp
	v_or_b32_sdwa v44, v44, v51 dst_sel:DWORD dst_unused:UNUSED_PAD src0_sel:BYTE_1 src1_sel:DWORD
	v_and_b32_sdwa v51, v54, s21 dst_sel:DWORD dst_unused:UNUSED_PAD src0_sel:WORD_1 src1_sel:DWORD
	v_sub_i16 v11, v51, v11 clamp
	v_lshlrev_b16_sdwa v51, v31, v54 dst_sel:DWORD dst_unused:UNUSED_PAD src0_sel:DWORD src1_sel:WORD_1
	v_and_b32_e32 v11, 0xffffff00, v11
	v_sub_i16 v51, v51, v52 clamp
	v_or_b32_sdwa v11, v51, v11 dst_sel:WORD_1 dst_unused:UNUSED_PAD src0_sel:BYTE_1 src1_sel:DWORD
	v_or_b32_sdwa v52, v4, v49 dst_sel:DWORD dst_unused:UNUSED_PAD src0_sel:BYTE_0 src1_sel:DWORD
	v_or_b32_sdwa v11, v44, v11 dst_sel:DWORD dst_unused:UNUSED_PAD src0_sel:WORD_0 src1_sel:DWORD
	v_and_b32_e32 v44, 0x80000000, v43
	v_cmp_ne_u16_sdwa s[22:23], v44, v13 src0_sel:BYTE_3 src1_sel:DWORD
	v_lshrrev_b32_e32 v43, 22, v43
	v_bfe_i32 v43, v43, 0, 1
	v_cndmask_b32_e64 v44, 0, -1, s[22:23]
	v_lshlrev_b16_e32 v44, 8, v44
	v_or_b32_sdwa v51, v43, v44 dst_sel:WORD_1 dst_unused:UNUSED_PAD src0_sel:BYTE_0 src1_sel:DWORD
	v_lshlrev_b16_e32 v4, 8, v4
	v_or_b32_sdwa v51, v52, v51 dst_sel:DWORD dst_unused:UNUSED_PAD src0_sel:WORD_0 src1_sel:DWORD
	v_xor_b32_e32 v51, v55, v51
	v_and_b32_e32 v52, 0xffffff00, v51
	v_sub_i16 v49, v52, v49 clamp
	v_lshlrev_b16_e32 v52, 8, v51
	v_and_b32_e32 v49, 0xffffff00, v49
	v_sub_i16 v4, v52, v4 clamp
	v_or_b32_sdwa v4, v4, v49 dst_sel:DWORD dst_unused:UNUSED_PAD src0_sel:BYTE_1 src1_sel:DWORD
	v_and_b32_sdwa v49, v51, s21 dst_sel:DWORD dst_unused:UNUSED_PAD src0_sel:WORD_1 src1_sel:DWORD
	v_sub_i16 v44, v49, v44 clamp
	v_lshlrev_b16_sdwa v49, v31, v51 dst_sel:DWORD dst_unused:UNUSED_PAD src0_sel:DWORD src1_sel:WORD_1
	v_lshlrev_b16_e32 v43, 8, v43
	v_and_b32_e32 v44, 0xffffff00, v44
	v_sub_i16 v43, v49, v43 clamp
	v_or_b32_sdwa v43, v43, v44 dst_sel:WORD_1 dst_unused:UNUSED_PAD src0_sel:BYTE_1 src1_sel:DWORD
	v_mov_b32_e32 v49, 0
	v_or_b32_sdwa v43, v4, v43 dst_sel:DWORD dst_unused:UNUSED_PAD src0_sel:WORD_0 src1_sel:DWORD
	v_lshrrev_b32_e32 v4, 13, v53
	v_and_b32_e32 v4, 0xff8, v4
	v_dot4c_i32_i8_e32 v49, v11, v5
	global_load_dwordx2 v[4:5], v4, s[16:17]
	v_dot4c_i32_i8_e32 v49, v43, v6
	v_lshrrev_b32_e32 v6, 25, v53
	v_bcnt_u32_b32 v6, v6, 0
	v_and_b32_e32 v6, 1, v6
	v_alignbit_b32 v6, v6, v53, 25
	v_mul_lo_u32 v44, v6, s20
	v_and_b32_e32 v6, 0x8000000, v44
	v_lshrrev_b32_e32 v52, 8, v44
	v_lshrrev_b16_e32 v54, 1, v52
	v_cmp_ne_u16_sdwa s[16:17], v6, v13 src0_sel:BYTE_3 src1_sel:DWORD
	v_lshlrev_b16_sdwa v51, v32, v53 dst_sel:DWORD dst_unused:UNUSED_PAD src0_sel:DWORD src1_sel:WORD_1
	v_bfe_i32 v54, v54, 0, 1
	v_lshrrev_b32_e32 v55, 18, v44
	v_cndmask_b32_e64 v6, 0, -1, s[16:17]
	v_ashrrev_i16_e32 v51, 15, v51
	v_bfe_i32 v55, v55, 0, 1
	v_lshlrev_b16_e32 v6, 8, v6
	v_lshlrev_b16_e32 v54, 8, v54
	v_or_b32_sdwa v56, v55, v6 dst_sel:WORD_1 dst_unused:UNUSED_PAD src0_sel:BYTE_0 src1_sel:DWORD
	v_or_b32_sdwa v57, v51, v54 dst_sel:DWORD dst_unused:UNUSED_PAD src0_sel:BYTE_0 src1_sel:DWORD
	v_or_b32_sdwa v56, v57, v56 dst_sel:DWORD dst_unused:UNUSED_PAD src0_sel:WORD_0 src1_sel:DWORD
	v_lshlrev_b16_e32 v51, 8, v51
	v_lshrrev_b16_e32 v52, 5, v52
	v_bfe_i32 v52, v52, 0, 1
	v_lshlrev_b16_e32 v52, 8, v52
	s_waitcnt vmcnt(0)
	v_xor_b32_e32 v4, v4, v56
	v_and_b32_e32 v56, 0xffffff00, v4
	v_sub_i16 v54, v56, v54 clamp
	v_lshlrev_b16_e32 v56, 8, v4
	v_and_b32_e32 v54, 0xffffff00, v54
	v_sub_i16 v51, v56, v51 clamp
	v_or_b32_sdwa v51, v51, v54 dst_sel:DWORD dst_unused:UNUSED_PAD src0_sel:BYTE_1 src1_sel:DWORD
	v_and_b32_sdwa v54, v4, s21 dst_sel:DWORD dst_unused:UNUSED_PAD src0_sel:WORD_1 src1_sel:DWORD
	v_sub_i16 v6, v54, v6 clamp
	v_lshlrev_b16_sdwa v4, v31, v4 dst_sel:DWORD dst_unused:UNUSED_PAD src0_sel:DWORD src1_sel:WORD_1
	v_lshlrev_b16_e32 v54, 8, v55
	v_and_b32_e32 v6, 0xffffff00, v6
	v_sub_i16 v4, v4, v54 clamp
	v_or_b32_sdwa v4, v4, v6 dst_sel:WORD_1 dst_unused:UNUSED_PAD src0_sel:BYTE_1 src1_sel:DWORD
	s_nop 0
	v_or_b32_sdwa v6, v51, v4 dst_sel:DWORD dst_unused:UNUSED_PAD src0_sel:WORD_0 src1_sel:DWORD
	v_and_b32_e32 v4, 0x80000000, v44
	v_cmp_ne_u16_sdwa s[16:17], v4, v13 src0_sel:BYTE_3 src1_sel:DWORD
	v_lshrrev_b32_e32 v44, 22, v44
	v_bfe_i32 v51, v53, 29, 1
	v_cndmask_b32_e64 v4, 0, -1, s[16:17]
	v_bfe_i32 v44, v44, 0, 1
	v_lshlrev_b16_e32 v4, 8, v4
	v_or_b32_sdwa v53, v44, v4 dst_sel:WORD_1 dst_unused:UNUSED_PAD src0_sel:BYTE_0 src1_sel:DWORD
	v_or_b32_sdwa v54, v51, v52 dst_sel:DWORD dst_unused:UNUSED_PAD src0_sel:BYTE_0 src1_sel:DWORD
	v_or_b32_sdwa v53, v54, v53 dst_sel:DWORD dst_unused:UNUSED_PAD src0_sel:WORD_0 src1_sel:DWORD
	v_xor_b32_e32 v5, v5, v53
	v_and_b32_e32 v53, 0xffffff00, v5
	v_sub_i16 v52, v53, v52 clamp
	v_lshlrev_b16_e32 v53, 8, v5
	v_lshlrev_b16_e32 v51, 8, v51
	v_and_b32_e32 v52, 0xffffff00, v52
	v_sub_i16 v51, v53, v51 clamp
	v_or_b32_sdwa v51, v51, v52 dst_sel:DWORD dst_unused:UNUSED_PAD src0_sel:BYTE_1 src1_sel:DWORD
	v_and_b32_sdwa v52, v5, s21 dst_sel:DWORD dst_unused:UNUSED_PAD src0_sel:WORD_1 src1_sel:DWORD
	v_sub_i16 v4, v52, v4 clamp
	v_lshlrev_b16_sdwa v5, v31, v5 dst_sel:DWORD dst_unused:UNUSED_PAD src0_sel:DWORD src1_sel:WORD_1
	v_lshlrev_b16_e32 v44, 8, v44
	v_and_b32_e32 v4, 0xffffff00, v4
	v_sub_i16 v5, v5, v44 clamp
	v_or_b32_sdwa v4, v5, v4 dst_sel:WORD_1 dst_unused:UNUSED_PAD src0_sel:BYTE_1 src1_sel:DWORD
	v_dot4c_i32_i8_e32 v49, v6, v7
	v_or_b32_sdwa v44, v51, v4 dst_sel:DWORD dst_unused:UNUSED_PAD src0_sel:WORD_0 src1_sel:DWORD
	v_dot4c_i32_i8_e32 v49, v44, v50
	global_load_ushort v4, v[22:23], off
	global_load_ubyte v5, v[20:21], off offset:66
	global_load_ubyte v50, v[24:25], off offset:66
	s_waitcnt vmcnt(1)
	v_and_b32_e32 v22, 15, v5
	v_lshrrev_b32_e32 v20, 4, v5
	v_mul_lo_u32 v5, v45, v22
	v_add_u32_e32 v45, v47, v45
	v_mul_lo_u32 v24, v47, v20
	v_lshrrev_b32_e32 v47, 31, v45
	s_waitcnt vmcnt(0)
	v_and_b32_e32 v21, 15, v50
	v_add_u32_e32 v45, v45, v47
	v_mul_lo_u32 v23, v48, v21
	v_add_u32_e32 v48, v49, v48
	v_ashrrev_i32_e32 v45, 1, v45
	v_lshrrev_b32_e32 v47, 31, v48
	v_add3_u32 v5, v24, v5, v45
	v_lshrrev_b32_e32 v7, 4, v50
	v_add_u32_e32 v47, v48, v47
	v_ashrrev_i32_e32 v24, 31, v5
	v_mul_lo_u32 v25, v49, v7
	v_ashrrev_i32_e32 v47, 1, v47
	v_lshrrev_b32_e32 v24, 30, v24
	v_add3_u32 v23, v25, v23, v47
	v_add_u32_e32 v5, v5, v24
	v_ashrrev_i32_e32 v45, 2, v5
	v_ashrrev_i32_e32 v5, 31, v23
	v_lshrrev_b32_e32 v5, 30, v5
	v_add_u32_e32 v5, v23, v5
	v_ashrrev_i32_e32 v23, 2, v5
	v_cvt_f32_f16_e32 v5, v4
	v_cvt_f32_f16_e32 v4, v46
	v_cvt_f32_i32_e32 v47, v23
	v_cvt_f32_i32_e32 v46, v45
	v_pk_mul_f32 v[24:25], v[8:9], v[4:5] op_sel_hi:[0,1]
	v_pk_fma_f32 v[0:1], v[24:25], v[46:47], v[0:1]
	v_mad_u64_u32 v[24:25], s[16:17], v30, 36, s[24:25]
	v_mad_u64_u32 v[24:25], s[16:17], v12, 36, v[24:25]
	global_load_dword v23, v[24:25], off offset:32
	global_load_dwordx4 v[46:49], v[24:25], off offset:16
	global_load_dwordx4 v[50:53], v[24:25], off
	v_mov_b32_e32 v24, 0
	v_mov_b32_e32 v25, 0
	v_add_u32_e32 v30, 0x80, v30
	s_waitcnt vmcnt(1)
	v_dot4c_i32_i8_e32 v25, v37, v47
	s_waitcnt vmcnt(0)
	v_dot4c_i32_i8_e32 v24, v33, v51
	v_mov_b32_e32 v33, 0
	v_dot4c_i32_i8_e32 v33, v41, v51
	v_dot4c_i32_i8_e32 v33, v42, v52
	;; [unrolled: 1-line block ×3, first 2 shown]
	v_mov_b32_e32 v9, 0
	v_dot4c_i32_i8_e32 v24, v34, v52
	v_dot4c_i32_i8_e32 v25, v38, v48
	v_dot4c_i32_i8_e32 v9, v11, v47
	v_dot4c_i32_i8_e32 v24, v35, v53
	v_dot4c_i32_i8_e32 v25, v39, v49
	v_dot4c_i32_i8_e32 v9, v43, v48
	v_dot4c_i32_i8_e32 v24, v36, v46
	v_dot4c_i32_i8_e32 v25, v40, v23
	v_dot4c_i32_i8_e32 v9, v6, v49
	v_dot4c_i32_i8_e32 v33, v10, v46
	v_dot4c_i32_i8_e32 v9, v44, v23
	v_mul_lo_u32 v11, v25, v20
	v_add_u32_e32 v20, v25, v24
	v_mul_lo_u32 v10, v33, v21
	v_mul_lo_u32 v7, v9, v7
	v_add_u32_e32 v9, v9, v33
	v_lshrrev_b32_e32 v21, 31, v20
	v_add_u32_e32 v20, v20, v21
	v_lshrrev_b32_e32 v21, 31, v9
	v_mul_lo_u32 v6, v24, v22
	v_ashrrev_i32_e32 v20, 1, v20
	v_add_u32_e32 v9, v9, v21
	v_ashrrev_i32_e32 v9, 1, v9
	v_add3_u32 v6, v11, v6, v20
	v_add3_u32 v7, v7, v10, v9
	v_ashrrev_i32_e32 v9, 31, v6
	v_lshrrev_b32_e32 v9, 30, v9
	v_add_u32_e32 v6, v6, v9
	v_ashrrev_i32_e32 v9, 31, v7
	v_lshrrev_b32_e32 v9, 30, v9
	v_add_u32_e32 v7, v7, v9
	v_cvt_f32_f16_e32 v8, v50
	v_ashrrev_i32_e32 v6, 2, v6
	v_ashrrev_i32_e32 v7, 2, v7
	v_cvt_f32_i32_e32 v7, v7
	v_cvt_f32_i32_e32 v6, v6
	v_pk_mul_f32 v[4:5], v[8:9], v[4:5] op_sel_hi:[0,1]
	v_pk_fma_f32 v[2:3], v[4:5], v[6:7], v[2:3]
	s_andn2_b64 exec, exec, s[8:9]
	s_cbranch_execnz .LBB173_2
; %bb.3:
	s_or_b64 exec, exec, s[8:9]
	ds_write_b128 v27, v[0:3]
.LBB173_4:
	s_or_b64 exec, exec, s[0:1]
	v_cmp_eq_u32_e32 vcc, 0, v28
	v_cmp_ne_u32_e64 s[0:1], 0, v28
	v_lshlrev_b32_e32 v4, 2, v26
	s_and_saveexec_b64 s[8:9], s[0:1]
	s_cbranch_execz .LBB173_6
; %bb.5:
	v_lshl_or_b32 v5, v28, 10, v4
	v_add_u32_e32 v5, 0xfffffc00, v5
	ds_write2st64_b32 v5, v0, v1 offset1:1
	ds_write2st64_b32 v5, v2, v3 offset0:2 offset1:3
.LBB173_6:
	s_or_b64 exec, exec, s[8:9]
	s_waitcnt lgkmcnt(0)
	s_barrier
	s_and_saveexec_b64 s[0:1], vcc
	s_cbranch_execz .LBB173_11
; %bb.7:
	v_mbcnt_lo_u32_b32 v0, -1, 0
	v_mbcnt_hi_u32_b32 v12, -1, v0
	ds_read2st64_b32 v[2:3], v4 offset1:1
	ds_read_b64 v[6:7], v27
	v_and_b32_e32 v0, 64, v12
	v_add_u32_e32 v13, 64, v0
	v_xor_b32_e32 v0, 32, v12
	v_cmp_lt_i32_e32 vcc, v0, v13
	s_waitcnt lgkmcnt(0)
	v_pk_add_f32 v[2:3], v[2:3], v[6:7]
	v_xor_b32_e32 v1, 16, v12
	v_cndmask_b32_e32 v0, v12, v0, vcc
	v_lshlrev_b32_e32 v0, 2, v0
	ds_bpermute_b32 v6, v0, v2
	ds_bpermute_b32 v7, v0, v3
	v_cmp_lt_i32_e32 vcc, v1, v13
	v_xor_b32_e32 v5, 2, v12
	s_load_dwordx2 s[0:1], s[2:3], 0x38
	v_cndmask_b32_e32 v1, v12, v1, vcc
	v_lshlrev_b32_e32 v1, 2, v1
	s_waitcnt lgkmcnt(0)
	v_pk_add_f32 v[6:7], v[2:3], v[6:7]
	ds_bpermute_b32 v8, v1, v6
	ds_bpermute_b32 v9, v1, v7
	v_xor_b32_e32 v2, 8, v12
	v_cmp_lt_i32_e32 vcc, v2, v13
	v_xor_b32_e32 v3, 4, v12
	s_mul_i32 s2, s5, s14
	v_cndmask_b32_e32 v2, v12, v2, vcc
	v_lshlrev_b32_e32 v2, 2, v2
	s_waitcnt lgkmcnt(0)
	v_pk_add_f32 v[6:7], v[6:7], v[8:9]
	ds_bpermute_b32 v8, v2, v6
	ds_bpermute_b32 v9, v2, v7
	v_cmp_lt_i32_e32 vcc, v3, v13
	s_mul_i32 s6, s6, s18
	s_add_i32 s2, s2, s4
	v_cndmask_b32_e32 v3, v12, v3, vcc
	v_lshlrev_b32_e32 v3, 2, v3
	s_waitcnt lgkmcnt(0)
	v_pk_add_f32 v[6:7], v[6:7], v[8:9]
	ds_bpermute_b32 v8, v3, v6
	ds_bpermute_b32 v9, v3, v7
	v_cmp_lt_i32_e32 vcc, v5, v13
	s_add_i32 s2, s2, s6
	s_mov_b32 s3, 0
	v_cndmask_b32_e32 v5, v12, v5, vcc
	v_lshlrev_b32_e32 v5, 2, v5
	s_waitcnt lgkmcnt(0)
	v_pk_add_f32 v[8:9], v[6:7], v[8:9]
	ds_bpermute_b32 v10, v5, v8
	ds_bpermute_b32 v11, v5, v9
	v_xor_b32_e32 v6, 1, v12
	v_cmp_lt_i32_e32 vcc, v6, v13
	s_lshl_b64 s[2:3], s[2:3], 2
	s_add_u32 s2, s0, s2
	v_cndmask_b32_e32 v6, v12, v6, vcc
	v_lshlrev_b32_e32 v6, 2, v6
	s_waitcnt lgkmcnt(0)
	v_pk_add_f32 v[8:9], v[8:9], v[10:11]
	ds_bpermute_b32 v10, v6, v8
	ds_bpermute_b32 v11, v6, v9
	v_or_b32_e32 v7, s4, v26
	s_addc_u32 s3, s1, s3
	v_cmp_gt_u32_e32 vcc, 2, v26
	v_cmp_gt_u32_e64 s[0:1], s10, v7
	s_and_b64 s[0:1], vcc, s[0:1]
	s_waitcnt lgkmcnt(0)
	v_pk_add_f32 v[8:9], v[8:9], v[10:11]
	ds_write_b64 v27, v[8:9]
	s_and_saveexec_b64 s[4:5], s[0:1]
	s_cbranch_execz .LBB173_9
; %bb.8:
	v_add_u32_e32 v7, v27, v4
	ds_read_b32 v7, v7
	s_waitcnt lgkmcnt(0)
	global_store_dword v4, v7, s[2:3]
.LBB173_9:
	s_or_b64 exec, exec, s[4:5]
	ds_read2st64_b32 v[8:9], v4 offset0:2 offset1:3
	ds_read_b64 v[10:11], v27 offset:8
	s_waitcnt lgkmcnt(0)
	v_pk_add_f32 v[8:9], v[8:9], v[10:11]
	ds_bpermute_b32 v10, v0, v8
	ds_bpermute_b32 v11, v0, v9
	s_waitcnt lgkmcnt(0)
	v_pk_add_f32 v[8:9], v[8:9], v[10:11]
	ds_bpermute_b32 v0, v1, v8
	ds_bpermute_b32 v1, v1, v9
	;; [unrolled: 4-line block ×6, first 2 shown]
	s_waitcnt lgkmcnt(0)
	v_pk_add_f32 v[0:1], v[0:1], v[2:3]
	ds_write_b64 v27, v[0:1] offset:8
	s_and_b64 exec, exec, s[0:1]
	s_cbranch_execz .LBB173_11
; %bb.10:
	v_lshl_add_u32 v0, v26, 2, v27
	ds_read_b32 v2, v0 offset:8
	v_add_u32_e32 v0, s10, v26
	v_mov_b32_e32 v1, 0
	v_lshl_add_u64 v[0:1], v[0:1], 2, s[2:3]
	s_waitcnt lgkmcnt(0)
	global_store_dword v[0:1], v2, off
.LBB173_11:
	s_endpgm
	.section	.rodata,"a",@progbits
	.p2align	6, 0x0
	.amdhsa_kernel _ZL13mul_mat_vec_qIL9ggml_type17ELi2ELb0ELb0EEvPKvS2_PKi31ggml_cuda_mm_fusion_args_devicePfj15HIP_vector_typeIjLj3EEjjjS8_jjjS8_jjjj
		.amdhsa_group_segment_fixed_size 3072
		.amdhsa_private_segment_fixed_size 0
		.amdhsa_kernarg_size 144
		.amdhsa_user_sgpr_count 4
		.amdhsa_user_sgpr_dispatch_ptr 1
		.amdhsa_user_sgpr_queue_ptr 0
		.amdhsa_user_sgpr_kernarg_segment_ptr 1
		.amdhsa_user_sgpr_dispatch_id 0
		.amdhsa_user_sgpr_kernarg_preload_length 0
		.amdhsa_user_sgpr_kernarg_preload_offset 0
		.amdhsa_user_sgpr_private_segment_size 0
		.amdhsa_uses_dynamic_stack 0
		.amdhsa_enable_private_segment 0
		.amdhsa_system_sgpr_workgroup_id_x 1
		.amdhsa_system_sgpr_workgroup_id_y 1
		.amdhsa_system_sgpr_workgroup_id_z 1
		.amdhsa_system_sgpr_workgroup_info 0
		.amdhsa_system_vgpr_workitem_id 2
		.amdhsa_next_free_vgpr 58
		.amdhsa_next_free_sgpr 30
		.amdhsa_accum_offset 60
		.amdhsa_reserve_vcc 1
		.amdhsa_float_round_mode_32 0
		.amdhsa_float_round_mode_16_64 0
		.amdhsa_float_denorm_mode_32 3
		.amdhsa_float_denorm_mode_16_64 3
		.amdhsa_dx10_clamp 1
		.amdhsa_ieee_mode 1
		.amdhsa_fp16_overflow 0
		.amdhsa_tg_split 0
		.amdhsa_exception_fp_ieee_invalid_op 0
		.amdhsa_exception_fp_denorm_src 0
		.amdhsa_exception_fp_ieee_div_zero 0
		.amdhsa_exception_fp_ieee_overflow 0
		.amdhsa_exception_fp_ieee_underflow 0
		.amdhsa_exception_fp_ieee_inexact 0
		.amdhsa_exception_int_div_zero 0
	.end_amdhsa_kernel
	.section	.text._ZL13mul_mat_vec_qIL9ggml_type17ELi2ELb0ELb0EEvPKvS2_PKi31ggml_cuda_mm_fusion_args_devicePfj15HIP_vector_typeIjLj3EEjjjS8_jjjS8_jjjj,"axG",@progbits,_ZL13mul_mat_vec_qIL9ggml_type17ELi2ELb0ELb0EEvPKvS2_PKi31ggml_cuda_mm_fusion_args_devicePfj15HIP_vector_typeIjLj3EEjjjS8_jjjS8_jjjj,comdat
.Lfunc_end173:
	.size	_ZL13mul_mat_vec_qIL9ggml_type17ELi2ELb0ELb0EEvPKvS2_PKi31ggml_cuda_mm_fusion_args_devicePfj15HIP_vector_typeIjLj3EEjjjS8_jjjS8_jjjj, .Lfunc_end173-_ZL13mul_mat_vec_qIL9ggml_type17ELi2ELb0ELb0EEvPKvS2_PKi31ggml_cuda_mm_fusion_args_devicePfj15HIP_vector_typeIjLj3EEjjjS8_jjjS8_jjjj
                                        ; -- End function
	.section	.AMDGPU.csdata,"",@progbits
; Kernel info:
; codeLenInByte = 5612
; NumSgprs: 36
; NumVgprs: 58
; NumAgprs: 0
; TotalNumVgprs: 58
; ScratchSize: 0
; MemoryBound: 0
; FloatMode: 240
; IeeeMode: 1
; LDSByteSize: 3072 bytes/workgroup (compile time only)
; SGPRBlocks: 4
; VGPRBlocks: 7
; NumSGPRsForWavesPerEU: 36
; NumVGPRsForWavesPerEU: 58
; AccumOffset: 60
; Occupancy: 8
; WaveLimiterHint : 0
; COMPUTE_PGM_RSRC2:SCRATCH_EN: 0
; COMPUTE_PGM_RSRC2:USER_SGPR: 4
; COMPUTE_PGM_RSRC2:TRAP_HANDLER: 0
; COMPUTE_PGM_RSRC2:TGID_X_EN: 1
; COMPUTE_PGM_RSRC2:TGID_Y_EN: 1
; COMPUTE_PGM_RSRC2:TGID_Z_EN: 1
; COMPUTE_PGM_RSRC2:TIDIG_COMP_CNT: 2
; COMPUTE_PGM_RSRC3_GFX90A:ACCUM_OFFSET: 14
; COMPUTE_PGM_RSRC3_GFX90A:TG_SPLIT: 0
	.section	.text._ZL13mul_mat_vec_qIL9ggml_type17ELi3ELb0ELb0EEvPKvS2_PKi31ggml_cuda_mm_fusion_args_devicePfj15HIP_vector_typeIjLj3EEjjjS8_jjjS8_jjjj,"axG",@progbits,_ZL13mul_mat_vec_qIL9ggml_type17ELi3ELb0ELb0EEvPKvS2_PKi31ggml_cuda_mm_fusion_args_devicePfj15HIP_vector_typeIjLj3EEjjjS8_jjjS8_jjjj,comdat
	.globl	_ZL13mul_mat_vec_qIL9ggml_type17ELi3ELb0ELb0EEvPKvS2_PKi31ggml_cuda_mm_fusion_args_devicePfj15HIP_vector_typeIjLj3EEjjjS8_jjjS8_jjjj ; -- Begin function _ZL13mul_mat_vec_qIL9ggml_type17ELi3ELb0ELb0EEvPKvS2_PKi31ggml_cuda_mm_fusion_args_devicePfj15HIP_vector_typeIjLj3EEjjjS8_jjjS8_jjjj
	.p2align	8
	.type	_ZL13mul_mat_vec_qIL9ggml_type17ELi3ELb0ELb0EEvPKvS2_PKi31ggml_cuda_mm_fusion_args_devicePfj15HIP_vector_typeIjLj3EEjjjS8_jjjS8_jjjj,@function
_ZL13mul_mat_vec_qIL9ggml_type17ELi3ELb0ELb0EEvPKvS2_PKi31ggml_cuda_mm_fusion_args_devicePfj15HIP_vector_typeIjLj3EEjjjS8_jjjS8_jjjj: ; @_ZL13mul_mat_vec_qIL9ggml_type17ELi3ELb0ELb0EEvPKvS2_PKi31ggml_cuda_mm_fusion_args_devicePfj15HIP_vector_typeIjLj3EEjjjS8_jjjS8_jjjj
; %bb.0:
	v_bfe_u32 v31, v0, 10, 10
	v_and_b32_e32 v30, 0x3ff, v0
	v_lshl_add_u32 v4, v31, 6, v30
	s_load_dword s6, s[0:1], 0x40
	s_load_dwordx4 s[8:11], s[0:1], 0x50
	s_load_dword s27, s[0:1], 0x60
	s_load_dwordx4 s[12:15], s[0:1], 0x68
	;; [unrolled: 2-line block ×3, first 2 shown]
	s_lshl_b32 s5, s2, 1
	s_waitcnt lgkmcnt(0)
	s_lshr_b32 s2, s6, 8
	v_mov_b32_e32 v0, 0
	v_lshrrev_b32_e32 v32, 3, v4
	v_mov_b32_e32 v1, v0
	v_mov_b32_e32 v2, v0
	;; [unrolled: 1-line block ×3, first 2 shown]
	v_cmp_gt_u32_e32 vcc, s2, v32
	v_mov_b32_e32 v13, v0
	v_mov_b32_e32 v12, v0
	scratch_store_dwordx2 off, v[0:1], off offset:16
	scratch_store_dwordx4 off, v[0:3], off
	s_and_saveexec_b64 s[6:7], vcc
	s_cbranch_execz .LBB174_4
; %bb.1:
	s_load_dwordx4 s[20:23], s[0:1], 0x0
	s_mul_i32 s17, s4, s17
	s_mul_i32 s24, s17, 36
	s_mul_i32 s13, s3, s13
	s_mul_hi_u32 s19, s17, 36
	s_waitcnt lgkmcnt(0)
	s_add_u32 s24, s22, s24
	s_addc_u32 s19, s23, s19
	s_mul_i32 s28, s13, 36
	s_mul_hi_u32 s29, s13, 36
	s_add_u32 s24, s24, s28
	s_mul_hi_u32 s11, s11, s3
	s_addc_u32 s25, s19, s29
	s_add_i32 s11, s3, s11
	s_lshr_b32 s11, s11, s27
	s_mul_i32 s11, s11, s12
	s_mul_hi_u32 s12, s15, s4
	s_add_i32 s12, s4, s12
	s_lshr_b32 s12, s12, s26
	s_mul_i32 s12, s12, s16
	s_add_i32 s15, s12, s11
	s_add_i32 s12, s5, 1
	s_mul_i32 s13, s5, s8
	s_mul_i32 s8, s8, s12
	s_add_i32 s11, s15, s13
	s_add_i32 s15, s15, s8
	v_lshlrev_b32_e32 v1, 3, v32
	s_movk_i32 s8, 0x120
	v_mov_b64_e32 v[2:3], s[28:29]
	v_add_u32_e32 v33, s9, v1
	v_lshl_add_u32 v34, s9, 1, v1
	v_mad_u64_u32 v[2:3], s[8:9], v32, s8, v[2:3]
	v_lshlrev_b32_e32 v0, 1, v30
	v_and_b32_e32 v14, 7, v30
	v_mad_u64_u32 v[2:3], s[8:9], s17, 36, v[2:3]
	v_and_b32_e32 v0, 14, v0
	v_mad_u64_u32 v[2:3], s[8:9], v14, 36, v[2:3]
	v_lshlrev_b32_e32 v0, 1, v0
	v_mov_b32_e32 v15, 0
	v_lshl_add_u64 v[2:3], v[2:3], 0, s[22:23]
	v_lshl_add_u64 v[16:17], v[2:3], 0, 32
	s_mov_b64 s[8:9], 0
	s_movk_i32 s19, 0x4a
	v_mov_b64_e32 v[18:19], s[20:21]
	v_lshlrev_b32_e32 v20, 1, v0
	v_mov_b32_e32 v21, v15
	s_mov_b32 s20, 0x1010101
	s_movk_i32 s21, 0xff00
	s_mov_b64 s[12:13], 0x1200
	v_mov_b32_e32 v35, 8
	v_mov_b32_e32 v36, 6
	;; [unrolled: 1-line block ×8, first 2 shown]
.LBB174_2:                              ; =>This Inner Loop Header: Depth=1
	v_add_u32_e32 v22, s11, v32
	v_mad_i64_i32 v[24:25], s[16:17], v22, s19, v[18:19]
	v_lshl_add_u64 v[22:23], v[24:25], 0, v[20:21]
	global_load_dword v50, v[16:17], off
	global_load_dwordx4 v[4:7], v[16:17], off offset:-16
	global_load_dwordx4 v[8:11], v[16:17], off offset:-32
	global_load_dwordx2 v[26:27], v[22:23], off offset:2
	s_getpc_b64 s[16:17]
	s_add_u32 s16, s16, _ZL10iq2xs_grid@rel32@lo+4
	s_addc_u32 s17, s17, _ZL10iq2xs_grid@rel32@hi+12
	v_lshl_add_u64 v[22:23], v[24:25], 0, v[14:15]
	v_mov_b32_e32 v47, 0
	v_lshl_add_u64 v[16:17], v[16:17], 0, s[12:13]
	s_waitcnt vmcnt(1)
	v_cvt_f32_f16_e32 v8, v8
	s_waitcnt vmcnt(0)
	v_and_b32_e32 v28, 0x1ff, v26
	v_lshlrev_b32_e32 v28, 3, v28
	global_load_dwordx2 v[28:29], v28, s[16:17]
	v_lshrrev_b16_e32 v38, 9, v26
	v_bcnt_u32_b32 v37, v38, 0
	v_and_b32_e32 v37, 1, v37
	v_lshl_or_b32 v37, v37, 7, v38
	v_mul_lo_u32 v39, v37, s20
	v_and_b32_e32 v37, 0x8000000, v39
	v_lshrrev_b32_e32 v41, 8, v39
	v_lshrrev_b16_e32 v42, 1, v41
	v_cmp_ne_u16_sdwa s[22:23], v37, v15 src0_sel:BYTE_3 src1_sel:DWORD
	v_lshlrev_b16_e32 v40, 6, v26
	v_bfe_i32 v42, v42, 0, 1
	v_lshrrev_b32_e32 v43, 18, v39
	v_cndmask_b32_e64 v37, 0, -1, s[22:23]
	v_ashrrev_i16_e32 v40, 15, v40
	v_bfe_i32 v43, v43, 0, 1
	v_lshlrev_b16_e32 v37, 8, v37
	v_lshlrev_b16_e32 v42, 8, v42
	v_or_b32_sdwa v44, v43, v37 dst_sel:WORD_1 dst_unused:UNUSED_PAD src0_sel:BYTE_0 src1_sel:DWORD
	v_or_b32_sdwa v45, v40, v42 dst_sel:DWORD dst_unused:UNUSED_PAD src0_sel:BYTE_0 src1_sel:DWORD
	v_or_b32_sdwa v44, v45, v44 dst_sel:DWORD dst_unused:UNUSED_PAD src0_sel:WORD_0 src1_sel:DWORD
	v_lshlrev_b16_e32 v40, 8, v40
	v_bfe_i32 v38, v38, 4, 1
	s_waitcnt vmcnt(0)
	v_xor_b32_e32 v28, v28, v44
	v_and_b32_e32 v44, 0xffffff00, v28
	v_sub_i16 v42, v44, v42 clamp
	v_lshlrev_b16_e32 v44, 8, v28
	v_and_b32_e32 v42, 0xffffff00, v42
	v_sub_i16 v40, v44, v40 clamp
	v_or_b32_sdwa v40, v40, v42 dst_sel:DWORD dst_unused:UNUSED_PAD src0_sel:BYTE_1 src1_sel:DWORD
	v_and_b32_sdwa v42, v28, s21 dst_sel:DWORD dst_unused:UNUSED_PAD src0_sel:WORD_1 src1_sel:DWORD
	v_sub_i16 v37, v42, v37 clamp
	v_lshlrev_b16_sdwa v28, v35, v28 dst_sel:DWORD dst_unused:UNUSED_PAD src0_sel:DWORD src1_sel:WORD_1
	v_lshlrev_b16_e32 v42, 8, v43
	v_and_b32_e32 v37, 0xffffff00, v37
	v_sub_i16 v28, v28, v42 clamp
	v_or_b32_sdwa v28, v28, v37 dst_sel:WORD_1 dst_unused:UNUSED_PAD src0_sel:BYTE_1 src1_sel:DWORD
	s_nop 0
	v_or_b32_sdwa v37, v40, v28 dst_sel:DWORD dst_unused:UNUSED_PAD src0_sel:WORD_0 src1_sel:DWORD
	v_and_b32_e32 v28, 0x80000000, v39
	v_lshrrev_b16_e32 v40, 5, v41
	v_cmp_ne_u16_sdwa s[22:23], v28, v15 src0_sel:BYTE_3 src1_sel:DWORD
	v_bfe_i32 v40, v40, 0, 1
	v_lshrrev_b32_e32 v39, 22, v39
	v_cndmask_b32_e64 v28, 0, -1, s[22:23]
	v_bfe_i32 v39, v39, 0, 1
	v_lshlrev_b16_e32 v28, 8, v28
	v_lshlrev_b16_e32 v40, 8, v40
	v_or_b32_sdwa v41, v39, v28 dst_sel:WORD_1 dst_unused:UNUSED_PAD src0_sel:BYTE_0 src1_sel:DWORD
	v_or_b32_sdwa v42, v38, v40 dst_sel:DWORD dst_unused:UNUSED_PAD src0_sel:BYTE_0 src1_sel:DWORD
	v_or_b32_sdwa v41, v42, v41 dst_sel:DWORD dst_unused:UNUSED_PAD src0_sel:WORD_0 src1_sel:DWORD
	v_xor_b32_e32 v29, v29, v41
	v_and_b32_e32 v41, 0xffffff00, v29
	v_sub_i16 v40, v41, v40 clamp
	v_lshlrev_b16_e32 v41, 8, v29
	v_lshlrev_b16_e32 v38, 8, v38
	v_and_b32_e32 v40, 0xffffff00, v40
	v_sub_i16 v38, v41, v38 clamp
	v_or_b32_sdwa v38, v38, v40 dst_sel:DWORD dst_unused:UNUSED_PAD src0_sel:BYTE_1 src1_sel:DWORD
	v_and_b32_sdwa v40, v29, s21 dst_sel:DWORD dst_unused:UNUSED_PAD src0_sel:WORD_1 src1_sel:DWORD
	v_sub_i16 v28, v40, v28 clamp
	v_lshlrev_b16_sdwa v29, v35, v29 dst_sel:DWORD dst_unused:UNUSED_PAD src0_sel:DWORD src1_sel:WORD_1
	v_lshlrev_b16_e32 v39, 8, v39
	v_and_b32_e32 v28, 0xffffff00, v28
	v_sub_i16 v29, v29, v39 clamp
	v_or_b32_sdwa v28, v29, v28 dst_sel:WORD_1 dst_unused:UNUSED_PAD src0_sel:BYTE_1 src1_sel:DWORD
	v_lshrrev_b32_e32 v39, 25, v26
	v_or_b32_sdwa v38, v38, v28 dst_sel:DWORD dst_unused:UNUSED_PAD src0_sel:WORD_0 src1_sel:DWORD
	v_lshrrev_b32_e32 v28, 13, v26
	v_and_b32_e32 v28, 0xff8, v28
	global_load_dwordx2 v[28:29], v28, s[16:17]
	v_bcnt_u32_b32 v39, v39, 0
	v_and_b32_e32 v39, 1, v39
	v_alignbit_b32 v39, v39, v26, 25
	v_mul_lo_u32 v40, v39, s20
	v_and_b32_e32 v39, 0x8000000, v40
	v_lshrrev_b32_e32 v42, 8, v40
	v_lshrrev_b16_e32 v43, 1, v42
	v_cmp_ne_u16_sdwa s[22:23], v39, v15 src0_sel:BYTE_3 src1_sel:DWORD
	v_lshlrev_b16_sdwa v41, v36, v26 dst_sel:DWORD dst_unused:UNUSED_PAD src0_sel:DWORD src1_sel:WORD_1
	v_bfe_i32 v43, v43, 0, 1
	v_lshrrev_b32_e32 v44, 18, v40
	v_cndmask_b32_e64 v39, 0, -1, s[22:23]
	v_ashrrev_i16_e32 v41, 15, v41
	v_bfe_i32 v44, v44, 0, 1
	v_lshlrev_b16_e32 v39, 8, v39
	v_lshlrev_b16_e32 v43, 8, v43
	v_or_b32_sdwa v45, v44, v39 dst_sel:WORD_1 dst_unused:UNUSED_PAD src0_sel:BYTE_0 src1_sel:DWORD
	v_or_b32_sdwa v46, v41, v43 dst_sel:DWORD dst_unused:UNUSED_PAD src0_sel:BYTE_0 src1_sel:DWORD
	v_or_b32_sdwa v45, v46, v45 dst_sel:DWORD dst_unused:UNUSED_PAD src0_sel:WORD_0 src1_sel:DWORD
	v_lshlrev_b16_e32 v41, 8, v41
	v_bfe_i32 v26, v26, 29, 1
	v_dot4c_i32_i8_e32 v47, v37, v9
	v_dot4c_i32_i8_e32 v47, v38, v10
	s_waitcnt vmcnt(0)
	v_xor_b32_e32 v28, v28, v45
	v_and_b32_e32 v45, 0xffffff00, v28
	v_sub_i16 v43, v45, v43 clamp
	v_lshlrev_b16_e32 v45, 8, v28
	v_and_b32_e32 v43, 0xffffff00, v43
	v_sub_i16 v41, v45, v41 clamp
	v_or_b32_sdwa v41, v41, v43 dst_sel:DWORD dst_unused:UNUSED_PAD src0_sel:BYTE_1 src1_sel:DWORD
	v_and_b32_sdwa v43, v28, s21 dst_sel:DWORD dst_unused:UNUSED_PAD src0_sel:WORD_1 src1_sel:DWORD
	v_sub_i16 v39, v43, v39 clamp
	v_lshlrev_b16_sdwa v28, v35, v28 dst_sel:DWORD dst_unused:UNUSED_PAD src0_sel:DWORD src1_sel:WORD_1
	v_lshlrev_b16_e32 v43, 8, v44
	v_and_b32_e32 v39, 0xffffff00, v39
	v_sub_i16 v28, v28, v43 clamp
	v_or_b32_sdwa v28, v28, v39 dst_sel:WORD_1 dst_unused:UNUSED_PAD src0_sel:BYTE_1 src1_sel:DWORD
	s_nop 0
	v_or_b32_sdwa v39, v41, v28 dst_sel:DWORD dst_unused:UNUSED_PAD src0_sel:WORD_0 src1_sel:DWORD
	v_and_b32_e32 v28, 0x80000000, v40
	v_lshrrev_b16_e32 v41, 5, v42
	v_cmp_ne_u16_sdwa s[22:23], v28, v15 src0_sel:BYTE_3 src1_sel:DWORD
	v_bfe_i32 v41, v41, 0, 1
	v_lshrrev_b32_e32 v40, 22, v40
	v_cndmask_b32_e64 v28, 0, -1, s[22:23]
	v_bfe_i32 v40, v40, 0, 1
	v_lshlrev_b16_e32 v28, 8, v28
	v_lshlrev_b16_e32 v41, 8, v41
	v_or_b32_sdwa v42, v40, v28 dst_sel:WORD_1 dst_unused:UNUSED_PAD src0_sel:BYTE_0 src1_sel:DWORD
	v_or_b32_sdwa v43, v26, v41 dst_sel:DWORD dst_unused:UNUSED_PAD src0_sel:BYTE_0 src1_sel:DWORD
	v_or_b32_sdwa v42, v43, v42 dst_sel:DWORD dst_unused:UNUSED_PAD src0_sel:WORD_0 src1_sel:DWORD
	v_xor_b32_e32 v29, v29, v42
	v_and_b32_e32 v42, 0xffffff00, v29
	v_sub_i16 v41, v42, v41 clamp
	v_lshlrev_b16_e32 v42, 8, v29
	v_lshlrev_b16_e32 v26, 8, v26
	v_and_b32_e32 v41, 0xffffff00, v41
	v_sub_i16 v26, v42, v26 clamp
	v_or_b32_sdwa v26, v26, v41 dst_sel:DWORD dst_unused:UNUSED_PAD src0_sel:BYTE_1 src1_sel:DWORD
	v_and_b32_sdwa v41, v29, s21 dst_sel:DWORD dst_unused:UNUSED_PAD src0_sel:WORD_1 src1_sel:DWORD
	v_sub_i16 v28, v41, v28 clamp
	v_lshlrev_b16_sdwa v29, v35, v29 dst_sel:DWORD dst_unused:UNUSED_PAD src0_sel:DWORD src1_sel:WORD_1
	v_lshlrev_b16_e32 v40, 8, v40
	v_and_b32_e32 v28, 0xffffff00, v28
	v_sub_i16 v29, v29, v40 clamp
	v_or_b32_sdwa v28, v29, v28 dst_sel:WORD_1 dst_unused:UNUSED_PAD src0_sel:BYTE_1 src1_sel:DWORD
	v_lshlrev_b16_e32 v43, 6, v27
	v_or_b32_sdwa v40, v26, v28 dst_sel:DWORD dst_unused:UNUSED_PAD src0_sel:WORD_0 src1_sel:DWORD
	v_and_b32_e32 v26, 0x1ff, v27
	v_lshlrev_b32_e32 v26, 3, v26
	global_load_dwordx2 v[28:29], v26, s[16:17]
	v_lshrrev_b16_e32 v26, 9, v27
	v_bcnt_u32_b32 v41, v26, 0
	v_and_b32_e32 v41, 1, v41
	v_lshl_or_b32 v41, v41, 7, v26
	v_mul_lo_u32 v42, v41, s20
	v_and_b32_e32 v41, 0x8000000, v42
	v_lshrrev_b32_e32 v44, 8, v42
	v_lshrrev_b16_e32 v45, 1, v44
	v_cmp_ne_u16_sdwa s[22:23], v41, v15 src0_sel:BYTE_3 src1_sel:DWORD
	v_bfe_i32 v45, v45, 0, 1
	v_lshrrev_b32_e32 v46, 18, v42
	v_cndmask_b32_e64 v41, 0, -1, s[22:23]
	v_ashrrev_i16_e32 v43, 15, v43
	v_bfe_i32 v46, v46, 0, 1
	v_lshlrev_b16_e32 v41, 8, v41
	v_lshlrev_b16_e32 v45, 8, v45
	v_or_b32_sdwa v48, v46, v41 dst_sel:WORD_1 dst_unused:UNUSED_PAD src0_sel:BYTE_0 src1_sel:DWORD
	v_or_b32_sdwa v49, v43, v45 dst_sel:DWORD dst_unused:UNUSED_PAD src0_sel:BYTE_0 src1_sel:DWORD
	v_or_b32_sdwa v48, v49, v48 dst_sel:DWORD dst_unused:UNUSED_PAD src0_sel:WORD_0 src1_sel:DWORD
	v_lshlrev_b16_e32 v43, 8, v43
	v_bfe_i32 v26, v26, 4, 1
	v_dot4c_i32_i8_e32 v47, v39, v11
	v_dot4c_i32_i8_e32 v47, v40, v4
	s_waitcnt vmcnt(0)
	v_xor_b32_e32 v28, v28, v48
	v_and_b32_e32 v48, 0xffffff00, v28
	v_sub_i16 v45, v48, v45 clamp
	v_lshlrev_b16_e32 v48, 8, v28
	v_and_b32_e32 v45, 0xffffff00, v45
	v_sub_i16 v43, v48, v43 clamp
	v_or_b32_sdwa v43, v43, v45 dst_sel:DWORD dst_unused:UNUSED_PAD src0_sel:BYTE_1 src1_sel:DWORD
	v_and_b32_sdwa v45, v28, s21 dst_sel:DWORD dst_unused:UNUSED_PAD src0_sel:WORD_1 src1_sel:DWORD
	v_sub_i16 v41, v45, v41 clamp
	v_lshlrev_b16_sdwa v28, v35, v28 dst_sel:DWORD dst_unused:UNUSED_PAD src0_sel:DWORD src1_sel:WORD_1
	v_lshlrev_b16_e32 v45, 8, v46
	v_and_b32_e32 v41, 0xffffff00, v41
	v_sub_i16 v28, v28, v45 clamp
	v_or_b32_sdwa v28, v28, v41 dst_sel:WORD_1 dst_unused:UNUSED_PAD src0_sel:BYTE_1 src1_sel:DWORD
	v_mov_b32_e32 v48, 0
	v_or_b32_sdwa v41, v43, v28 dst_sel:DWORD dst_unused:UNUSED_PAD src0_sel:WORD_0 src1_sel:DWORD
	v_and_b32_e32 v28, 0x80000000, v42
	v_lshrrev_b16_e32 v43, 5, v44
	v_cmp_ne_u16_sdwa s[22:23], v28, v15 src0_sel:BYTE_3 src1_sel:DWORD
	v_bfe_i32 v43, v43, 0, 1
	v_lshrrev_b32_e32 v42, 22, v42
	v_cndmask_b32_e64 v28, 0, -1, s[22:23]
	v_bfe_i32 v42, v42, 0, 1
	v_lshlrev_b16_e32 v28, 8, v28
	v_lshlrev_b16_e32 v43, 8, v43
	v_or_b32_sdwa v44, v42, v28 dst_sel:WORD_1 dst_unused:UNUSED_PAD src0_sel:BYTE_0 src1_sel:DWORD
	v_or_b32_sdwa v45, v26, v43 dst_sel:DWORD dst_unused:UNUSED_PAD src0_sel:BYTE_0 src1_sel:DWORD
	v_or_b32_sdwa v44, v45, v44 dst_sel:DWORD dst_unused:UNUSED_PAD src0_sel:WORD_0 src1_sel:DWORD
	v_xor_b32_e32 v29, v29, v44
	v_and_b32_e32 v44, 0xffffff00, v29
	v_sub_i16 v43, v44, v43 clamp
	v_lshlrev_b16_e32 v44, 8, v29
	v_lshlrev_b16_e32 v26, 8, v26
	v_and_b32_e32 v43, 0xffffff00, v43
	v_sub_i16 v26, v44, v26 clamp
	v_or_b32_sdwa v26, v26, v43 dst_sel:DWORD dst_unused:UNUSED_PAD src0_sel:BYTE_1 src1_sel:DWORD
	v_and_b32_sdwa v43, v29, s21 dst_sel:DWORD dst_unused:UNUSED_PAD src0_sel:WORD_1 src1_sel:DWORD
	v_sub_i16 v28, v43, v28 clamp
	v_lshlrev_b16_sdwa v29, v35, v29 dst_sel:DWORD dst_unused:UNUSED_PAD src0_sel:DWORD src1_sel:WORD_1
	v_lshlrev_b16_e32 v42, 8, v42
	v_and_b32_e32 v28, 0xffffff00, v28
	v_sub_i16 v29, v29, v42 clamp
	v_or_b32_sdwa v28, v29, v28 dst_sel:WORD_1 dst_unused:UNUSED_PAD src0_sel:BYTE_1 src1_sel:DWORD
	v_lshlrev_b16_sdwa v44, v36, v27 dst_sel:DWORD dst_unused:UNUSED_PAD src0_sel:DWORD src1_sel:WORD_1
	v_or_b32_sdwa v42, v26, v28 dst_sel:DWORD dst_unused:UNUSED_PAD src0_sel:WORD_0 src1_sel:DWORD
	v_lshrrev_b32_e32 v26, 13, v27
	v_and_b32_e32 v26, 0xff8, v26
	global_load_dwordx2 v[28:29], v26, s[16:17]
	v_lshrrev_b32_e32 v26, 25, v27
	v_bcnt_u32_b32 v26, v26, 0
	v_and_b32_e32 v26, 1, v26
	v_alignbit_b32 v26, v26, v27, 25
	v_mul_lo_u32 v26, v26, s20
	v_and_b32_e32 v43, 0x8000000, v26
	v_lshrrev_b32_e32 v45, 8, v26
	v_lshrrev_b16_e32 v46, 1, v45
	v_cmp_ne_u16_sdwa s[22:23], v43, v15 src0_sel:BYTE_3 src1_sel:DWORD
	v_bfe_i32 v46, v46, 0, 1
	v_lshrrev_b32_e32 v49, 18, v26
	v_cndmask_b32_e64 v43, 0, -1, s[22:23]
	v_ashrrev_i16_e32 v44, 15, v44
	v_bfe_i32 v49, v49, 0, 1
	v_lshlrev_b16_e32 v43, 8, v43
	v_lshlrev_b16_e32 v46, 8, v46
	v_or_b32_sdwa v51, v49, v43 dst_sel:WORD_1 dst_unused:UNUSED_PAD src0_sel:BYTE_0 src1_sel:DWORD
	v_or_b32_sdwa v52, v44, v46 dst_sel:DWORD dst_unused:UNUSED_PAD src0_sel:BYTE_0 src1_sel:DWORD
	v_or_b32_sdwa v51, v52, v51 dst_sel:DWORD dst_unused:UNUSED_PAD src0_sel:WORD_0 src1_sel:DWORD
	v_lshlrev_b16_e32 v44, 8, v44
	v_bfe_i32 v27, v27, 29, 1
	v_dot4c_i32_i8_e32 v48, v41, v5
	v_dot4c_i32_i8_e32 v48, v42, v6
	s_waitcnt vmcnt(0)
	v_xor_b32_e32 v28, v28, v51
	v_and_b32_e32 v51, 0xffffff00, v28
	v_sub_i16 v46, v51, v46 clamp
	v_lshlrev_b16_e32 v51, 8, v28
	v_and_b32_e32 v46, 0xffffff00, v46
	v_sub_i16 v44, v51, v44 clamp
	v_or_b32_sdwa v44, v44, v46 dst_sel:DWORD dst_unused:UNUSED_PAD src0_sel:BYTE_1 src1_sel:DWORD
	v_and_b32_sdwa v46, v28, s21 dst_sel:DWORD dst_unused:UNUSED_PAD src0_sel:WORD_1 src1_sel:DWORD
	v_sub_i16 v43, v46, v43 clamp
	v_lshlrev_b16_sdwa v28, v35, v28 dst_sel:DWORD dst_unused:UNUSED_PAD src0_sel:DWORD src1_sel:WORD_1
	v_lshlrev_b16_e32 v46, 8, v49
	v_and_b32_e32 v43, 0xffffff00, v43
	v_sub_i16 v28, v28, v46 clamp
	v_or_b32_sdwa v28, v28, v43 dst_sel:WORD_1 dst_unused:UNUSED_PAD src0_sel:BYTE_1 src1_sel:DWORD
	global_load_ushort v49, v[24:25], off
	v_or_b32_sdwa v43, v44, v28 dst_sel:DWORD dst_unused:UNUSED_PAD src0_sel:WORD_0 src1_sel:DWORD
	v_and_b32_e32 v28, 0x80000000, v26
	v_lshrrev_b16_e32 v44, 5, v45
	v_cmp_ne_u16_sdwa s[22:23], v28, v15 src0_sel:BYTE_3 src1_sel:DWORD
	v_bfe_i32 v44, v44, 0, 1
	v_lshrrev_b32_e32 v26, 22, v26
	v_cndmask_b32_e64 v28, 0, -1, s[22:23]
	v_bfe_i32 v26, v26, 0, 1
	v_lshlrev_b16_e32 v28, 8, v28
	v_lshlrev_b16_e32 v44, 8, v44
	v_or_b32_sdwa v45, v26, v28 dst_sel:WORD_1 dst_unused:UNUSED_PAD src0_sel:BYTE_0 src1_sel:DWORD
	v_or_b32_sdwa v46, v27, v44 dst_sel:DWORD dst_unused:UNUSED_PAD src0_sel:BYTE_0 src1_sel:DWORD
	v_or_b32_sdwa v45, v46, v45 dst_sel:DWORD dst_unused:UNUSED_PAD src0_sel:WORD_0 src1_sel:DWORD
	v_xor_b32_e32 v29, v29, v45
	v_and_b32_e32 v45, 0xffffff00, v29
	v_sub_i16 v44, v45, v44 clamp
	v_lshlrev_b16_e32 v45, 8, v29
	v_lshlrev_b16_e32 v27, 8, v27
	v_and_b32_e32 v44, 0xffffff00, v44
	v_sub_i16 v27, v45, v27 clamp
	v_or_b32_sdwa v27, v27, v44 dst_sel:DWORD dst_unused:UNUSED_PAD src0_sel:BYTE_1 src1_sel:DWORD
	v_and_b32_sdwa v44, v29, s21 dst_sel:DWORD dst_unused:UNUSED_PAD src0_sel:WORD_1 src1_sel:DWORD
	v_sub_i16 v28, v44, v28 clamp
	v_lshlrev_b16_sdwa v29, v35, v29 dst_sel:DWORD dst_unused:UNUSED_PAD src0_sel:DWORD src1_sel:WORD_1
	v_lshlrev_b16_e32 v26, 8, v26
	v_and_b32_e32 v28, 0xffffff00, v28
	v_sub_i16 v26, v29, v26 clamp
	v_add_u32_e32 v24, s15, v32
	v_or_b32_sdwa v26, v26, v28 dst_sel:WORD_1 dst_unused:UNUSED_PAD src0_sel:BYTE_1 src1_sel:DWORD
	v_mad_i64_i32 v[24:25], s[22:23], v24, s19, v[18:19]
	v_or_b32_sdwa v44, v27, v26 dst_sel:DWORD dst_unused:UNUSED_PAD src0_sel:WORD_0 src1_sel:DWORD
	v_lshl_add_u64 v[26:27], v[24:25], 0, v[20:21]
	global_load_dwordx2 v[28:29], v[26:27], off offset:2
	v_dot4c_i32_i8_e32 v48, v43, v7
	v_dot4c_i32_i8_e32 v48, v44, v50
	v_lshl_add_u64 v[26:27], v[24:25], 0, v[14:15]
	v_add_u32_e32 v32, 16, v32
	v_cmp_le_u32_e32 vcc, s2, v32
	s_or_b64 s[8:9], vcc, s[8:9]
	s_waitcnt vmcnt(0)
	v_and_b32_e32 v45, 0x1ff, v28
	v_lshlrev_b32_e32 v45, 3, v45
	global_load_dwordx2 v[52:53], v45, s[16:17]
	v_lshrrev_b16_e32 v46, 9, v28
	v_bcnt_u32_b32 v45, v46, 0
	v_and_b32_e32 v45, 1, v45
	v_lshl_or_b32 v45, v45, 7, v46
	v_mul_lo_u32 v51, v45, s20
	v_and_b32_e32 v45, 0x8000000, v51
	v_lshrrev_b32_e32 v55, 8, v51
	v_lshrrev_b16_e32 v56, 1, v55
	v_cmp_ne_u16_sdwa s[22:23], v45, v15 src0_sel:BYTE_3 src1_sel:DWORD
	v_lshlrev_b16_e32 v54, 6, v28
	v_bfe_i32 v56, v56, 0, 1
	v_lshrrev_b32_e32 v57, 18, v51
	v_cndmask_b32_e64 v45, 0, -1, s[22:23]
	v_ashrrev_i16_e32 v54, 15, v54
	v_bfe_i32 v57, v57, 0, 1
	v_lshlrev_b16_e32 v45, 8, v45
	v_lshlrev_b16_e32 v56, 8, v56
	v_or_b32_sdwa v58, v57, v45 dst_sel:WORD_1 dst_unused:UNUSED_PAD src0_sel:BYTE_0 src1_sel:DWORD
	v_or_b32_sdwa v59, v54, v56 dst_sel:DWORD dst_unused:UNUSED_PAD src0_sel:BYTE_0 src1_sel:DWORD
	v_or_b32_sdwa v58, v59, v58 dst_sel:DWORD dst_unused:UNUSED_PAD src0_sel:WORD_0 src1_sel:DWORD
	v_lshlrev_b16_e32 v54, 8, v54
	v_bfe_i32 v46, v46, 4, 1
	s_waitcnt vmcnt(0)
	v_xor_b32_e32 v52, v52, v58
	v_and_b32_e32 v58, 0xffffff00, v52
	v_sub_i16 v56, v58, v56 clamp
	v_lshlrev_b16_e32 v58, 8, v52
	v_and_b32_e32 v56, 0xffffff00, v56
	v_sub_i16 v54, v58, v54 clamp
	v_or_b32_sdwa v54, v54, v56 dst_sel:DWORD dst_unused:UNUSED_PAD src0_sel:BYTE_1 src1_sel:DWORD
	v_and_b32_sdwa v56, v52, s21 dst_sel:DWORD dst_unused:UNUSED_PAD src0_sel:WORD_1 src1_sel:DWORD
	v_sub_i16 v45, v56, v45 clamp
	v_lshlrev_b16_sdwa v52, v35, v52 dst_sel:DWORD dst_unused:UNUSED_PAD src0_sel:DWORD src1_sel:WORD_1
	v_lshlrev_b16_e32 v56, 8, v57
	v_and_b32_e32 v45, 0xffffff00, v45
	v_sub_i16 v52, v52, v56 clamp
	v_or_b32_sdwa v45, v52, v45 dst_sel:WORD_1 dst_unused:UNUSED_PAD src0_sel:BYTE_1 src1_sel:DWORD
	v_and_b32_e32 v52, 0x80000000, v51
	v_or_b32_sdwa v45, v54, v45 dst_sel:DWORD dst_unused:UNUSED_PAD src0_sel:WORD_0 src1_sel:DWORD
	v_lshrrev_b16_e32 v54, 5, v55
	v_cmp_ne_u16_sdwa s[22:23], v52, v15 src0_sel:BYTE_3 src1_sel:DWORD
	v_bfe_i32 v54, v54, 0, 1
	v_lshrrev_b32_e32 v51, 22, v51
	v_cndmask_b32_e64 v52, 0, -1, s[22:23]
	v_bfe_i32 v51, v51, 0, 1
	v_lshlrev_b16_e32 v52, 8, v52
	v_lshlrev_b16_e32 v54, 8, v54
	v_or_b32_sdwa v55, v51, v52 dst_sel:WORD_1 dst_unused:UNUSED_PAD src0_sel:BYTE_0 src1_sel:DWORD
	v_or_b32_sdwa v56, v46, v54 dst_sel:DWORD dst_unused:UNUSED_PAD src0_sel:BYTE_0 src1_sel:DWORD
	v_or_b32_sdwa v55, v56, v55 dst_sel:DWORD dst_unused:UNUSED_PAD src0_sel:WORD_0 src1_sel:DWORD
	v_xor_b32_e32 v53, v53, v55
	v_and_b32_e32 v55, 0xffffff00, v53
	v_sub_i16 v54, v55, v54 clamp
	v_lshlrev_b16_e32 v55, 8, v53
	v_lshlrev_b16_e32 v46, 8, v46
	v_and_b32_e32 v54, 0xffffff00, v54
	v_sub_i16 v46, v55, v46 clamp
	v_or_b32_sdwa v46, v46, v54 dst_sel:DWORD dst_unused:UNUSED_PAD src0_sel:BYTE_1 src1_sel:DWORD
	v_and_b32_sdwa v54, v53, s21 dst_sel:DWORD dst_unused:UNUSED_PAD src0_sel:WORD_1 src1_sel:DWORD
	v_sub_i16 v52, v54, v52 clamp
	v_lshlrev_b16_sdwa v53, v35, v53 dst_sel:DWORD dst_unused:UNUSED_PAD src0_sel:DWORD src1_sel:WORD_1
	v_lshlrev_b16_e32 v51, 8, v51
	v_and_b32_e32 v52, 0xffffff00, v52
	v_sub_i16 v51, v53, v51 clamp
	v_or_b32_sdwa v51, v51, v52 dst_sel:WORD_1 dst_unused:UNUSED_PAD src0_sel:BYTE_1 src1_sel:DWORD
	v_lshlrev_b16_sdwa v54, v36, v28 dst_sel:DWORD dst_unused:UNUSED_PAD src0_sel:DWORD src1_sel:WORD_1
	v_or_b32_sdwa v46, v46, v51 dst_sel:DWORD dst_unused:UNUSED_PAD src0_sel:WORD_0 src1_sel:DWORD
	v_mov_b32_e32 v51, 0
	v_dot4c_i32_i8_e32 v51, v45, v9
	v_lshrrev_b32_e32 v9, 13, v28
	v_and_b32_e32 v9, 0xff8, v9
	global_load_dwordx2 v[52:53], v9, s[16:17]
	v_lshrrev_b32_e32 v9, 25, v28
	v_bcnt_u32_b32 v9, v9, 0
	v_and_b32_e32 v9, 1, v9
	v_alignbit_b32 v9, v9, v28, 25
	v_mul_lo_u32 v9, v9, s20
	v_dot4c_i32_i8_e32 v51, v46, v10
	v_and_b32_e32 v10, 0x8000000, v9
	v_lshrrev_b32_e32 v55, 8, v9
	v_lshrrev_b16_e32 v56, 1, v55
	v_cmp_ne_u16_sdwa s[22:23], v10, v15 src0_sel:BYTE_3 src1_sel:DWORD
	v_bfe_i32 v56, v56, 0, 1
	v_lshrrev_b32_e32 v57, 18, v9
	v_cndmask_b32_e64 v10, 0, -1, s[22:23]
	v_ashrrev_i16_e32 v54, 15, v54
	v_bfe_i32 v57, v57, 0, 1
	v_lshlrev_b16_e32 v10, 8, v10
	v_lshlrev_b16_e32 v56, 8, v56
	v_or_b32_sdwa v58, v57, v10 dst_sel:WORD_1 dst_unused:UNUSED_PAD src0_sel:BYTE_0 src1_sel:DWORD
	v_or_b32_sdwa v59, v54, v56 dst_sel:DWORD dst_unused:UNUSED_PAD src0_sel:BYTE_0 src1_sel:DWORD
	v_or_b32_sdwa v58, v59, v58 dst_sel:DWORD dst_unused:UNUSED_PAD src0_sel:WORD_0 src1_sel:DWORD
	v_lshlrev_b16_e32 v54, 8, v54
	v_bfe_i32 v28, v28, 29, 1
	s_waitcnt vmcnt(0)
	v_xor_b32_e32 v52, v52, v58
	v_and_b32_e32 v58, 0xffffff00, v52
	v_sub_i16 v56, v58, v56 clamp
	v_lshlrev_b16_e32 v58, 8, v52
	v_and_b32_e32 v56, 0xffffff00, v56
	v_sub_i16 v54, v58, v54 clamp
	v_or_b32_sdwa v54, v54, v56 dst_sel:DWORD dst_unused:UNUSED_PAD src0_sel:BYTE_1 src1_sel:DWORD
	v_and_b32_sdwa v56, v52, s21 dst_sel:DWORD dst_unused:UNUSED_PAD src0_sel:WORD_1 src1_sel:DWORD
	v_sub_i16 v10, v56, v10 clamp
	v_lshlrev_b16_sdwa v52, v35, v52 dst_sel:DWORD dst_unused:UNUSED_PAD src0_sel:DWORD src1_sel:WORD_1
	v_lshlrev_b16_e32 v56, 8, v57
	v_and_b32_e32 v10, 0xffffff00, v10
	v_sub_i16 v52, v52, v56 clamp
	v_or_b32_sdwa v10, v52, v10 dst_sel:WORD_1 dst_unused:UNUSED_PAD src0_sel:BYTE_1 src1_sel:DWORD
	v_and_b32_e32 v52, 0x80000000, v9
	v_or_b32_sdwa v10, v54, v10 dst_sel:DWORD dst_unused:UNUSED_PAD src0_sel:WORD_0 src1_sel:DWORD
	v_lshrrev_b16_e32 v54, 5, v55
	v_cmp_ne_u16_sdwa s[22:23], v52, v15 src0_sel:BYTE_3 src1_sel:DWORD
	v_bfe_i32 v54, v54, 0, 1
	v_lshrrev_b32_e32 v9, 22, v9
	v_cndmask_b32_e64 v52, 0, -1, s[22:23]
	v_bfe_i32 v9, v9, 0, 1
	v_lshlrev_b16_e32 v52, 8, v52
	v_lshlrev_b16_e32 v54, 8, v54
	v_or_b32_sdwa v55, v9, v52 dst_sel:WORD_1 dst_unused:UNUSED_PAD src0_sel:BYTE_0 src1_sel:DWORD
	v_or_b32_sdwa v56, v28, v54 dst_sel:DWORD dst_unused:UNUSED_PAD src0_sel:BYTE_0 src1_sel:DWORD
	v_or_b32_sdwa v55, v56, v55 dst_sel:DWORD dst_unused:UNUSED_PAD src0_sel:WORD_0 src1_sel:DWORD
	v_xor_b32_e32 v53, v53, v55
	v_and_b32_e32 v55, 0xffffff00, v53
	v_sub_i16 v54, v55, v54 clamp
	v_lshlrev_b16_e32 v55, 8, v53
	v_lshlrev_b16_e32 v28, 8, v28
	v_and_b32_e32 v54, 0xffffff00, v54
	v_sub_i16 v28, v55, v28 clamp
	v_or_b32_sdwa v28, v28, v54 dst_sel:DWORD dst_unused:UNUSED_PAD src0_sel:BYTE_1 src1_sel:DWORD
	v_and_b32_sdwa v54, v53, s21 dst_sel:DWORD dst_unused:UNUSED_PAD src0_sel:WORD_1 src1_sel:DWORD
	v_sub_i16 v52, v54, v52 clamp
	v_lshlrev_b16_sdwa v53, v35, v53 dst_sel:DWORD dst_unused:UNUSED_PAD src0_sel:DWORD src1_sel:WORD_1
	v_lshlrev_b16_e32 v9, 8, v9
	v_and_b32_e32 v52, 0xffffff00, v52
	v_sub_i16 v9, v53, v9 clamp
	v_or_b32_sdwa v9, v9, v52 dst_sel:WORD_1 dst_unused:UNUSED_PAD src0_sel:BYTE_1 src1_sel:DWORD
	v_dot4c_i32_i8_e32 v51, v10, v11
	v_or_b32_sdwa v28, v28, v9 dst_sel:DWORD dst_unused:UNUSED_PAD src0_sel:WORD_0 src1_sel:DWORD
	v_dot4c_i32_i8_e32 v51, v28, v4
	v_and_b32_e32 v4, 0x1ff, v29
	v_lshlrev_b32_e32 v4, 3, v4
	global_load_dwordx2 v[52:53], v4, s[16:17]
	v_lshrrev_b16_e32 v4, 9, v29
	v_bcnt_u32_b32 v9, v4, 0
	v_and_b32_e32 v9, 1, v9
	v_lshl_or_b32 v9, v9, 7, v4
	v_mul_lo_u32 v11, v9, s20
	v_and_b32_e32 v9, 0x8000000, v11
	v_lshrrev_b32_e32 v55, 8, v11
	v_lshrrev_b16_e32 v56, 1, v55
	v_cmp_ne_u16_sdwa s[22:23], v9, v15 src0_sel:BYTE_3 src1_sel:DWORD
	v_lshlrev_b16_e32 v54, 6, v29
	v_bfe_i32 v56, v56, 0, 1
	v_lshrrev_b32_e32 v57, 18, v11
	v_cndmask_b32_e64 v9, 0, -1, s[22:23]
	v_ashrrev_i16_e32 v54, 15, v54
	v_bfe_i32 v57, v57, 0, 1
	v_lshlrev_b16_e32 v9, 8, v9
	v_lshlrev_b16_e32 v56, 8, v56
	v_or_b32_sdwa v58, v57, v9 dst_sel:WORD_1 dst_unused:UNUSED_PAD src0_sel:BYTE_0 src1_sel:DWORD
	v_or_b32_sdwa v59, v54, v56 dst_sel:DWORD dst_unused:UNUSED_PAD src0_sel:BYTE_0 src1_sel:DWORD
	v_or_b32_sdwa v58, v59, v58 dst_sel:DWORD dst_unused:UNUSED_PAD src0_sel:WORD_0 src1_sel:DWORD
	v_lshlrev_b16_e32 v54, 8, v54
	v_bfe_i32 v4, v4, 4, 1
	s_waitcnt vmcnt(0)
	v_xor_b32_e32 v52, v52, v58
	v_and_b32_e32 v58, 0xffffff00, v52
	v_sub_i16 v56, v58, v56 clamp
	v_lshlrev_b16_e32 v58, 8, v52
	v_and_b32_e32 v56, 0xffffff00, v56
	v_sub_i16 v54, v58, v54 clamp
	v_or_b32_sdwa v54, v54, v56 dst_sel:DWORD dst_unused:UNUSED_PAD src0_sel:BYTE_1 src1_sel:DWORD
	v_and_b32_sdwa v56, v52, s21 dst_sel:DWORD dst_unused:UNUSED_PAD src0_sel:WORD_1 src1_sel:DWORD
	v_sub_i16 v9, v56, v9 clamp
	v_lshlrev_b16_sdwa v52, v35, v52 dst_sel:DWORD dst_unused:UNUSED_PAD src0_sel:DWORD src1_sel:WORD_1
	v_lshlrev_b16_e32 v56, 8, v57
	v_and_b32_e32 v9, 0xffffff00, v9
	v_sub_i16 v52, v52, v56 clamp
	v_or_b32_sdwa v9, v52, v9 dst_sel:WORD_1 dst_unused:UNUSED_PAD src0_sel:BYTE_1 src1_sel:DWORD
	v_and_b32_e32 v52, 0x80000000, v11
	v_or_b32_sdwa v9, v54, v9 dst_sel:DWORD dst_unused:UNUSED_PAD src0_sel:WORD_0 src1_sel:DWORD
	v_lshrrev_b16_e32 v54, 5, v55
	v_cmp_ne_u16_sdwa s[22:23], v52, v15 src0_sel:BYTE_3 src1_sel:DWORD
	v_bfe_i32 v54, v54, 0, 1
	v_lshrrev_b32_e32 v11, 22, v11
	v_cndmask_b32_e64 v52, 0, -1, s[22:23]
	v_bfe_i32 v11, v11, 0, 1
	v_lshlrev_b16_e32 v52, 8, v52
	v_lshlrev_b16_e32 v54, 8, v54
	v_or_b32_sdwa v55, v11, v52 dst_sel:WORD_1 dst_unused:UNUSED_PAD src0_sel:BYTE_0 src1_sel:DWORD
	v_or_b32_sdwa v56, v4, v54 dst_sel:DWORD dst_unused:UNUSED_PAD src0_sel:BYTE_0 src1_sel:DWORD
	v_or_b32_sdwa v55, v56, v55 dst_sel:DWORD dst_unused:UNUSED_PAD src0_sel:WORD_0 src1_sel:DWORD
	v_xor_b32_e32 v53, v53, v55
	v_and_b32_e32 v55, 0xffffff00, v53
	v_sub_i16 v54, v55, v54 clamp
	v_lshlrev_b16_e32 v55, 8, v53
	v_lshlrev_b16_e32 v4, 8, v4
	v_and_b32_e32 v54, 0xffffff00, v54
	v_sub_i16 v4, v55, v4 clamp
	v_or_b32_sdwa v4, v4, v54 dst_sel:DWORD dst_unused:UNUSED_PAD src0_sel:BYTE_1 src1_sel:DWORD
	v_and_b32_sdwa v54, v53, s21 dst_sel:DWORD dst_unused:UNUSED_PAD src0_sel:WORD_1 src1_sel:DWORD
	v_sub_i16 v52, v54, v52 clamp
	v_lshlrev_b16_sdwa v53, v35, v53 dst_sel:DWORD dst_unused:UNUSED_PAD src0_sel:DWORD src1_sel:WORD_1
	v_lshlrev_b16_e32 v11, 8, v11
	v_and_b32_e32 v52, 0xffffff00, v52
	v_sub_i16 v11, v53, v11 clamp
	v_or_b32_sdwa v11, v11, v52 dst_sel:WORD_1 dst_unused:UNUSED_PAD src0_sel:BYTE_1 src1_sel:DWORD
	v_mov_b32_e32 v52, 0
	v_or_b32_sdwa v11, v4, v11 dst_sel:DWORD dst_unused:UNUSED_PAD src0_sel:WORD_0 src1_sel:DWORD
	v_lshrrev_b32_e32 v4, 13, v29
	v_and_b32_e32 v4, 0xff8, v4
	v_dot4c_i32_i8_e32 v52, v9, v5
	global_load_dwordx2 v[4:5], v4, s[16:17]
	v_dot4c_i32_i8_e32 v52, v11, v6
	v_lshrrev_b32_e32 v6, 25, v29
	v_bcnt_u32_b32 v6, v6, 0
	v_and_b32_e32 v6, 1, v6
	v_alignbit_b32 v6, v6, v29, 25
	v_mul_lo_u32 v53, v6, s20
	v_and_b32_e32 v6, 0x8000000, v53
	v_lshrrev_b32_e32 v55, 8, v53
	v_lshrrev_b16_e32 v56, 1, v55
	v_cmp_ne_u16_sdwa s[16:17], v6, v15 src0_sel:BYTE_3 src1_sel:DWORD
	v_lshlrev_b16_sdwa v54, v36, v29 dst_sel:DWORD dst_unused:UNUSED_PAD src0_sel:DWORD src1_sel:WORD_1
	v_bfe_i32 v56, v56, 0, 1
	v_lshrrev_b32_e32 v57, 18, v53
	v_cndmask_b32_e64 v6, 0, -1, s[16:17]
	v_ashrrev_i16_e32 v54, 15, v54
	v_bfe_i32 v57, v57, 0, 1
	v_lshlrev_b16_e32 v6, 8, v6
	v_lshlrev_b16_e32 v56, 8, v56
	v_or_b32_sdwa v58, v57, v6 dst_sel:WORD_1 dst_unused:UNUSED_PAD src0_sel:BYTE_0 src1_sel:DWORD
	v_or_b32_sdwa v59, v54, v56 dst_sel:DWORD dst_unused:UNUSED_PAD src0_sel:BYTE_0 src1_sel:DWORD
	v_or_b32_sdwa v58, v59, v58 dst_sel:DWORD dst_unused:UNUSED_PAD src0_sel:WORD_0 src1_sel:DWORD
	v_lshlrev_b16_e32 v54, 8, v54
	v_bfe_i32 v29, v29, 29, 1
	s_waitcnt vmcnt(0)
	v_xor_b32_e32 v4, v4, v58
	v_and_b32_e32 v58, 0xffffff00, v4
	v_sub_i16 v56, v58, v56 clamp
	v_lshlrev_b16_e32 v58, 8, v4
	v_and_b32_e32 v56, 0xffffff00, v56
	v_sub_i16 v54, v58, v54 clamp
	v_or_b32_sdwa v54, v54, v56 dst_sel:DWORD dst_unused:UNUSED_PAD src0_sel:BYTE_1 src1_sel:DWORD
	v_and_b32_sdwa v56, v4, s21 dst_sel:DWORD dst_unused:UNUSED_PAD src0_sel:WORD_1 src1_sel:DWORD
	v_sub_i16 v6, v56, v6 clamp
	v_lshlrev_b16_sdwa v4, v35, v4 dst_sel:DWORD dst_unused:UNUSED_PAD src0_sel:DWORD src1_sel:WORD_1
	v_lshlrev_b16_e32 v56, 8, v57
	v_and_b32_e32 v6, 0xffffff00, v6
	v_sub_i16 v4, v4, v56 clamp
	v_or_b32_sdwa v4, v4, v6 dst_sel:WORD_1 dst_unused:UNUSED_PAD src0_sel:BYTE_1 src1_sel:DWORD
	s_nop 0
	v_or_b32_sdwa v6, v54, v4 dst_sel:DWORD dst_unused:UNUSED_PAD src0_sel:WORD_0 src1_sel:DWORD
	v_and_b32_e32 v4, 0x80000000, v53
	v_lshrrev_b16_e32 v54, 5, v55
	v_cmp_ne_u16_sdwa s[16:17], v4, v15 src0_sel:BYTE_3 src1_sel:DWORD
	v_bfe_i32 v54, v54, 0, 1
	v_lshrrev_b32_e32 v53, 22, v53
	v_cndmask_b32_e64 v4, 0, -1, s[16:17]
	v_bfe_i32 v53, v53, 0, 1
	v_lshlrev_b16_e32 v4, 8, v4
	v_lshlrev_b16_e32 v54, 8, v54
	v_or_b32_sdwa v55, v53, v4 dst_sel:WORD_1 dst_unused:UNUSED_PAD src0_sel:BYTE_0 src1_sel:DWORD
	v_or_b32_sdwa v56, v29, v54 dst_sel:DWORD dst_unused:UNUSED_PAD src0_sel:BYTE_0 src1_sel:DWORD
	v_or_b32_sdwa v55, v56, v55 dst_sel:DWORD dst_unused:UNUSED_PAD src0_sel:WORD_0 src1_sel:DWORD
	v_xor_b32_e32 v5, v5, v55
	v_and_b32_e32 v55, 0xffffff00, v5
	v_sub_i16 v54, v55, v54 clamp
	v_lshlrev_b16_e32 v55, 8, v5
	v_lshlrev_b16_e32 v29, 8, v29
	v_and_b32_e32 v54, 0xffffff00, v54
	v_sub_i16 v29, v55, v29 clamp
	v_or_b32_sdwa v29, v29, v54 dst_sel:DWORD dst_unused:UNUSED_PAD src0_sel:BYTE_1 src1_sel:DWORD
	v_and_b32_sdwa v54, v5, s21 dst_sel:DWORD dst_unused:UNUSED_PAD src0_sel:WORD_1 src1_sel:DWORD
	v_sub_i16 v4, v54, v4 clamp
	v_lshlrev_b16_sdwa v5, v35, v5 dst_sel:DWORD dst_unused:UNUSED_PAD src0_sel:DWORD src1_sel:WORD_1
	v_lshlrev_b16_e32 v53, 8, v53
	v_and_b32_e32 v4, 0xffffff00, v4
	v_sub_i16 v5, v5, v53 clamp
	v_or_b32_sdwa v4, v5, v4 dst_sel:WORD_1 dst_unused:UNUSED_PAD src0_sel:BYTE_1 src1_sel:DWORD
	v_dot4c_i32_i8_e32 v52, v6, v7
	v_or_b32_sdwa v29, v29, v4 dst_sel:DWORD dst_unused:UNUSED_PAD src0_sel:WORD_0 src1_sel:DWORD
	v_dot4c_i32_i8_e32 v52, v29, v50
	global_load_ushort v4, v[24:25], off
	global_load_ubyte v5, v[22:23], off offset:66
	global_load_ubyte v50, v[26:27], off offset:66
	s_waitcnt vmcnt(1)
	v_and_b32_e32 v24, 15, v5
	v_lshrrev_b32_e32 v22, 4, v5
	v_mul_lo_u32 v5, v47, v24
	v_add_u32_e32 v47, v48, v47
	v_mul_lo_u32 v26, v48, v22
	v_lshrrev_b32_e32 v48, 31, v47
	v_add_u32_e32 v47, v47, v48
	s_waitcnt vmcnt(0)
	v_lshrrev_b32_e32 v7, 4, v50
	v_and_b32_e32 v23, 15, v50
	v_add_u32_e32 v50, v52, v51
	v_ashrrev_i32_e32 v47, 1, v47
	v_lshrrev_b32_e32 v48, 31, v50
	v_add3_u32 v5, v26, v5, v47
	v_add_u32_e32 v48, v50, v48
	v_ashrrev_i32_e32 v26, 31, v5
	v_mul_lo_u32 v25, v51, v23
	v_mul_lo_u32 v27, v52, v7
	v_ashrrev_i32_e32 v48, 1, v48
	v_lshrrev_b32_e32 v26, 30, v26
	v_add3_u32 v25, v27, v25, v48
	v_add_u32_e32 v5, v5, v26
	v_ashrrev_i32_e32 v47, 2, v5
	v_ashrrev_i32_e32 v5, 31, v25
	v_lshrrev_b32_e32 v5, 30, v5
	v_add_u32_e32 v5, v25, v5
	v_ashrrev_i32_e32 v25, 2, v5
	v_cvt_f32_f16_e32 v5, v4
	v_cvt_f32_f16_e32 v4, v49
	v_cvt_f32_i32_e32 v49, v25
	v_cvt_f32_i32_e32 v48, v47
	v_mov_b32_e32 v47, 0
	v_pk_mul_f32 v[26:27], v[8:9], v[4:5] op_sel_hi:[0,1]
	v_pk_fma_f32 v[0:1], v[26:27], v[48:49], v[0:1]
	v_mad_u64_u32 v[26:27], s[16:17], v33, 36, s[24:25]
	v_mad_u64_u32 v[26:27], s[16:17], v14, 36, v[26:27]
	global_load_dword v25, v[26:27], off offset:32
	global_load_dwordx4 v[48:51], v[26:27], off offset:16
	global_load_dwordx4 v[52:55], v[26:27], off
	v_mov_b32_e32 v26, 0
	v_mov_b32_e32 v27, 0
	v_add_u32_e32 v33, 0x80, v33
	s_waitcnt vmcnt(1)
	v_dot4c_i32_i8_e32 v27, v41, v49
	s_waitcnt vmcnt(0)
	v_dot4c_i32_i8_e32 v26, v37, v53
	v_dot4c_i32_i8_e32 v47, v45, v53
	;; [unrolled: 1-line block ×8, first 2 shown]
	v_mov_b32_e32 v48, 0
	v_dot4c_i32_i8_e32 v27, v42, v50
	v_dot4c_i32_i8_e32 v48, v9, v49
	;; [unrolled: 1-line block ×7, first 2 shown]
	v_mul_lo_u32 v25, v26, v24
	v_add_u32_e32 v26, v27, v26
	v_mul_lo_u32 v50, v27, v22
	v_lshrrev_b32_e32 v27, 31, v26
	v_mul_lo_u32 v49, v47, v23
	v_add_u32_e32 v47, v48, v47
	v_add_u32_e32 v26, v26, v27
	v_ashrrev_i32_e32 v26, 1, v26
	v_lshrrev_b32_e32 v27, 31, v47
	v_add_u32_e32 v27, v47, v27
	v_add3_u32 v25, v50, v25, v26
	v_mul_lo_u32 v51, v48, v7
	v_ashrrev_i32_e32 v27, 1, v27
	v_ashrrev_i32_e32 v26, 31, v25
	v_add3_u32 v27, v51, v49, v27
	v_lshrrev_b32_e32 v26, 30, v26
	v_add_u32_e32 v25, v25, v26
	v_ashrrev_i32_e32 v26, 31, v27
	v_lshrrev_b32_e32 v26, 30, v26
	v_add_u32_e32 v26, v27, v26
	v_cvt_f32_f16_e32 v8, v52
	v_ashrrev_i32_e32 v25, 2, v25
	v_ashrrev_i32_e32 v47, 2, v26
	v_cvt_f32_i32_e32 v49, v47
	v_cvt_f32_i32_e32 v48, v25
	v_pk_mul_f32 v[26:27], v[8:9], v[4:5] op_sel_hi:[0,1]
	v_pk_fma_f32 v[2:3], v[26:27], v[48:49], v[2:3]
	v_mad_u64_u32 v[26:27], s[16:17], v34, 36, s[24:25]
	v_mad_u64_u32 v[26:27], s[16:17], v14, 36, v[26:27]
	global_load_dword v25, v[26:27], off offset:32
	global_load_dwordx4 v[48:51], v[26:27], off offset:16
	global_load_dwordx4 v[52:55], v[26:27], off
	v_mov_b32_e32 v26, 0
	v_mov_b32_e32 v27, 0
	v_add_u32_e32 v34, 0x80, v34
	s_waitcnt vmcnt(1)
	v_dot4c_i32_i8_e32 v27, v41, v49
	s_waitcnt vmcnt(0)
	v_dot4c_i32_i8_e32 v26, v37, v53
	v_mov_b32_e32 v37, 0
	v_dot4c_i32_i8_e32 v37, v45, v53
	v_dot4c_i32_i8_e32 v37, v46, v54
	;; [unrolled: 1-line block ×3, first 2 shown]
	v_mov_b32_e32 v10, 0
	v_dot4c_i32_i8_e32 v26, v38, v54
	v_dot4c_i32_i8_e32 v27, v42, v50
	v_dot4c_i32_i8_e32 v10, v9, v49
	v_dot4c_i32_i8_e32 v26, v39, v55
	v_dot4c_i32_i8_e32 v27, v43, v51
	v_dot4c_i32_i8_e32 v10, v11, v50
	v_dot4c_i32_i8_e32 v26, v40, v48
	v_dot4c_i32_i8_e32 v27, v44, v25
	v_dot4c_i32_i8_e32 v10, v6, v51
	v_dot4c_i32_i8_e32 v37, v28, v48
	v_dot4c_i32_i8_e32 v10, v29, v25
	v_mul_lo_u32 v11, v27, v22
	v_add_u32_e32 v22, v27, v26
	v_mul_lo_u32 v9, v37, v23
	v_mul_lo_u32 v7, v10, v7
	v_add_u32_e32 v10, v10, v37
	v_lshrrev_b32_e32 v23, 31, v22
	v_add_u32_e32 v22, v22, v23
	v_lshrrev_b32_e32 v23, 31, v10
	v_mul_lo_u32 v6, v26, v24
	v_ashrrev_i32_e32 v22, 1, v22
	v_add_u32_e32 v10, v10, v23
	v_ashrrev_i32_e32 v10, 1, v10
	v_add3_u32 v6, v11, v6, v22
	v_add3_u32 v7, v7, v9, v10
	v_ashrrev_i32_e32 v9, 31, v6
	v_lshrrev_b32_e32 v9, 30, v9
	v_add_u32_e32 v6, v6, v9
	v_ashrrev_i32_e32 v9, 31, v7
	v_lshrrev_b32_e32 v9, 30, v9
	v_add_u32_e32 v7, v7, v9
	v_cvt_f32_f16_e32 v8, v52
	v_ashrrev_i32_e32 v6, 2, v6
	v_ashrrev_i32_e32 v7, 2, v7
	v_cvt_f32_i32_e32 v7, v7
	v_cvt_f32_i32_e32 v6, v6
	v_pk_mul_f32 v[4:5], v[8:9], v[4:5] op_sel_hi:[0,1]
	v_pk_fma_f32 v[12:13], v[4:5], v[6:7], v[12:13]
	s_andn2_b64 exec, exec, s[8:9]
	s_cbranch_execnz .LBB174_2
; %bb.3:
	s_or_b64 exec, exec, s[8:9]
	scratch_store_dwordx4 off, v[0:3], off
	scratch_store_dwordx2 off, v[12:13], off offset:16
.LBB174_4:
	s_or_b64 exec, exec, s[6:7]
	v_cmp_eq_u32_e32 vcc, 0, v31
	v_cmp_ne_u32_e64 s[6:7], 0, v31
	v_lshlrev_b32_e32 v4, 2, v30
	s_and_saveexec_b64 s[8:9], s[6:7]
	s_cbranch_execz .LBB174_6
; %bb.5:
	v_mul_u32_u24_e32 v5, 0x600, v31
	s_movk_i32 s2, 0xfa00
	v_add3_u32 v5, v5, v4, s2
	ds_write2st64_b32 v5, v0, v1 offset1:1
	ds_write2st64_b32 v5, v2, v3 offset0:2 offset1:3
	ds_write2st64_b32 v5, v12, v13 offset0:4 offset1:5
.LBB174_6:
	s_or_b64 exec, exec, s[8:9]
	s_waitcnt lgkmcnt(0)
	s_barrier
	s_and_saveexec_b64 s[6:7], vcc
	s_cbranch_execz .LBB174_13
; %bb.7:
	scratch_load_dwordx2 v[2:3], off, off
	v_mbcnt_lo_u32_b32 v0, -1, 0
	ds_read2st64_b32 v[6:7], v4 offset1:1
	v_mbcnt_hi_u32_b32 v12, -1, v0
	v_and_b32_e32 v0, 64, v12
	v_xor_b32_e32 v1, 32, v12
	v_add_u32_e32 v13, 64, v0
	v_cmp_lt_i32_e32 vcc, v1, v13
	v_xor_b32_e32 v5, 16, v12
	v_xor_b32_e32 v10, 8, v12
	v_cndmask_b32_e32 v0, v12, v1, vcc
	v_lshlrev_b32_e32 v0, 2, v0
	v_cmp_lt_i32_e32 vcc, v5, v13
	v_xor_b32_e32 v11, 4, v12
	v_xor_b32_e32 v14, 1, v12
	v_cndmask_b32_e32 v1, v12, v5, vcc
	v_lshlrev_b32_e32 v1, 2, v1
	v_cmp_lt_i32_e32 vcc, v10, v13
	v_xor_b32_e32 v5, 2, v12
	s_load_dwordx2 s[0:1], s[0:1], 0x38
	s_mul_i32 s2, s3, s14
	s_mul_i32 s4, s4, s18
	s_add_i32 s2, s2, s5
	s_mov_b32 s3, 0
	s_add_i32 s2, s2, s4
	s_lshl_b64 s[2:3], s[2:3], 2
	s_waitcnt lgkmcnt(0)
	s_add_u32 s2, s0, s2
	s_addc_u32 s3, s1, s3
	s_waitcnt vmcnt(0)
	v_pk_add_f32 v[2:3], v[6:7], v[2:3]
	ds_bpermute_b32 v6, v0, v2
	ds_bpermute_b32 v7, v0, v3
	s_waitcnt lgkmcnt(0)
	v_pk_add_f32 v[6:7], v[2:3], v[6:7]
	ds_bpermute_b32 v8, v1, v6
	ds_bpermute_b32 v9, v1, v7
	v_cndmask_b32_e32 v2, v12, v10, vcc
	v_lshlrev_b32_e32 v2, 2, v2
	v_cmp_lt_i32_e32 vcc, v11, v13
	s_waitcnt lgkmcnt(0)
	v_pk_add_f32 v[6:7], v[6:7], v[8:9]
	ds_bpermute_b32 v8, v2, v6
	ds_bpermute_b32 v9, v2, v7
	v_cndmask_b32_e32 v3, v12, v11, vcc
	v_lshlrev_b32_e32 v3, 2, v3
	v_cmp_lt_i32_e32 vcc, v5, v13
	s_waitcnt lgkmcnt(0)
	v_pk_add_f32 v[6:7], v[6:7], v[8:9]
	ds_bpermute_b32 v8, v3, v6
	ds_bpermute_b32 v9, v3, v7
	v_cndmask_b32_e32 v5, v12, v5, vcc
	v_lshlrev_b32_e32 v5, 2, v5
	v_cmp_lt_i32_e32 vcc, v14, v13
	s_waitcnt lgkmcnt(0)
	v_pk_add_f32 v[8:9], v[6:7], v[8:9]
	ds_bpermute_b32 v10, v5, v8
	ds_bpermute_b32 v11, v5, v9
	v_cndmask_b32_e32 v6, v12, v14, vcc
	v_lshlrev_b32_e32 v6, 2, v6
	v_or_b32_e32 v7, s5, v30
	v_cmp_gt_u32_e32 vcc, 2, v30
	s_waitcnt lgkmcnt(0)
	v_pk_add_f32 v[8:9], v[8:9], v[10:11]
	ds_bpermute_b32 v10, v6, v8
	ds_bpermute_b32 v11, v6, v9
	v_cmp_gt_u32_e64 s[0:1], s10, v7
	s_and_b64 s[0:1], vcc, s[0:1]
	s_waitcnt lgkmcnt(0)
	v_pk_add_f32 v[8:9], v[8:9], v[10:11]
	scratch_store_dwordx2 off, v[8:9], off
	s_and_saveexec_b64 s[4:5], s[0:1]
	s_cbranch_execz .LBB174_9
; %bb.8:
	scratch_load_dword v7, v4, off
	s_waitcnt vmcnt(0)
	global_store_dword v4, v7, s[2:3]
.LBB174_9:
	s_or_b64 exec, exec, s[4:5]
	scratch_load_dwordx2 v[8:9], off, off offset:8
	ds_read2st64_b32 v[10:11], v4 offset0:2 offset1:3
	s_waitcnt vmcnt(0) lgkmcnt(0)
	v_pk_add_f32 v[8:9], v[10:11], v[8:9]
	ds_bpermute_b32 v10, v0, v8
	ds_bpermute_b32 v11, v0, v9
	s_waitcnt lgkmcnt(0)
	v_pk_add_f32 v[8:9], v[8:9], v[10:11]
	ds_bpermute_b32 v10, v1, v8
	ds_bpermute_b32 v11, v1, v9
	s_waitcnt lgkmcnt(0)
	;; [unrolled: 4-line block ×6, first 2 shown]
	v_pk_add_f32 v[8:9], v[8:9], v[10:11]
	scratch_store_dwordx2 off, v[8:9], off offset:8
	s_and_saveexec_b64 s[4:5], s[0:1]
	s_cbranch_execz .LBB174_11
; %bb.10:
	scratch_load_dword v7, v4, off offset:8
	v_add_u32_e32 v8, s10, v30
	v_mov_b32_e32 v9, 0
	v_lshl_add_u64 v[8:9], v[8:9], 2, s[2:3]
	s_waitcnt vmcnt(0)
	global_store_dword v[8:9], v7, off
.LBB174_11:
	s_or_b64 exec, exec, s[4:5]
	scratch_load_dwordx2 v[8:9], off, off offset:16
	ds_read2st64_b32 v[10:11], v4 offset0:4 offset1:5
	s_waitcnt vmcnt(0) lgkmcnt(0)
	v_pk_add_f32 v[8:9], v[10:11], v[8:9]
	ds_bpermute_b32 v10, v0, v8
	ds_bpermute_b32 v11, v0, v9
	s_waitcnt lgkmcnt(0)
	v_pk_add_f32 v[8:9], v[8:9], v[10:11]
	ds_bpermute_b32 v0, v1, v8
	ds_bpermute_b32 v1, v1, v9
	s_waitcnt lgkmcnt(0)
	v_pk_add_f32 v[0:1], v[8:9], v[0:1]
	ds_bpermute_b32 v8, v2, v0
	ds_bpermute_b32 v9, v2, v1
	s_waitcnt lgkmcnt(0)
	v_pk_add_f32 v[0:1], v[0:1], v[8:9]
	ds_bpermute_b32 v2, v3, v0
	ds_bpermute_b32 v3, v3, v1
	s_waitcnt lgkmcnt(0)
	v_pk_add_f32 v[0:1], v[0:1], v[2:3]
	ds_bpermute_b32 v2, v5, v0
	ds_bpermute_b32 v3, v5, v1
	s_waitcnt lgkmcnt(0)
	v_pk_add_f32 v[0:1], v[0:1], v[2:3]
	ds_bpermute_b32 v2, v6, v0
	ds_bpermute_b32 v3, v6, v1
	s_waitcnt lgkmcnt(0)
	v_pk_add_f32 v[0:1], v[0:1], v[2:3]
	scratch_store_dwordx2 off, v[0:1], off offset:16
	s_and_b64 exec, exec, s[0:1]
	s_cbranch_execz .LBB174_13
; %bb.12:
	scratch_load_dword v2, v4, off offset:16
	v_lshl_or_b32 v0, s10, 1, v30
	v_mov_b32_e32 v1, 0
	v_lshl_add_u64 v[0:1], v[0:1], 2, s[2:3]
	s_waitcnt vmcnt(0)
	global_store_dword v[0:1], v2, off
.LBB174_13:
	s_endpgm
	.section	.rodata,"a",@progbits
	.p2align	6, 0x0
	.amdhsa_kernel _ZL13mul_mat_vec_qIL9ggml_type17ELi3ELb0ELb0EEvPKvS2_PKi31ggml_cuda_mm_fusion_args_devicePfj15HIP_vector_typeIjLj3EEjjjS8_jjjS8_jjjj
		.amdhsa_group_segment_fixed_size 1536
		.amdhsa_private_segment_fixed_size 32
		.amdhsa_kernarg_size 144
		.amdhsa_user_sgpr_count 2
		.amdhsa_user_sgpr_dispatch_ptr 0
		.amdhsa_user_sgpr_queue_ptr 0
		.amdhsa_user_sgpr_kernarg_segment_ptr 1
		.amdhsa_user_sgpr_dispatch_id 0
		.amdhsa_user_sgpr_kernarg_preload_length 0
		.amdhsa_user_sgpr_kernarg_preload_offset 0
		.amdhsa_user_sgpr_private_segment_size 0
		.amdhsa_uses_dynamic_stack 0
		.amdhsa_enable_private_segment 1
		.amdhsa_system_sgpr_workgroup_id_x 1
		.amdhsa_system_sgpr_workgroup_id_y 1
		.amdhsa_system_sgpr_workgroup_id_z 1
		.amdhsa_system_sgpr_workgroup_info 0
		.amdhsa_system_vgpr_workitem_id 1
		.amdhsa_next_free_vgpr 60
		.amdhsa_next_free_sgpr 30
		.amdhsa_accum_offset 60
		.amdhsa_reserve_vcc 1
		.amdhsa_float_round_mode_32 0
		.amdhsa_float_round_mode_16_64 0
		.amdhsa_float_denorm_mode_32 3
		.amdhsa_float_denorm_mode_16_64 3
		.amdhsa_dx10_clamp 1
		.amdhsa_ieee_mode 1
		.amdhsa_fp16_overflow 0
		.amdhsa_tg_split 0
		.amdhsa_exception_fp_ieee_invalid_op 0
		.amdhsa_exception_fp_denorm_src 0
		.amdhsa_exception_fp_ieee_div_zero 0
		.amdhsa_exception_fp_ieee_overflow 0
		.amdhsa_exception_fp_ieee_underflow 0
		.amdhsa_exception_fp_ieee_inexact 0
		.amdhsa_exception_int_div_zero 0
	.end_amdhsa_kernel
	.section	.text._ZL13mul_mat_vec_qIL9ggml_type17ELi3ELb0ELb0EEvPKvS2_PKi31ggml_cuda_mm_fusion_args_devicePfj15HIP_vector_typeIjLj3EEjjjS8_jjjS8_jjjj,"axG",@progbits,_ZL13mul_mat_vec_qIL9ggml_type17ELi3ELb0ELb0EEvPKvS2_PKi31ggml_cuda_mm_fusion_args_devicePfj15HIP_vector_typeIjLj3EEjjjS8_jjjS8_jjjj,comdat
.Lfunc_end174:
	.size	_ZL13mul_mat_vec_qIL9ggml_type17ELi3ELb0ELb0EEvPKvS2_PKi31ggml_cuda_mm_fusion_args_devicePfj15HIP_vector_typeIjLj3EEjjjS8_jjjS8_jjjj, .Lfunc_end174-_ZL13mul_mat_vec_qIL9ggml_type17ELi3ELb0ELb0EEvPKvS2_PKi31ggml_cuda_mm_fusion_args_devicePfj15HIP_vector_typeIjLj3EEjjjS8_jjjS8_jjjj
                                        ; -- End function
	.section	.AMDGPU.csdata,"",@progbits
; Kernel info:
; codeLenInByte = 6144
; NumSgprs: 36
; NumVgprs: 60
; NumAgprs: 0
; TotalNumVgprs: 60
; ScratchSize: 32
; MemoryBound: 0
; FloatMode: 240
; IeeeMode: 1
; LDSByteSize: 1536 bytes/workgroup (compile time only)
; SGPRBlocks: 4
; VGPRBlocks: 7
; NumSGPRsForWavesPerEU: 36
; NumVGPRsForWavesPerEU: 60
; AccumOffset: 60
; Occupancy: 8
; WaveLimiterHint : 0
; COMPUTE_PGM_RSRC2:SCRATCH_EN: 1
; COMPUTE_PGM_RSRC2:USER_SGPR: 2
; COMPUTE_PGM_RSRC2:TRAP_HANDLER: 0
; COMPUTE_PGM_RSRC2:TGID_X_EN: 1
; COMPUTE_PGM_RSRC2:TGID_Y_EN: 1
; COMPUTE_PGM_RSRC2:TGID_Z_EN: 1
; COMPUTE_PGM_RSRC2:TIDIG_COMP_CNT: 1
; COMPUTE_PGM_RSRC3_GFX90A:ACCUM_OFFSET: 14
; COMPUTE_PGM_RSRC3_GFX90A:TG_SPLIT: 0
	.section	.text._ZL13mul_mat_vec_qIL9ggml_type17ELi4ELb0ELb0EEvPKvS2_PKi31ggml_cuda_mm_fusion_args_devicePfj15HIP_vector_typeIjLj3EEjjjS8_jjjS8_jjjj,"axG",@progbits,_ZL13mul_mat_vec_qIL9ggml_type17ELi4ELb0ELb0EEvPKvS2_PKi31ggml_cuda_mm_fusion_args_devicePfj15HIP_vector_typeIjLj3EEjjjS8_jjjS8_jjjj,comdat
	.globl	_ZL13mul_mat_vec_qIL9ggml_type17ELi4ELb0ELb0EEvPKvS2_PKi31ggml_cuda_mm_fusion_args_devicePfj15HIP_vector_typeIjLj3EEjjjS8_jjjS8_jjjj ; -- Begin function _ZL13mul_mat_vec_qIL9ggml_type17ELi4ELb0ELb0EEvPKvS2_PKi31ggml_cuda_mm_fusion_args_devicePfj15HIP_vector_typeIjLj3EEjjjS8_jjjS8_jjjj
	.p2align	8
	.type	_ZL13mul_mat_vec_qIL9ggml_type17ELi4ELb0ELb0EEvPKvS2_PKi31ggml_cuda_mm_fusion_args_devicePfj15HIP_vector_typeIjLj3EEjjjS8_jjjS8_jjjj,@function
_ZL13mul_mat_vec_qIL9ggml_type17ELi4ELb0ELb0EEvPKvS2_PKi31ggml_cuda_mm_fusion_args_devicePfj15HIP_vector_typeIjLj3EEjjjS8_jjjS8_jjjj: ; @_ZL13mul_mat_vec_qIL9ggml_type17ELi4ELb0ELb0EEvPKvS2_PKi31ggml_cuda_mm_fusion_args_devicePfj15HIP_vector_typeIjLj3EEjjjS8_jjjS8_jjjj
; %bb.0:
	s_mov_b32 s20, 0
	v_bfe_u32 v17, v0, 10, 10
	v_and_b32_e32 v16, 0x3ff, v0
	s_mov_b32 s21, s20
	v_lshl_add_u32 v4, v17, 6, v16
	s_mov_b32 s22, s20
	s_mov_b32 s23, s20
	v_mov_b64_e32 v[0:1], s[20:21]
	s_load_dword s6, s[0:1], 0x40
	s_load_dwordx4 s[8:11], s[0:1], 0x50
	s_load_dword s27, s[0:1], 0x60
	s_load_dwordx4 s[12:15], s[0:1], 0x68
	;; [unrolled: 2-line block ×3, first 2 shown]
	s_lshl_b32 s5, s2, 1
	s_waitcnt lgkmcnt(0)
	s_lshr_b32 s2, s6, 8
	v_mov_b64_e32 v[2:3], s[22:23]
	v_lshrrev_b32_e32 v34, 3, v4
	scratch_store_dwordx4 off, v[0:3], off offset:16
	scratch_store_dwordx4 off, v[0:3], off
	v_cmp_gt_u32_e32 vcc, s2, v34
	v_mov_b32_e32 v7, 0
	v_mov_b32_e32 v0, 0
	;; [unrolled: 1-line block ×8, first 2 shown]
	s_and_saveexec_b64 s[6:7], vcc
	s_cbranch_execz .LBB175_4
; %bb.1:
	s_load_dwordx4 s[20:23], s[0:1], 0x0
	s_mul_i32 s17, s4, s17
	s_mul_i32 s24, s17, 36
	;; [unrolled: 1-line block ×3, first 2 shown]
	s_mul_hi_u32 s19, s17, 36
	s_waitcnt lgkmcnt(0)
	s_add_u32 s24, s22, s24
	s_addc_u32 s19, s23, s19
	s_mul_i32 s28, s13, 36
	s_mul_hi_u32 s29, s13, 36
	s_add_u32 s24, s24, s28
	s_mul_hi_u32 s11, s11, s3
	s_addc_u32 s25, s19, s29
	s_add_i32 s11, s3, s11
	s_lshr_b32 s11, s11, s27
	s_mul_i32 s11, s11, s12
	s_mul_hi_u32 s12, s15, s4
	s_add_i32 s12, s4, s12
	s_lshr_b32 s12, s12, s26
	s_mul_i32 s12, s12, s16
	s_mul_i32 s13, s5, s8
	s_add_i32 s15, s12, s11
	s_add_i32 s12, s5, 1
	v_lshlrev_b32_e32 v2, 3, v34
	s_add_i32 s11, s15, s13
	s_mul_i32 s8, s8, s12
	v_mad_u64_u32 v[20:21], s[12:13], s9, 3, v[2:3]
	s_add_i32 s15, s15, s8
	v_add_u32_e32 v35, s9, v2
	v_lshl_add_u32 v21, s9, 1, v2
	s_movk_i32 s8, 0x120
	v_mov_b64_e32 v[2:3], s[28:29]
	v_mad_u64_u32 v[2:3], s[8:9], v34, s8, v[2:3]
	v_lshlrev_b32_e32 v0, 1, v16
	v_and_b32_e32 v18, 7, v16
	v_mad_u64_u32 v[2:3], s[8:9], s17, 36, v[2:3]
	v_and_b32_e32 v0, 14, v0
	v_mad_u64_u32 v[2:3], s[8:9], v18, 36, v[2:3]
	v_lshlrev_b32_e32 v0, 1, v0
	v_mov_b32_e32 v19, 0
	v_lshl_add_u64 v[2:3], v[2:3], 0, s[22:23]
	v_lshl_add_u64 v[22:23], v[2:3], 0, 32
	s_mov_b64 s[8:9], 0
	s_movk_i32 s19, 0x4a
	v_mov_b64_e32 v[24:25], s[20:21]
	v_lshlrev_b32_e32 v26, 1, v0
	v_mov_b32_e32 v27, v19
	s_mov_b32 s20, 0x1010101
	s_movk_i32 s21, 0xff00
	s_mov_b64 s[12:13], 0x1200
	v_mov_b32_e32 v36, 8
	v_mov_b32_e32 v37, 6
	;; [unrolled: 1-line block ×10, first 2 shown]
.LBB175_2:                              ; =>This Inner Loop Header: Depth=1
	v_add_u32_e32 v28, s11, v34
	v_mad_i64_i32 v[30:31], s[16:17], v28, s19, v[24:25]
	v_lshl_add_u64 v[28:29], v[30:31], 0, v[26:27]
	global_load_dword v54, v[22:23], off
	global_load_dwordx4 v[8:11], v[22:23], off offset:-16
	global_load_dwordx4 v[12:15], v[22:23], off offset:-32
	global_load_dwordx2 v[32:33], v[28:29], off offset:2
	s_getpc_b64 s[16:17]
	s_add_u32 s16, s16, _ZL10iq2xs_grid@rel32@lo+4
	s_addc_u32 s17, s17, _ZL10iq2xs_grid@rel32@hi+12
	v_lshl_add_u64 v[28:29], v[30:31], 0, v[18:19]
	v_mov_b32_e32 v50, 0
	v_lshl_add_u64 v[22:23], v[22:23], 0, s[12:13]
	s_waitcnt vmcnt(1)
	v_cvt_f32_f16_e32 v12, v12
	s_waitcnt vmcnt(0)
	v_and_b32_e32 v38, 0x1ff, v32
	v_lshlrev_b32_e32 v38, 3, v38
	global_load_dwordx2 v[38:39], v38, s[16:17]
	v_lshrrev_b16_e32 v40, 9, v32
	v_bcnt_u32_b32 v41, v40, 0
	v_and_b32_e32 v41, 1, v41
	v_lshl_or_b32 v41, v41, 7, v40
	v_mul_lo_u32 v41, v41, s20
	v_and_b32_e32 v42, 0x8000000, v41
	v_lshrrev_b32_e32 v44, 8, v41
	v_lshrrev_b16_e32 v45, 1, v44
	v_cmp_ne_u16_sdwa s[22:23], v42, v19 src0_sel:BYTE_3 src1_sel:DWORD
	v_lshlrev_b16_e32 v43, 6, v32
	v_bfe_i32 v45, v45, 0, 1
	v_lshrrev_b32_e32 v46, 18, v41
	v_cndmask_b32_e64 v42, 0, -1, s[22:23]
	v_ashrrev_i16_e32 v43, 15, v43
	v_bfe_i32 v46, v46, 0, 1
	v_lshlrev_b16_e32 v42, 8, v42
	v_lshlrev_b16_e32 v45, 8, v45
	v_or_b32_sdwa v47, v46, v42 dst_sel:WORD_1 dst_unused:UNUSED_PAD src0_sel:BYTE_0 src1_sel:DWORD
	v_or_b32_sdwa v48, v43, v45 dst_sel:DWORD dst_unused:UNUSED_PAD src0_sel:BYTE_0 src1_sel:DWORD
	v_or_b32_sdwa v47, v48, v47 dst_sel:DWORD dst_unused:UNUSED_PAD src0_sel:WORD_0 src1_sel:DWORD
	v_lshlrev_b16_e32 v43, 8, v43
	v_bfe_i32 v40, v40, 4, 1
	s_waitcnt vmcnt(0)
	v_xor_b32_e32 v38, v38, v47
	v_and_b32_e32 v47, 0xffffff00, v38
	v_sub_i16 v45, v47, v45 clamp
	v_lshlrev_b16_e32 v47, 8, v38
	v_and_b32_e32 v45, 0xffffff00, v45
	v_sub_i16 v43, v47, v43 clamp
	v_or_b32_sdwa v43, v43, v45 dst_sel:DWORD dst_unused:UNUSED_PAD src0_sel:BYTE_1 src1_sel:DWORD
	v_and_b32_sdwa v45, v38, s21 dst_sel:DWORD dst_unused:UNUSED_PAD src0_sel:WORD_1 src1_sel:DWORD
	v_sub_i16 v42, v45, v42 clamp
	v_lshlrev_b16_sdwa v38, v36, v38 dst_sel:DWORD dst_unused:UNUSED_PAD src0_sel:DWORD src1_sel:WORD_1
	v_lshlrev_b16_e32 v45, 8, v46
	v_and_b32_e32 v42, 0xffffff00, v42
	v_sub_i16 v38, v38, v45 clamp
	v_or_b32_sdwa v38, v38, v42 dst_sel:WORD_1 dst_unused:UNUSED_PAD src0_sel:BYTE_1 src1_sel:DWORD
	v_and_b32_e32 v42, 0x80000000, v41
	v_or_b32_sdwa v38, v43, v38 dst_sel:DWORD dst_unused:UNUSED_PAD src0_sel:WORD_0 src1_sel:DWORD
	v_lshrrev_b16_e32 v43, 5, v44
	v_cmp_ne_u16_sdwa s[22:23], v42, v19 src0_sel:BYTE_3 src1_sel:DWORD
	v_bfe_i32 v43, v43, 0, 1
	v_lshrrev_b32_e32 v41, 22, v41
	v_cndmask_b32_e64 v42, 0, -1, s[22:23]
	v_bfe_i32 v41, v41, 0, 1
	v_lshlrev_b16_e32 v42, 8, v42
	v_lshlrev_b16_e32 v43, 8, v43
	v_or_b32_sdwa v44, v41, v42 dst_sel:WORD_1 dst_unused:UNUSED_PAD src0_sel:BYTE_0 src1_sel:DWORD
	v_or_b32_sdwa v45, v40, v43 dst_sel:DWORD dst_unused:UNUSED_PAD src0_sel:BYTE_0 src1_sel:DWORD
	v_or_b32_sdwa v44, v45, v44 dst_sel:DWORD dst_unused:UNUSED_PAD src0_sel:WORD_0 src1_sel:DWORD
	v_xor_b32_e32 v39, v39, v44
	v_and_b32_e32 v44, 0xffffff00, v39
	v_sub_i16 v43, v44, v43 clamp
	v_lshlrev_b16_e32 v44, 8, v39
	v_lshlrev_b16_e32 v40, 8, v40
	v_and_b32_e32 v43, 0xffffff00, v43
	v_sub_i16 v40, v44, v40 clamp
	v_or_b32_sdwa v40, v40, v43 dst_sel:DWORD dst_unused:UNUSED_PAD src0_sel:BYTE_1 src1_sel:DWORD
	v_and_b32_sdwa v43, v39, s21 dst_sel:DWORD dst_unused:UNUSED_PAD src0_sel:WORD_1 src1_sel:DWORD
	v_sub_i16 v42, v43, v42 clamp
	v_lshlrev_b16_sdwa v39, v36, v39 dst_sel:DWORD dst_unused:UNUSED_PAD src0_sel:DWORD src1_sel:WORD_1
	v_lshlrev_b16_e32 v41, 8, v41
	v_and_b32_e32 v42, 0xffffff00, v42
	v_sub_i16 v39, v39, v41 clamp
	v_or_b32_sdwa v39, v39, v42 dst_sel:WORD_1 dst_unused:UNUSED_PAD src0_sel:BYTE_1 src1_sel:DWORD
	v_lshrrev_b32_e32 v42, 25, v32
	v_or_b32_sdwa v39, v40, v39 dst_sel:DWORD dst_unused:UNUSED_PAD src0_sel:WORD_0 src1_sel:DWORD
	v_lshrrev_b32_e32 v40, 13, v32
	v_and_b32_e32 v40, 0xff8, v40
	global_load_dwordx2 v[40:41], v40, s[16:17]
	v_bcnt_u32_b32 v42, v42, 0
	v_and_b32_e32 v42, 1, v42
	v_alignbit_b32 v42, v42, v32, 25
	v_mul_lo_u32 v42, v42, s20
	v_and_b32_e32 v43, 0x8000000, v42
	v_lshrrev_b32_e32 v45, 8, v42
	v_lshrrev_b16_e32 v46, 1, v45
	v_cmp_ne_u16_sdwa s[22:23], v43, v19 src0_sel:BYTE_3 src1_sel:DWORD
	v_lshlrev_b16_sdwa v44, v37, v32 dst_sel:DWORD dst_unused:UNUSED_PAD src0_sel:DWORD src1_sel:WORD_1
	v_bfe_i32 v46, v46, 0, 1
	v_lshrrev_b32_e32 v47, 18, v42
	v_cndmask_b32_e64 v43, 0, -1, s[22:23]
	v_ashrrev_i16_e32 v44, 15, v44
	v_bfe_i32 v47, v47, 0, 1
	v_lshlrev_b16_e32 v43, 8, v43
	v_lshlrev_b16_e32 v46, 8, v46
	v_or_b32_sdwa v48, v47, v43 dst_sel:WORD_1 dst_unused:UNUSED_PAD src0_sel:BYTE_0 src1_sel:DWORD
	v_or_b32_sdwa v49, v44, v46 dst_sel:DWORD dst_unused:UNUSED_PAD src0_sel:BYTE_0 src1_sel:DWORD
	v_or_b32_sdwa v48, v49, v48 dst_sel:DWORD dst_unused:UNUSED_PAD src0_sel:WORD_0 src1_sel:DWORD
	v_lshlrev_b16_e32 v44, 8, v44
	v_bfe_i32 v32, v32, 29, 1
	v_dot4c_i32_i8_e32 v50, v38, v13
	v_dot4c_i32_i8_e32 v50, v39, v14
	s_waitcnt vmcnt(0)
	v_xor_b32_e32 v40, v40, v48
	v_and_b32_e32 v48, 0xffffff00, v40
	v_sub_i16 v46, v48, v46 clamp
	v_lshlrev_b16_e32 v48, 8, v40
	v_and_b32_e32 v46, 0xffffff00, v46
	v_sub_i16 v44, v48, v44 clamp
	v_or_b32_sdwa v44, v44, v46 dst_sel:DWORD dst_unused:UNUSED_PAD src0_sel:BYTE_1 src1_sel:DWORD
	v_and_b32_sdwa v46, v40, s21 dst_sel:DWORD dst_unused:UNUSED_PAD src0_sel:WORD_1 src1_sel:DWORD
	v_sub_i16 v43, v46, v43 clamp
	v_lshlrev_b16_sdwa v40, v36, v40 dst_sel:DWORD dst_unused:UNUSED_PAD src0_sel:DWORD src1_sel:WORD_1
	v_lshlrev_b16_e32 v46, 8, v47
	v_and_b32_e32 v43, 0xffffff00, v43
	v_sub_i16 v40, v40, v46 clamp
	v_or_b32_sdwa v40, v40, v43 dst_sel:WORD_1 dst_unused:UNUSED_PAD src0_sel:BYTE_1 src1_sel:DWORD
	v_and_b32_e32 v43, 0x80000000, v42
	v_or_b32_sdwa v40, v44, v40 dst_sel:DWORD dst_unused:UNUSED_PAD src0_sel:WORD_0 src1_sel:DWORD
	v_lshrrev_b16_e32 v44, 5, v45
	v_cmp_ne_u16_sdwa s[22:23], v43, v19 src0_sel:BYTE_3 src1_sel:DWORD
	v_bfe_i32 v44, v44, 0, 1
	v_lshrrev_b32_e32 v42, 22, v42
	v_cndmask_b32_e64 v43, 0, -1, s[22:23]
	v_bfe_i32 v42, v42, 0, 1
	v_lshlrev_b16_e32 v43, 8, v43
	v_lshlrev_b16_e32 v44, 8, v44
	v_or_b32_sdwa v45, v42, v43 dst_sel:WORD_1 dst_unused:UNUSED_PAD src0_sel:BYTE_0 src1_sel:DWORD
	v_or_b32_sdwa v46, v32, v44 dst_sel:DWORD dst_unused:UNUSED_PAD src0_sel:BYTE_0 src1_sel:DWORD
	v_or_b32_sdwa v45, v46, v45 dst_sel:DWORD dst_unused:UNUSED_PAD src0_sel:WORD_0 src1_sel:DWORD
	v_xor_b32_e32 v41, v41, v45
	v_and_b32_e32 v45, 0xffffff00, v41
	v_sub_i16 v44, v45, v44 clamp
	v_lshlrev_b16_e32 v45, 8, v41
	v_lshlrev_b16_e32 v32, 8, v32
	v_and_b32_e32 v44, 0xffffff00, v44
	v_sub_i16 v32, v45, v32 clamp
	v_or_b32_sdwa v32, v32, v44 dst_sel:DWORD dst_unused:UNUSED_PAD src0_sel:BYTE_1 src1_sel:DWORD
	v_and_b32_sdwa v44, v41, s21 dst_sel:DWORD dst_unused:UNUSED_PAD src0_sel:WORD_1 src1_sel:DWORD
	v_sub_i16 v43, v44, v43 clamp
	v_lshlrev_b16_sdwa v41, v36, v41 dst_sel:DWORD dst_unused:UNUSED_PAD src0_sel:DWORD src1_sel:WORD_1
	v_lshlrev_b16_e32 v42, 8, v42
	v_and_b32_e32 v43, 0xffffff00, v43
	v_sub_i16 v41, v41, v42 clamp
	v_or_b32_sdwa v41, v41, v43 dst_sel:WORD_1 dst_unused:UNUSED_PAD src0_sel:BYTE_1 src1_sel:DWORD
	v_lshlrev_b16_e32 v46, 6, v33
	v_or_b32_sdwa v41, v32, v41 dst_sel:DWORD dst_unused:UNUSED_PAD src0_sel:WORD_0 src1_sel:DWORD
	v_and_b32_e32 v32, 0x1ff, v33
	v_lshlrev_b32_e32 v32, 3, v32
	global_load_dwordx2 v[42:43], v32, s[16:17]
	v_lshrrev_b16_e32 v32, 9, v33
	v_bcnt_u32_b32 v44, v32, 0
	v_and_b32_e32 v44, 1, v44
	v_lshl_or_b32 v44, v44, 7, v32
	v_mul_lo_u32 v44, v44, s20
	v_and_b32_e32 v45, 0x8000000, v44
	v_lshrrev_b32_e32 v47, 8, v44
	v_lshrrev_b16_e32 v48, 1, v47
	v_cmp_ne_u16_sdwa s[22:23], v45, v19 src0_sel:BYTE_3 src1_sel:DWORD
	v_bfe_i32 v48, v48, 0, 1
	v_lshrrev_b32_e32 v49, 18, v44
	v_cndmask_b32_e64 v45, 0, -1, s[22:23]
	v_ashrrev_i16_e32 v46, 15, v46
	v_bfe_i32 v49, v49, 0, 1
	v_lshlrev_b16_e32 v45, 8, v45
	v_lshlrev_b16_e32 v48, 8, v48
	v_or_b32_sdwa v51, v49, v45 dst_sel:WORD_1 dst_unused:UNUSED_PAD src0_sel:BYTE_0 src1_sel:DWORD
	v_or_b32_sdwa v52, v46, v48 dst_sel:DWORD dst_unused:UNUSED_PAD src0_sel:BYTE_0 src1_sel:DWORD
	v_or_b32_sdwa v51, v52, v51 dst_sel:DWORD dst_unused:UNUSED_PAD src0_sel:WORD_0 src1_sel:DWORD
	v_lshlrev_b16_e32 v46, 8, v46
	v_bfe_i32 v32, v32, 4, 1
	v_dot4c_i32_i8_e32 v50, v40, v15
	v_dot4c_i32_i8_e32 v50, v41, v8
	s_waitcnt vmcnt(0)
	v_xor_b32_e32 v42, v42, v51
	v_and_b32_e32 v51, 0xffffff00, v42
	v_sub_i16 v48, v51, v48 clamp
	v_lshlrev_b16_e32 v51, 8, v42
	v_and_b32_e32 v48, 0xffffff00, v48
	v_sub_i16 v46, v51, v46 clamp
	v_or_b32_sdwa v46, v46, v48 dst_sel:DWORD dst_unused:UNUSED_PAD src0_sel:BYTE_1 src1_sel:DWORD
	v_and_b32_sdwa v48, v42, s21 dst_sel:DWORD dst_unused:UNUSED_PAD src0_sel:WORD_1 src1_sel:DWORD
	v_sub_i16 v45, v48, v45 clamp
	v_lshlrev_b16_sdwa v42, v36, v42 dst_sel:DWORD dst_unused:UNUSED_PAD src0_sel:DWORD src1_sel:WORD_1
	v_lshlrev_b16_e32 v48, 8, v49
	v_and_b32_e32 v45, 0xffffff00, v45
	v_sub_i16 v42, v42, v48 clamp
	v_or_b32_sdwa v42, v42, v45 dst_sel:WORD_1 dst_unused:UNUSED_PAD src0_sel:BYTE_1 src1_sel:DWORD
	v_and_b32_e32 v45, 0x80000000, v44
	v_or_b32_sdwa v42, v46, v42 dst_sel:DWORD dst_unused:UNUSED_PAD src0_sel:WORD_0 src1_sel:DWORD
	v_lshrrev_b16_e32 v46, 5, v47
	v_cmp_ne_u16_sdwa s[22:23], v45, v19 src0_sel:BYTE_3 src1_sel:DWORD
	v_bfe_i32 v46, v46, 0, 1
	v_lshrrev_b32_e32 v44, 22, v44
	v_cndmask_b32_e64 v45, 0, -1, s[22:23]
	v_bfe_i32 v44, v44, 0, 1
	v_lshlrev_b16_e32 v45, 8, v45
	v_lshlrev_b16_e32 v46, 8, v46
	v_or_b32_sdwa v47, v44, v45 dst_sel:WORD_1 dst_unused:UNUSED_PAD src0_sel:BYTE_0 src1_sel:DWORD
	v_or_b32_sdwa v48, v32, v46 dst_sel:DWORD dst_unused:UNUSED_PAD src0_sel:BYTE_0 src1_sel:DWORD
	v_or_b32_sdwa v47, v48, v47 dst_sel:DWORD dst_unused:UNUSED_PAD src0_sel:WORD_0 src1_sel:DWORD
	v_xor_b32_e32 v43, v43, v47
	v_and_b32_e32 v47, 0xffffff00, v43
	v_sub_i16 v46, v47, v46 clamp
	v_lshlrev_b16_e32 v47, 8, v43
	v_lshlrev_b16_e32 v32, 8, v32
	v_and_b32_e32 v46, 0xffffff00, v46
	v_sub_i16 v32, v47, v32 clamp
	v_or_b32_sdwa v32, v32, v46 dst_sel:DWORD dst_unused:UNUSED_PAD src0_sel:BYTE_1 src1_sel:DWORD
	v_and_b32_sdwa v46, v43, s21 dst_sel:DWORD dst_unused:UNUSED_PAD src0_sel:WORD_1 src1_sel:DWORD
	v_sub_i16 v45, v46, v45 clamp
	v_lshlrev_b16_sdwa v43, v36, v43 dst_sel:DWORD dst_unused:UNUSED_PAD src0_sel:DWORD src1_sel:WORD_1
	v_lshlrev_b16_e32 v44, 8, v44
	v_and_b32_e32 v45, 0xffffff00, v45
	v_sub_i16 v43, v43, v44 clamp
	v_or_b32_sdwa v43, v43, v45 dst_sel:WORD_1 dst_unused:UNUSED_PAD src0_sel:BYTE_1 src1_sel:DWORD
	v_lshlrev_b16_sdwa v47, v37, v33 dst_sel:DWORD dst_unused:UNUSED_PAD src0_sel:DWORD src1_sel:WORD_1
	v_or_b32_sdwa v43, v32, v43 dst_sel:DWORD dst_unused:UNUSED_PAD src0_sel:WORD_0 src1_sel:DWORD
	v_lshrrev_b32_e32 v32, 13, v33
	v_and_b32_e32 v32, 0xff8, v32
	global_load_dwordx2 v[44:45], v32, s[16:17]
	v_lshrrev_b32_e32 v32, 25, v33
	v_bcnt_u32_b32 v32, v32, 0
	v_and_b32_e32 v32, 1, v32
	v_alignbit_b32 v32, v32, v33, 25
	v_mul_lo_u32 v32, v32, s20
	v_and_b32_e32 v46, 0x8000000, v32
	v_lshrrev_b32_e32 v48, 8, v32
	v_lshrrev_b16_e32 v49, 1, v48
	v_cmp_ne_u16_sdwa s[22:23], v46, v19 src0_sel:BYTE_3 src1_sel:DWORD
	v_bfe_i32 v49, v49, 0, 1
	v_lshrrev_b32_e32 v52, 18, v32
	v_cndmask_b32_e64 v46, 0, -1, s[22:23]
	v_ashrrev_i16_e32 v47, 15, v47
	v_bfe_i32 v52, v52, 0, 1
	v_lshlrev_b16_e32 v46, 8, v46
	v_lshlrev_b16_e32 v49, 8, v49
	v_or_b32_sdwa v53, v52, v46 dst_sel:WORD_1 dst_unused:UNUSED_PAD src0_sel:BYTE_0 src1_sel:DWORD
	v_or_b32_sdwa v55, v47, v49 dst_sel:DWORD dst_unused:UNUSED_PAD src0_sel:BYTE_0 src1_sel:DWORD
	v_or_b32_sdwa v53, v55, v53 dst_sel:DWORD dst_unused:UNUSED_PAD src0_sel:WORD_0 src1_sel:DWORD
	v_lshlrev_b16_e32 v47, 8, v47
	v_bfe_i32 v33, v33, 29, 1
	v_mov_b32_e32 v51, 0
	v_dot4c_i32_i8_e32 v51, v42, v9
	v_dot4c_i32_i8_e32 v51, v43, v10
	s_waitcnt vmcnt(0)
	v_xor_b32_e32 v44, v44, v53
	v_and_b32_e32 v53, 0xffffff00, v44
	v_sub_i16 v49, v53, v49 clamp
	v_lshlrev_b16_e32 v53, 8, v44
	v_and_b32_e32 v49, 0xffffff00, v49
	v_sub_i16 v47, v53, v47 clamp
	v_or_b32_sdwa v47, v47, v49 dst_sel:DWORD dst_unused:UNUSED_PAD src0_sel:BYTE_1 src1_sel:DWORD
	v_and_b32_sdwa v49, v44, s21 dst_sel:DWORD dst_unused:UNUSED_PAD src0_sel:WORD_1 src1_sel:DWORD
	v_sub_i16 v46, v49, v46 clamp
	v_lshlrev_b16_sdwa v44, v36, v44 dst_sel:DWORD dst_unused:UNUSED_PAD src0_sel:DWORD src1_sel:WORD_1
	v_lshlrev_b16_e32 v49, 8, v52
	v_and_b32_e32 v46, 0xffffff00, v46
	v_sub_i16 v44, v44, v49 clamp
	v_or_b32_sdwa v44, v44, v46 dst_sel:WORD_1 dst_unused:UNUSED_PAD src0_sel:BYTE_1 src1_sel:DWORD
	v_and_b32_e32 v46, 0x80000000, v32
	v_or_b32_sdwa v44, v47, v44 dst_sel:DWORD dst_unused:UNUSED_PAD src0_sel:WORD_0 src1_sel:DWORD
	v_lshrrev_b16_e32 v47, 5, v48
	v_cmp_ne_u16_sdwa s[22:23], v46, v19 src0_sel:BYTE_3 src1_sel:DWORD
	v_bfe_i32 v47, v47, 0, 1
	v_lshrrev_b32_e32 v32, 22, v32
	v_cndmask_b32_e64 v46, 0, -1, s[22:23]
	v_bfe_i32 v32, v32, 0, 1
	v_lshlrev_b16_e32 v46, 8, v46
	v_lshlrev_b16_e32 v47, 8, v47
	v_or_b32_sdwa v48, v32, v46 dst_sel:WORD_1 dst_unused:UNUSED_PAD src0_sel:BYTE_0 src1_sel:DWORD
	v_or_b32_sdwa v49, v33, v47 dst_sel:DWORD dst_unused:UNUSED_PAD src0_sel:BYTE_0 src1_sel:DWORD
	v_or_b32_sdwa v48, v49, v48 dst_sel:DWORD dst_unused:UNUSED_PAD src0_sel:WORD_0 src1_sel:DWORD
	v_xor_b32_e32 v45, v45, v48
	v_and_b32_e32 v48, 0xffffff00, v45
	v_sub_i16 v47, v48, v47 clamp
	v_lshlrev_b16_e32 v48, 8, v45
	v_lshlrev_b16_e32 v33, 8, v33
	v_and_b32_e32 v47, 0xffffff00, v47
	v_sub_i16 v33, v48, v33 clamp
	v_or_b32_sdwa v33, v33, v47 dst_sel:DWORD dst_unused:UNUSED_PAD src0_sel:BYTE_1 src1_sel:DWORD
	v_and_b32_sdwa v47, v45, s21 dst_sel:DWORD dst_unused:UNUSED_PAD src0_sel:WORD_1 src1_sel:DWORD
	v_sub_i16 v46, v47, v46 clamp
	v_lshlrev_b16_sdwa v45, v36, v45 dst_sel:DWORD dst_unused:UNUSED_PAD src0_sel:DWORD src1_sel:WORD_1
	v_lshlrev_b16_e32 v32, 8, v32
	v_and_b32_e32 v46, 0xffffff00, v46
	v_sub_i16 v32, v45, v32 clamp
	global_load_ushort v52, v[30:31], off
	v_add_u32_e32 v30, s15, v34
	v_or_b32_sdwa v32, v32, v46 dst_sel:WORD_1 dst_unused:UNUSED_PAD src0_sel:BYTE_1 src1_sel:DWORD
	v_mad_i64_i32 v[30:31], s[22:23], v30, s19, v[24:25]
	v_or_b32_sdwa v45, v33, v32 dst_sel:DWORD dst_unused:UNUSED_PAD src0_sel:WORD_0 src1_sel:DWORD
	v_lshl_add_u64 v[32:33], v[30:31], 0, v[26:27]
	global_load_dwordx2 v[48:49], v[32:33], off offset:2
	v_dot4c_i32_i8_e32 v51, v44, v11
	v_dot4c_i32_i8_e32 v51, v45, v54
	v_lshl_add_u64 v[32:33], v[30:31], 0, v[18:19]
	v_add_u32_e32 v34, 16, v34
	v_cmp_le_u32_e32 vcc, s2, v34
	s_or_b64 s[8:9], vcc, s[8:9]
	s_waitcnt vmcnt(0)
	v_and_b32_e32 v46, 0x1ff, v48
	v_lshlrev_b32_e32 v46, 3, v46
	global_load_dwordx2 v[46:47], v46, s[16:17]
	v_lshrrev_b16_e32 v53, 9, v48
	v_bcnt_u32_b32 v55, v53, 0
	v_and_b32_e32 v55, 1, v55
	v_lshl_or_b32 v55, v55, 7, v53
	v_mul_lo_u32 v55, v55, s20
	v_and_b32_e32 v56, 0x8000000, v55
	v_lshrrev_b32_e32 v58, 8, v55
	v_lshrrev_b16_e32 v59, 1, v58
	v_cmp_ne_u16_sdwa s[22:23], v56, v19 src0_sel:BYTE_3 src1_sel:DWORD
	v_lshlrev_b16_e32 v57, 6, v48
	v_bfe_i32 v59, v59, 0, 1
	v_lshrrev_b32_e32 v60, 18, v55
	v_cndmask_b32_e64 v56, 0, -1, s[22:23]
	v_ashrrev_i16_e32 v57, 15, v57
	v_bfe_i32 v60, v60, 0, 1
	v_lshlrev_b16_e32 v56, 8, v56
	v_lshlrev_b16_e32 v59, 8, v59
	v_or_b32_sdwa v61, v60, v56 dst_sel:WORD_1 dst_unused:UNUSED_PAD src0_sel:BYTE_0 src1_sel:DWORD
	v_or_b32_sdwa v62, v57, v59 dst_sel:DWORD dst_unused:UNUSED_PAD src0_sel:BYTE_0 src1_sel:DWORD
	v_or_b32_sdwa v61, v62, v61 dst_sel:DWORD dst_unused:UNUSED_PAD src0_sel:WORD_0 src1_sel:DWORD
	v_lshlrev_b16_e32 v57, 8, v57
	v_bfe_i32 v53, v53, 4, 1
	s_waitcnt vmcnt(0)
	v_xor_b32_e32 v46, v46, v61
	v_and_b32_e32 v61, 0xffffff00, v46
	v_sub_i16 v59, v61, v59 clamp
	v_lshlrev_b16_e32 v61, 8, v46
	v_and_b32_e32 v59, 0xffffff00, v59
	v_sub_i16 v57, v61, v57 clamp
	v_or_b32_sdwa v57, v57, v59 dst_sel:DWORD dst_unused:UNUSED_PAD src0_sel:BYTE_1 src1_sel:DWORD
	v_and_b32_sdwa v59, v46, s21 dst_sel:DWORD dst_unused:UNUSED_PAD src0_sel:WORD_1 src1_sel:DWORD
	v_sub_i16 v56, v59, v56 clamp
	v_lshlrev_b16_sdwa v46, v36, v46 dst_sel:DWORD dst_unused:UNUSED_PAD src0_sel:DWORD src1_sel:WORD_1
	v_lshlrev_b16_e32 v59, 8, v60
	v_and_b32_e32 v56, 0xffffff00, v56
	v_sub_i16 v46, v46, v59 clamp
	v_or_b32_sdwa v46, v46, v56 dst_sel:WORD_1 dst_unused:UNUSED_PAD src0_sel:BYTE_1 src1_sel:DWORD
	v_and_b32_e32 v56, 0x80000000, v55
	v_or_b32_sdwa v46, v57, v46 dst_sel:DWORD dst_unused:UNUSED_PAD src0_sel:WORD_0 src1_sel:DWORD
	v_lshrrev_b16_e32 v57, 5, v58
	v_cmp_ne_u16_sdwa s[22:23], v56, v19 src0_sel:BYTE_3 src1_sel:DWORD
	v_bfe_i32 v57, v57, 0, 1
	v_lshrrev_b32_e32 v55, 22, v55
	v_cndmask_b32_e64 v56, 0, -1, s[22:23]
	v_bfe_i32 v55, v55, 0, 1
	v_lshlrev_b16_e32 v56, 8, v56
	v_lshlrev_b16_e32 v57, 8, v57
	v_or_b32_sdwa v58, v55, v56 dst_sel:WORD_1 dst_unused:UNUSED_PAD src0_sel:BYTE_0 src1_sel:DWORD
	v_or_b32_sdwa v59, v53, v57 dst_sel:DWORD dst_unused:UNUSED_PAD src0_sel:BYTE_0 src1_sel:DWORD
	v_or_b32_sdwa v58, v59, v58 dst_sel:DWORD dst_unused:UNUSED_PAD src0_sel:WORD_0 src1_sel:DWORD
	v_xor_b32_e32 v47, v47, v58
	v_and_b32_e32 v58, 0xffffff00, v47
	v_sub_i16 v57, v58, v57 clamp
	v_lshlrev_b16_e32 v58, 8, v47
	v_lshlrev_b16_e32 v53, 8, v53
	v_and_b32_e32 v57, 0xffffff00, v57
	v_sub_i16 v53, v58, v53 clamp
	v_or_b32_sdwa v53, v53, v57 dst_sel:DWORD dst_unused:UNUSED_PAD src0_sel:BYTE_1 src1_sel:DWORD
	v_and_b32_sdwa v57, v47, s21 dst_sel:DWORD dst_unused:UNUSED_PAD src0_sel:WORD_1 src1_sel:DWORD
	v_sub_i16 v56, v57, v56 clamp
	v_lshlrev_b16_sdwa v47, v36, v47 dst_sel:DWORD dst_unused:UNUSED_PAD src0_sel:DWORD src1_sel:WORD_1
	v_lshlrev_b16_e32 v55, 8, v55
	v_and_b32_e32 v56, 0xffffff00, v56
	v_sub_i16 v47, v47, v55 clamp
	v_or_b32_sdwa v47, v47, v56 dst_sel:WORD_1 dst_unused:UNUSED_PAD src0_sel:BYTE_1 src1_sel:DWORD
	v_lshlrev_b16_sdwa v55, v37, v48 dst_sel:DWORD dst_unused:UNUSED_PAD src0_sel:DWORD src1_sel:WORD_1
	v_or_b32_sdwa v47, v53, v47 dst_sel:DWORD dst_unused:UNUSED_PAD src0_sel:WORD_0 src1_sel:DWORD
	v_mov_b32_e32 v53, 0
	v_dot4c_i32_i8_e32 v53, v46, v13
	v_lshrrev_b32_e32 v13, 13, v48
	v_and_b32_e32 v13, 0xff8, v13
	global_load_dwordx2 v[56:57], v13, s[16:17]
	v_lshrrev_b32_e32 v13, 25, v48
	v_bcnt_u32_b32 v13, v13, 0
	v_and_b32_e32 v13, 1, v13
	v_alignbit_b32 v13, v13, v48, 25
	v_dot4c_i32_i8_e32 v53, v47, v14
	v_mul_lo_u32 v14, v13, s20
	v_and_b32_e32 v13, 0x8000000, v14
	v_lshrrev_b32_e32 v58, 8, v14
	v_lshrrev_b16_e32 v59, 1, v58
	v_cmp_ne_u16_sdwa s[22:23], v13, v19 src0_sel:BYTE_3 src1_sel:DWORD
	v_bfe_i32 v59, v59, 0, 1
	v_lshrrev_b32_e32 v60, 18, v14
	v_cndmask_b32_e64 v13, 0, -1, s[22:23]
	v_ashrrev_i16_e32 v55, 15, v55
	v_bfe_i32 v60, v60, 0, 1
	v_lshlrev_b16_e32 v13, 8, v13
	v_lshlrev_b16_e32 v59, 8, v59
	v_or_b32_sdwa v61, v60, v13 dst_sel:WORD_1 dst_unused:UNUSED_PAD src0_sel:BYTE_0 src1_sel:DWORD
	v_or_b32_sdwa v62, v55, v59 dst_sel:DWORD dst_unused:UNUSED_PAD src0_sel:BYTE_0 src1_sel:DWORD
	v_or_b32_sdwa v61, v62, v61 dst_sel:DWORD dst_unused:UNUSED_PAD src0_sel:WORD_0 src1_sel:DWORD
	v_lshlrev_b16_e32 v55, 8, v55
	v_bfe_i32 v48, v48, 29, 1
	s_waitcnt vmcnt(0)
	v_xor_b32_e32 v56, v56, v61
	v_and_b32_e32 v61, 0xffffff00, v56
	v_sub_i16 v59, v61, v59 clamp
	v_lshlrev_b16_e32 v61, 8, v56
	v_and_b32_e32 v59, 0xffffff00, v59
	v_sub_i16 v55, v61, v55 clamp
	v_or_b32_sdwa v55, v55, v59 dst_sel:DWORD dst_unused:UNUSED_PAD src0_sel:BYTE_1 src1_sel:DWORD
	v_and_b32_sdwa v59, v56, s21 dst_sel:DWORD dst_unused:UNUSED_PAD src0_sel:WORD_1 src1_sel:DWORD
	v_sub_i16 v13, v59, v13 clamp
	v_lshlrev_b16_sdwa v56, v36, v56 dst_sel:DWORD dst_unused:UNUSED_PAD src0_sel:DWORD src1_sel:WORD_1
	v_lshlrev_b16_e32 v59, 8, v60
	v_and_b32_e32 v13, 0xffffff00, v13
	v_sub_i16 v56, v56, v59 clamp
	v_or_b32_sdwa v13, v56, v13 dst_sel:WORD_1 dst_unused:UNUSED_PAD src0_sel:BYTE_1 src1_sel:DWORD
	v_lshrrev_b16_e32 v56, 5, v58
	v_or_b32_sdwa v13, v55, v13 dst_sel:DWORD dst_unused:UNUSED_PAD src0_sel:WORD_0 src1_sel:DWORD
	v_and_b32_e32 v55, 0x80000000, v14
	v_cmp_ne_u16_sdwa s[22:23], v55, v19 src0_sel:BYTE_3 src1_sel:DWORD
	v_bfe_i32 v56, v56, 0, 1
	v_lshrrev_b32_e32 v14, 22, v14
	v_cndmask_b32_e64 v55, 0, -1, s[22:23]
	v_bfe_i32 v14, v14, 0, 1
	v_lshlrev_b16_e32 v55, 8, v55
	v_lshlrev_b16_e32 v56, 8, v56
	v_or_b32_sdwa v58, v14, v55 dst_sel:WORD_1 dst_unused:UNUSED_PAD src0_sel:BYTE_0 src1_sel:DWORD
	v_or_b32_sdwa v59, v48, v56 dst_sel:DWORD dst_unused:UNUSED_PAD src0_sel:BYTE_0 src1_sel:DWORD
	v_or_b32_sdwa v58, v59, v58 dst_sel:DWORD dst_unused:UNUSED_PAD src0_sel:WORD_0 src1_sel:DWORD
	v_xor_b32_e32 v57, v57, v58
	v_and_b32_e32 v58, 0xffffff00, v57
	v_sub_i16 v56, v58, v56 clamp
	v_lshlrev_b16_e32 v58, 8, v57
	v_lshlrev_b16_e32 v48, 8, v48
	v_and_b32_e32 v56, 0xffffff00, v56
	v_sub_i16 v48, v58, v48 clamp
	v_or_b32_sdwa v48, v48, v56 dst_sel:DWORD dst_unused:UNUSED_PAD src0_sel:BYTE_1 src1_sel:DWORD
	v_and_b32_sdwa v56, v57, s21 dst_sel:DWORD dst_unused:UNUSED_PAD src0_sel:WORD_1 src1_sel:DWORD
	v_sub_i16 v55, v56, v55 clamp
	v_lshlrev_b16_sdwa v56, v36, v57 dst_sel:DWORD dst_unused:UNUSED_PAD src0_sel:DWORD src1_sel:WORD_1
	v_lshlrev_b16_e32 v14, 8, v14
	v_and_b32_e32 v55, 0xffffff00, v55
	v_sub_i16 v14, v56, v14 clamp
	v_or_b32_sdwa v14, v14, v55 dst_sel:WORD_1 dst_unused:UNUSED_PAD src0_sel:BYTE_1 src1_sel:DWORD
	v_dot4c_i32_i8_e32 v53, v13, v15
	v_or_b32_sdwa v14, v48, v14 dst_sel:DWORD dst_unused:UNUSED_PAD src0_sel:WORD_0 src1_sel:DWORD
	v_dot4c_i32_i8_e32 v53, v14, v8
	v_and_b32_e32 v8, 0x1ff, v49
	v_lshlrev_b32_e32 v8, 3, v8
	global_load_dwordx2 v[56:57], v8, s[16:17]
	v_lshrrev_b16_e32 v8, 9, v49
	v_bcnt_u32_b32 v15, v8, 0
	v_and_b32_e32 v15, 1, v15
	v_lshl_or_b32 v15, v15, 7, v8
	v_mul_lo_u32 v48, v15, s20
	v_and_b32_e32 v15, 0x8000000, v48
	v_lshrrev_b32_e32 v58, 8, v48
	v_lshrrev_b16_e32 v59, 1, v58
	v_cmp_ne_u16_sdwa s[22:23], v15, v19 src0_sel:BYTE_3 src1_sel:DWORD
	v_lshlrev_b16_e32 v55, 6, v49
	v_bfe_i32 v59, v59, 0, 1
	v_lshrrev_b32_e32 v60, 18, v48
	v_cndmask_b32_e64 v15, 0, -1, s[22:23]
	v_ashrrev_i16_e32 v55, 15, v55
	v_bfe_i32 v60, v60, 0, 1
	v_lshlrev_b16_e32 v15, 8, v15
	v_lshlrev_b16_e32 v59, 8, v59
	v_or_b32_sdwa v61, v60, v15 dst_sel:WORD_1 dst_unused:UNUSED_PAD src0_sel:BYTE_0 src1_sel:DWORD
	v_or_b32_sdwa v62, v55, v59 dst_sel:DWORD dst_unused:UNUSED_PAD src0_sel:BYTE_0 src1_sel:DWORD
	v_or_b32_sdwa v61, v62, v61 dst_sel:DWORD dst_unused:UNUSED_PAD src0_sel:WORD_0 src1_sel:DWORD
	v_lshlrev_b16_e32 v55, 8, v55
	v_bfe_i32 v8, v8, 4, 1
	s_waitcnt vmcnt(0)
	v_xor_b32_e32 v56, v56, v61
	v_and_b32_e32 v61, 0xffffff00, v56
	v_sub_i16 v59, v61, v59 clamp
	v_lshlrev_b16_e32 v61, 8, v56
	v_and_b32_e32 v59, 0xffffff00, v59
	v_sub_i16 v55, v61, v55 clamp
	v_or_b32_sdwa v55, v55, v59 dst_sel:DWORD dst_unused:UNUSED_PAD src0_sel:BYTE_1 src1_sel:DWORD
	v_and_b32_sdwa v59, v56, s21 dst_sel:DWORD dst_unused:UNUSED_PAD src0_sel:WORD_1 src1_sel:DWORD
	v_sub_i16 v15, v59, v15 clamp
	v_lshlrev_b16_sdwa v56, v36, v56 dst_sel:DWORD dst_unused:UNUSED_PAD src0_sel:DWORD src1_sel:WORD_1
	v_lshlrev_b16_e32 v59, 8, v60
	v_and_b32_e32 v15, 0xffffff00, v15
	v_sub_i16 v56, v56, v59 clamp
	v_or_b32_sdwa v15, v56, v15 dst_sel:WORD_1 dst_unused:UNUSED_PAD src0_sel:BYTE_1 src1_sel:DWORD
	v_lshrrev_b16_e32 v56, 5, v58
	v_or_b32_sdwa v15, v55, v15 dst_sel:DWORD dst_unused:UNUSED_PAD src0_sel:WORD_0 src1_sel:DWORD
	v_and_b32_e32 v55, 0x80000000, v48
	v_cmp_ne_u16_sdwa s[22:23], v55, v19 src0_sel:BYTE_3 src1_sel:DWORD
	v_bfe_i32 v56, v56, 0, 1
	v_lshrrev_b32_e32 v48, 22, v48
	v_cndmask_b32_e64 v55, 0, -1, s[22:23]
	v_bfe_i32 v48, v48, 0, 1
	v_lshlrev_b16_e32 v55, 8, v55
	v_lshlrev_b16_e32 v56, 8, v56
	v_or_b32_sdwa v58, v48, v55 dst_sel:WORD_1 dst_unused:UNUSED_PAD src0_sel:BYTE_0 src1_sel:DWORD
	v_or_b32_sdwa v59, v8, v56 dst_sel:DWORD dst_unused:UNUSED_PAD src0_sel:BYTE_0 src1_sel:DWORD
	v_or_b32_sdwa v58, v59, v58 dst_sel:DWORD dst_unused:UNUSED_PAD src0_sel:WORD_0 src1_sel:DWORD
	v_xor_b32_e32 v57, v57, v58
	v_and_b32_e32 v58, 0xffffff00, v57
	v_sub_i16 v56, v58, v56 clamp
	v_lshlrev_b16_e32 v58, 8, v57
	v_lshlrev_b16_e32 v8, 8, v8
	v_and_b32_e32 v56, 0xffffff00, v56
	v_sub_i16 v8, v58, v8 clamp
	v_or_b32_sdwa v8, v8, v56 dst_sel:DWORD dst_unused:UNUSED_PAD src0_sel:BYTE_1 src1_sel:DWORD
	v_and_b32_sdwa v56, v57, s21 dst_sel:DWORD dst_unused:UNUSED_PAD src0_sel:WORD_1 src1_sel:DWORD
	v_sub_i16 v55, v56, v55 clamp
	v_lshlrev_b16_sdwa v56, v36, v57 dst_sel:DWORD dst_unused:UNUSED_PAD src0_sel:DWORD src1_sel:WORD_1
	v_lshlrev_b16_e32 v48, 8, v48
	v_and_b32_e32 v55, 0xffffff00, v55
	v_sub_i16 v48, v56, v48 clamp
	v_or_b32_sdwa v48, v48, v55 dst_sel:WORD_1 dst_unused:UNUSED_PAD src0_sel:BYTE_1 src1_sel:DWORD
	v_lshlrev_b16_sdwa v55, v37, v49 dst_sel:DWORD dst_unused:UNUSED_PAD src0_sel:DWORD src1_sel:WORD_1
	v_or_b32_sdwa v48, v8, v48 dst_sel:DWORD dst_unused:UNUSED_PAD src0_sel:WORD_0 src1_sel:DWORD
	v_mov_b32_e32 v8, 0
	v_dot4c_i32_i8_e32 v8, v15, v9
	v_lshrrev_b32_e32 v9, 13, v49
	v_and_b32_e32 v9, 0xff8, v9
	global_load_dwordx2 v[56:57], v9, s[16:17]
	v_lshrrev_b32_e32 v9, 25, v49
	v_bcnt_u32_b32 v9, v9, 0
	v_and_b32_e32 v9, 1, v9
	v_alignbit_b32 v9, v9, v49, 25
	v_mul_lo_u32 v9, v9, s20
	v_dot4c_i32_i8_e32 v8, v48, v10
	v_and_b32_e32 v10, 0x8000000, v9
	v_lshrrev_b32_e32 v58, 8, v9
	v_lshrrev_b16_e32 v59, 1, v58
	v_cmp_ne_u16_sdwa s[16:17], v10, v19 src0_sel:BYTE_3 src1_sel:DWORD
	v_bfe_i32 v59, v59, 0, 1
	v_lshrrev_b32_e32 v60, 18, v9
	v_cndmask_b32_e64 v10, 0, -1, s[16:17]
	v_ashrrev_i16_e32 v55, 15, v55
	v_bfe_i32 v60, v60, 0, 1
	v_lshlrev_b16_e32 v10, 8, v10
	v_lshlrev_b16_e32 v59, 8, v59
	v_or_b32_sdwa v61, v60, v10 dst_sel:WORD_1 dst_unused:UNUSED_PAD src0_sel:BYTE_0 src1_sel:DWORD
	v_or_b32_sdwa v62, v55, v59 dst_sel:DWORD dst_unused:UNUSED_PAD src0_sel:BYTE_0 src1_sel:DWORD
	v_or_b32_sdwa v61, v62, v61 dst_sel:DWORD dst_unused:UNUSED_PAD src0_sel:WORD_0 src1_sel:DWORD
	v_lshlrev_b16_e32 v55, 8, v55
	v_bfe_i32 v49, v49, 29, 1
	s_waitcnt vmcnt(0)
	v_xor_b32_e32 v56, v56, v61
	v_and_b32_e32 v61, 0xffffff00, v56
	v_sub_i16 v59, v61, v59 clamp
	v_lshlrev_b16_e32 v61, 8, v56
	v_and_b32_e32 v59, 0xffffff00, v59
	v_sub_i16 v55, v61, v55 clamp
	v_or_b32_sdwa v55, v55, v59 dst_sel:DWORD dst_unused:UNUSED_PAD src0_sel:BYTE_1 src1_sel:DWORD
	v_and_b32_sdwa v59, v56, s21 dst_sel:DWORD dst_unused:UNUSED_PAD src0_sel:WORD_1 src1_sel:DWORD
	v_sub_i16 v10, v59, v10 clamp
	v_lshlrev_b16_sdwa v56, v36, v56 dst_sel:DWORD dst_unused:UNUSED_PAD src0_sel:DWORD src1_sel:WORD_1
	v_lshlrev_b16_e32 v59, 8, v60
	v_and_b32_e32 v10, 0xffffff00, v10
	v_sub_i16 v56, v56, v59 clamp
	v_or_b32_sdwa v10, v56, v10 dst_sel:WORD_1 dst_unused:UNUSED_PAD src0_sel:BYTE_1 src1_sel:DWORD
	v_lshrrev_b16_e32 v56, 5, v58
	v_or_b32_sdwa v10, v55, v10 dst_sel:DWORD dst_unused:UNUSED_PAD src0_sel:WORD_0 src1_sel:DWORD
	v_and_b32_e32 v55, 0x80000000, v9
	v_cmp_ne_u16_sdwa s[16:17], v55, v19 src0_sel:BYTE_3 src1_sel:DWORD
	v_bfe_i32 v56, v56, 0, 1
	v_lshrrev_b32_e32 v9, 22, v9
	v_cndmask_b32_e64 v55, 0, -1, s[16:17]
	v_bfe_i32 v9, v9, 0, 1
	v_lshlrev_b16_e32 v55, 8, v55
	v_lshlrev_b16_e32 v56, 8, v56
	v_or_b32_sdwa v58, v9, v55 dst_sel:WORD_1 dst_unused:UNUSED_PAD src0_sel:BYTE_0 src1_sel:DWORD
	v_or_b32_sdwa v59, v49, v56 dst_sel:DWORD dst_unused:UNUSED_PAD src0_sel:BYTE_0 src1_sel:DWORD
	v_or_b32_sdwa v58, v59, v58 dst_sel:DWORD dst_unused:UNUSED_PAD src0_sel:WORD_0 src1_sel:DWORD
	v_xor_b32_e32 v57, v57, v58
	v_and_b32_e32 v58, 0xffffff00, v57
	v_sub_i16 v56, v58, v56 clamp
	v_lshlrev_b16_e32 v58, 8, v57
	v_lshlrev_b16_e32 v49, 8, v49
	v_and_b32_e32 v56, 0xffffff00, v56
	v_sub_i16 v49, v58, v49 clamp
	v_or_b32_sdwa v49, v49, v56 dst_sel:DWORD dst_unused:UNUSED_PAD src0_sel:BYTE_1 src1_sel:DWORD
	v_and_b32_sdwa v56, v57, s21 dst_sel:DWORD dst_unused:UNUSED_PAD src0_sel:WORD_1 src1_sel:DWORD
	v_sub_i16 v55, v56, v55 clamp
	v_lshlrev_b16_sdwa v56, v36, v57 dst_sel:DWORD dst_unused:UNUSED_PAD src0_sel:DWORD src1_sel:WORD_1
	v_lshlrev_b16_e32 v9, 8, v9
	v_and_b32_e32 v55, 0xffffff00, v55
	v_sub_i16 v9, v56, v9 clamp
	v_or_b32_sdwa v9, v9, v55 dst_sel:WORD_1 dst_unused:UNUSED_PAD src0_sel:BYTE_1 src1_sel:DWORD
	v_dot4c_i32_i8_e32 v8, v10, v11
	v_or_b32_sdwa v49, v49, v9 dst_sel:DWORD dst_unused:UNUSED_PAD src0_sel:WORD_0 src1_sel:DWORD
	v_dot4c_i32_i8_e32 v8, v49, v54
	global_load_ushort v9, v[30:31], off
	global_load_ubyte v54, v[28:29], off offset:66
	global_load_ubyte v55, v[32:33], off offset:66
	s_waitcnt vmcnt(2)
	v_cvt_f32_f16_e32 v9, v9
	s_waitcnt vmcnt(1)
	v_and_b32_e32 v30, 15, v54
	s_waitcnt vmcnt(0)
	v_lshrrev_b32_e32 v11, 4, v55
	v_lshrrev_b32_e32 v28, 4, v54
	v_mul_lo_u32 v31, v50, v30
	v_add_u32_e32 v50, v51, v50
	v_mul_lo_u32 v33, v51, v28
	v_mul_lo_u32 v54, v8, v11
	v_add_u32_e32 v8, v8, v53
	v_lshrrev_b32_e32 v51, 31, v50
	v_add_u32_e32 v50, v50, v51
	v_lshrrev_b32_e32 v51, 31, v8
	v_and_b32_e32 v29, 15, v55
	v_ashrrev_i32_e32 v50, 1, v50
	v_add_u32_e32 v8, v8, v51
	v_mul_lo_u32 v32, v53, v29
	v_ashrrev_i32_e32 v8, 1, v8
	v_add3_u32 v31, v33, v31, v50
	v_add3_u32 v8, v54, v32, v8
	v_ashrrev_i32_e32 v32, 31, v31
	v_lshrrev_b32_e32 v32, 30, v32
	v_add_u32_e32 v31, v31, v32
	v_ashrrev_i32_e32 v32, 31, v8
	v_lshrrev_b32_e32 v32, 30, v32
	v_add_u32_e32 v8, v8, v32
	v_ashrrev_i32_e32 v31, 2, v31
	v_ashrrev_i32_e32 v50, 2, v8
	v_cvt_f32_f16_e32 v8, v52
	v_cvt_f32_i32_e32 v51, v50
	v_cvt_f32_i32_e32 v50, v31
	v_pk_mul_f32 v[32:33], v[12:13], v[8:9] op_sel_hi:[0,1]
	v_pk_fma_f32 v[0:1], v[32:33], v[50:51], v[0:1]
	v_mad_u64_u32 v[32:33], s[16:17], v35, 36, s[24:25]
	v_mad_u64_u32 v[32:33], s[16:17], v18, 36, v[32:33]
	global_load_dword v31, v[32:33], off offset:32
	global_load_dwordx4 v[50:53], v[32:33], off offset:16
	global_load_dwordx4 v[54:57], v[32:33], off
	v_mov_b32_e32 v32, 0
	v_mov_b32_e32 v33, 0
	v_add_u32_e32 v35, 0x80, v35
	s_waitcnt vmcnt(1)
	v_dot4c_i32_i8_e32 v33, v42, v51
	s_waitcnt vmcnt(0)
	v_cvt_f32_f16_e32 v12, v54
	v_mov_b32_e32 v54, 0
	v_dot4c_i32_i8_e32 v32, v38, v55
	v_dot4c_i32_i8_e32 v54, v46, v55
	;; [unrolled: 1-line block ×8, first 2 shown]
	v_mov_b32_e32 v50, 0
	v_dot4c_i32_i8_e32 v33, v43, v52
	v_dot4c_i32_i8_e32 v50, v15, v51
	;; [unrolled: 1-line block ×7, first 2 shown]
	v_mul_lo_u32 v31, v32, v30
	v_add_u32_e32 v32, v33, v32
	v_mul_lo_u32 v52, v33, v28
	v_lshrrev_b32_e32 v33, 31, v32
	v_mul_lo_u32 v53, v50, v11
	v_add_u32_e32 v50, v50, v54
	v_add_u32_e32 v32, v32, v33
	v_ashrrev_i32_e32 v32, 1, v32
	v_lshrrev_b32_e32 v33, 31, v50
	v_add_u32_e32 v33, v50, v33
	v_add3_u32 v31, v52, v31, v32
	v_mul_lo_u32 v51, v54, v29
	v_ashrrev_i32_e32 v33, 1, v33
	v_ashrrev_i32_e32 v32, 31, v31
	v_add3_u32 v33, v53, v51, v33
	v_lshrrev_b32_e32 v32, 30, v32
	v_add_u32_e32 v31, v31, v32
	v_ashrrev_i32_e32 v32, 31, v33
	v_lshrrev_b32_e32 v32, 30, v32
	v_add_u32_e32 v32, v33, v32
	v_ashrrev_i32_e32 v31, 2, v31
	v_ashrrev_i32_e32 v50, 2, v32
	v_cvt_f32_i32_e32 v51, v50
	v_cvt_f32_i32_e32 v50, v31
	v_pk_mul_f32 v[32:33], v[12:13], v[8:9] op_sel_hi:[0,1]
	v_pk_fma_f32 v[2:3], v[32:33], v[50:51], v[2:3]
	v_mad_u64_u32 v[32:33], s[16:17], v21, 36, s[24:25]
	v_mad_u64_u32 v[32:33], s[16:17], v18, 36, v[32:33]
	global_load_dword v31, v[32:33], off offset:32
	global_load_dwordx4 v[50:53], v[32:33], off offset:16
	global_load_dwordx4 v[54:57], v[32:33], off
	v_mov_b32_e32 v32, 0
	v_mov_b32_e32 v33, 0
	v_add_u32_e32 v21, 0x80, v21
	s_waitcnt vmcnt(1)
	v_dot4c_i32_i8_e32 v33, v42, v51
	s_waitcnt vmcnt(0)
	v_cvt_f32_f16_e32 v12, v54
	v_mov_b32_e32 v54, 0
	v_dot4c_i32_i8_e32 v32, v38, v55
	v_dot4c_i32_i8_e32 v54, v46, v55
	;; [unrolled: 1-line block ×8, first 2 shown]
	v_mov_b32_e32 v50, 0
	v_dot4c_i32_i8_e32 v33, v43, v52
	v_dot4c_i32_i8_e32 v50, v15, v51
	;; [unrolled: 1-line block ×7, first 2 shown]
	v_mul_lo_u32 v31, v32, v30
	v_add_u32_e32 v32, v33, v32
	v_mul_lo_u32 v52, v33, v28
	v_lshrrev_b32_e32 v33, 31, v32
	v_mul_lo_u32 v53, v50, v11
	v_add_u32_e32 v50, v50, v54
	v_add_u32_e32 v32, v32, v33
	v_ashrrev_i32_e32 v32, 1, v32
	v_lshrrev_b32_e32 v33, 31, v50
	v_add_u32_e32 v33, v50, v33
	v_add3_u32 v31, v52, v31, v32
	v_mul_lo_u32 v51, v54, v29
	v_ashrrev_i32_e32 v33, 1, v33
	v_ashrrev_i32_e32 v32, 31, v31
	v_add3_u32 v33, v53, v51, v33
	v_lshrrev_b32_e32 v32, 30, v32
	v_add_u32_e32 v31, v31, v32
	v_ashrrev_i32_e32 v32, 31, v33
	v_lshrrev_b32_e32 v32, 30, v32
	v_add_u32_e32 v32, v33, v32
	v_ashrrev_i32_e32 v31, 2, v31
	v_ashrrev_i32_e32 v50, 2, v32
	v_cvt_f32_i32_e32 v51, v50
	v_cvt_f32_i32_e32 v50, v31
	v_pk_mul_f32 v[32:33], v[12:13], v[8:9] op_sel_hi:[0,1]
	v_pk_fma_f32 v[4:5], v[32:33], v[50:51], v[4:5]
	v_mad_u64_u32 v[32:33], s[16:17], v20, 36, s[24:25]
	v_mad_u64_u32 v[32:33], s[16:17], v18, 36, v[32:33]
	global_load_dword v31, v[32:33], off offset:32
	global_load_dwordx4 v[50:53], v[32:33], off offset:16
	global_load_dwordx4 v[54:57], v[32:33], off
	v_mov_b32_e32 v32, 0
	v_mov_b32_e32 v33, 0
	v_add_u32_e32 v20, 0x80, v20
	s_waitcnt vmcnt(1)
	v_dot4c_i32_i8_e32 v33, v42, v51
	s_waitcnt vmcnt(0)
	v_dot4c_i32_i8_e32 v32, v38, v55
	v_mov_b32_e32 v38, 0
	v_dot4c_i32_i8_e32 v38, v46, v55
	v_dot4c_i32_i8_e32 v38, v47, v56
	;; [unrolled: 1-line block ×3, first 2 shown]
	v_mov_b32_e32 v13, 0
	v_dot4c_i32_i8_e32 v32, v39, v56
	v_dot4c_i32_i8_e32 v33, v43, v52
	;; [unrolled: 1-line block ×11, first 2 shown]
	v_mul_lo_u32 v15, v33, v28
	v_add_u32_e32 v28, v33, v32
	v_mul_lo_u32 v14, v38, v29
	v_mul_lo_u32 v11, v13, v11
	v_add_u32_e32 v13, v13, v38
	v_lshrrev_b32_e32 v29, 31, v28
	v_add_u32_e32 v28, v28, v29
	v_lshrrev_b32_e32 v29, 31, v13
	v_mul_lo_u32 v10, v32, v30
	v_ashrrev_i32_e32 v28, 1, v28
	v_add_u32_e32 v13, v13, v29
	v_ashrrev_i32_e32 v13, 1, v13
	v_add3_u32 v10, v15, v10, v28
	v_add3_u32 v11, v11, v14, v13
	v_ashrrev_i32_e32 v13, 31, v10
	v_lshrrev_b32_e32 v13, 30, v13
	v_add_u32_e32 v10, v10, v13
	v_ashrrev_i32_e32 v13, 31, v11
	v_lshrrev_b32_e32 v13, 30, v13
	v_add_u32_e32 v11, v11, v13
	v_cvt_f32_f16_e32 v12, v54
	v_ashrrev_i32_e32 v10, 2, v10
	v_ashrrev_i32_e32 v11, 2, v11
	v_cvt_f32_i32_e32 v11, v11
	v_cvt_f32_i32_e32 v10, v10
	v_pk_mul_f32 v[8:9], v[12:13], v[8:9] op_sel_hi:[0,1]
	v_pk_fma_f32 v[6:7], v[8:9], v[10:11], v[6:7]
	s_andn2_b64 exec, exec, s[8:9]
	s_cbranch_execnz .LBB175_2
; %bb.3:
	s_or_b64 exec, exec, s[8:9]
	scratch_store_dwordx4 off, v[0:3], off
	scratch_store_dwordx4 off, v[4:7], off offset:16
.LBB175_4:
	s_or_b64 exec, exec, s[6:7]
	v_cmp_eq_u32_e32 vcc, 0, v17
	v_cmp_ne_u32_e64 s[6:7], 0, v17
	v_lshlrev_b32_e32 v8, 2, v16
	s_and_saveexec_b64 s[8:9], s[6:7]
	s_cbranch_execz .LBB175_6
; %bb.5:
	v_lshlrev_b32_e32 v9, 11, v17
	s_movk_i32 s2, 0xf800
	v_add3_u32 v9, v9, v8, s2
	ds_write2st64_b32 v9, v0, v1 offset1:1
	ds_write2st64_b32 v9, v2, v3 offset0:2 offset1:3
	ds_write2st64_b32 v9, v4, v5 offset0:4 offset1:5
	;; [unrolled: 1-line block ×3, first 2 shown]
.LBB175_6:
	s_or_b64 exec, exec, s[8:9]
	s_waitcnt lgkmcnt(0)
	s_barrier
	s_and_saveexec_b64 s[6:7], vcc
	s_cbranch_execz .LBB175_15
; %bb.7:
	scratch_load_dwordx2 v[2:3], off, off
	v_mbcnt_lo_u32_b32 v0, -1, 0
	ds_read2st64_b32 v[4:5], v8 offset1:1
	v_mbcnt_hi_u32_b32 v9, -1, v0
	v_and_b32_e32 v0, 64, v9
	v_xor_b32_e32 v1, 32, v9
	v_add_u32_e32 v12, 64, v0
	v_cmp_lt_i32_e32 vcc, v1, v12
	v_xor_b32_e32 v6, 16, v9
	v_xor_b32_e32 v10, 8, v9
	v_cndmask_b32_e32 v0, v9, v1, vcc
	v_lshlrev_b32_e32 v0, 2, v0
	v_cmp_lt_i32_e32 vcc, v6, v12
	v_xor_b32_e32 v11, 4, v9
	v_xor_b32_e32 v13, 2, v9
	v_cndmask_b32_e32 v1, v9, v6, vcc
	v_lshlrev_b32_e32 v1, 2, v1
	v_cmp_lt_i32_e32 vcc, v10, v12
	v_xor_b32_e32 v14, 1, v9
	s_load_dwordx2 s[0:1], s[0:1], 0x38
	s_mul_i32 s2, s3, s14
	s_mul_i32 s4, s4, s18
	s_add_i32 s2, s2, s5
	s_mov_b32 s3, 0
	s_add_i32 s2, s2, s4
	s_lshl_b64 s[2:3], s[2:3], 2
	s_waitcnt lgkmcnt(0)
	s_add_u32 s2, s0, s2
	s_addc_u32 s3, s1, s3
	s_waitcnt vmcnt(0)
	v_pk_add_f32 v[2:3], v[4:5], v[2:3]
	ds_bpermute_b32 v4, v0, v2
	ds_bpermute_b32 v5, v0, v3
	s_waitcnt lgkmcnt(0)
	v_pk_add_f32 v[4:5], v[2:3], v[4:5]
	ds_bpermute_b32 v6, v1, v4
	ds_bpermute_b32 v7, v1, v5
	v_cndmask_b32_e32 v2, v9, v10, vcc
	v_lshlrev_b32_e32 v2, 2, v2
	v_cmp_lt_i32_e32 vcc, v11, v12
	s_waitcnt lgkmcnt(0)
	v_pk_add_f32 v[4:5], v[4:5], v[6:7]
	ds_bpermute_b32 v6, v2, v4
	ds_bpermute_b32 v7, v2, v5
	v_cndmask_b32_e32 v3, v9, v11, vcc
	v_lshlrev_b32_e32 v3, 2, v3
	v_cmp_lt_i32_e32 vcc, v13, v12
	;; [unrolled: 7-line block ×3, first 2 shown]
	s_waitcnt lgkmcnt(0)
	v_pk_add_f32 v[6:7], v[6:7], v[10:11]
	ds_bpermute_b32 v10, v4, v6
	ds_bpermute_b32 v11, v4, v7
	v_cndmask_b32_e32 v5, v9, v14, vcc
	v_lshlrev_b32_e32 v5, 2, v5
	v_or_b32_e32 v9, s5, v16
	v_cmp_gt_u32_e32 vcc, 2, v16
	s_waitcnt lgkmcnt(0)
	v_pk_add_f32 v[6:7], v[6:7], v[10:11]
	ds_bpermute_b32 v10, v5, v6
	ds_bpermute_b32 v11, v5, v7
	v_cmp_gt_u32_e64 s[0:1], s10, v9
	s_and_b64 s[0:1], vcc, s[0:1]
	s_waitcnt lgkmcnt(0)
	v_pk_add_f32 v[6:7], v[6:7], v[10:11]
	scratch_store_dwordx2 off, v[6:7], off
	s_and_saveexec_b64 s[4:5], s[0:1]
	s_cbranch_execz .LBB175_9
; %bb.8:
	scratch_load_dword v6, v8, off
	s_waitcnt vmcnt(0)
	global_store_dword v8, v6, s[2:3]
.LBB175_9:
	s_or_b64 exec, exec, s[4:5]
	scratch_load_dwordx2 v[6:7], off, off offset:8
	ds_read2st64_b32 v[10:11], v8 offset0:2 offset1:3
	s_waitcnt vmcnt(0) lgkmcnt(0)
	v_pk_add_f32 v[6:7], v[10:11], v[6:7]
	ds_bpermute_b32 v10, v0, v6
	ds_bpermute_b32 v11, v0, v7
	s_waitcnt lgkmcnt(0)
	v_pk_add_f32 v[6:7], v[6:7], v[10:11]
	ds_bpermute_b32 v10, v1, v6
	ds_bpermute_b32 v11, v1, v7
	s_waitcnt lgkmcnt(0)
	;; [unrolled: 4-line block ×6, first 2 shown]
	v_pk_add_f32 v[6:7], v[6:7], v[10:11]
	scratch_store_dwordx2 off, v[6:7], off offset:8
	s_and_saveexec_b64 s[4:5], s[0:1]
	s_cbranch_execz .LBB175_11
; %bb.10:
	scratch_load_dword v9, v8, off offset:8
	v_add_u32_e32 v6, s10, v16
	v_mov_b32_e32 v7, 0
	v_lshl_add_u64 v[6:7], v[6:7], 2, s[2:3]
	s_waitcnt vmcnt(0)
	global_store_dword v[6:7], v9, off
.LBB175_11:
	s_or_b64 exec, exec, s[4:5]
	scratch_load_dwordx2 v[6:7], off, off offset:16
	ds_read2st64_b32 v[10:11], v8 offset0:4 offset1:5
	s_waitcnt vmcnt(0) lgkmcnt(0)
	v_pk_add_f32 v[6:7], v[10:11], v[6:7]
	ds_bpermute_b32 v10, v0, v6
	ds_bpermute_b32 v11, v0, v7
	s_waitcnt lgkmcnt(0)
	v_pk_add_f32 v[6:7], v[6:7], v[10:11]
	ds_bpermute_b32 v10, v1, v6
	ds_bpermute_b32 v11, v1, v7
	s_waitcnt lgkmcnt(0)
	;; [unrolled: 4-line block ×6, first 2 shown]
	v_pk_add_f32 v[6:7], v[6:7], v[10:11]
	scratch_store_dwordx2 off, v[6:7], off offset:16
	s_and_saveexec_b64 s[4:5], s[0:1]
	s_cbranch_execz .LBB175_13
; %bb.12:
	scratch_load_dword v9, v8, off offset:16
	v_lshl_or_b32 v6, s10, 1, v16
	v_mov_b32_e32 v7, 0
	v_lshl_add_u64 v[6:7], v[6:7], 2, s[2:3]
	s_waitcnt vmcnt(0)
	global_store_dword v[6:7], v9, off
.LBB175_13:
	s_or_b64 exec, exec, s[4:5]
	scratch_load_dwordx2 v[6:7], off, off offset:24
	ds_read2st64_b32 v[10:11], v8 offset0:6 offset1:7
	s_waitcnt vmcnt(0) lgkmcnt(0)
	v_pk_add_f32 v[6:7], v[10:11], v[6:7]
	ds_bpermute_b32 v10, v0, v6
	ds_bpermute_b32 v11, v0, v7
	s_waitcnt lgkmcnt(0)
	v_pk_add_f32 v[6:7], v[6:7], v[10:11]
	ds_bpermute_b32 v0, v1, v6
	ds_bpermute_b32 v1, v1, v7
	s_waitcnt lgkmcnt(0)
	;; [unrolled: 4-line block ×6, first 2 shown]
	v_pk_add_f32 v[0:1], v[0:1], v[2:3]
	scratch_store_dwordx2 off, v[0:1], off offset:24
	s_and_b64 exec, exec, s[0:1]
	s_cbranch_execz .LBB175_15
; %bb.14:
	scratch_load_dword v2, v8, off offset:24
	v_mad_u64_u32 v[0:1], s[0:1], s10, 3, v[16:17]
	v_mov_b32_e32 v1, 0
	v_lshl_add_u64 v[0:1], v[0:1], 2, s[2:3]
	s_waitcnt vmcnt(0)
	global_store_dword v[0:1], v2, off
.LBB175_15:
	s_endpgm
	.section	.rodata,"a",@progbits
	.p2align	6, 0x0
	.amdhsa_kernel _ZL13mul_mat_vec_qIL9ggml_type17ELi4ELb0ELb0EEvPKvS2_PKi31ggml_cuda_mm_fusion_args_devicePfj15HIP_vector_typeIjLj3EEjjjS8_jjjS8_jjjj
		.amdhsa_group_segment_fixed_size 2048
		.amdhsa_private_segment_fixed_size 48
		.amdhsa_kernarg_size 144
		.amdhsa_user_sgpr_count 2
		.amdhsa_user_sgpr_dispatch_ptr 0
		.amdhsa_user_sgpr_queue_ptr 0
		.amdhsa_user_sgpr_kernarg_segment_ptr 1
		.amdhsa_user_sgpr_dispatch_id 0
		.amdhsa_user_sgpr_kernarg_preload_length 0
		.amdhsa_user_sgpr_kernarg_preload_offset 0
		.amdhsa_user_sgpr_private_segment_size 0
		.amdhsa_uses_dynamic_stack 0
		.amdhsa_enable_private_segment 1
		.amdhsa_system_sgpr_workgroup_id_x 1
		.amdhsa_system_sgpr_workgroup_id_y 1
		.amdhsa_system_sgpr_workgroup_id_z 1
		.amdhsa_system_sgpr_workgroup_info 0
		.amdhsa_system_vgpr_workitem_id 1
		.amdhsa_next_free_vgpr 63
		.amdhsa_next_free_sgpr 30
		.amdhsa_accum_offset 64
		.amdhsa_reserve_vcc 1
		.amdhsa_float_round_mode_32 0
		.amdhsa_float_round_mode_16_64 0
		.amdhsa_float_denorm_mode_32 3
		.amdhsa_float_denorm_mode_16_64 3
		.amdhsa_dx10_clamp 1
		.amdhsa_ieee_mode 1
		.amdhsa_fp16_overflow 0
		.amdhsa_tg_split 0
		.amdhsa_exception_fp_ieee_invalid_op 0
		.amdhsa_exception_fp_denorm_src 0
		.amdhsa_exception_fp_ieee_div_zero 0
		.amdhsa_exception_fp_ieee_overflow 0
		.amdhsa_exception_fp_ieee_underflow 0
		.amdhsa_exception_fp_ieee_inexact 0
		.amdhsa_exception_int_div_zero 0
	.end_amdhsa_kernel
	.section	.text._ZL13mul_mat_vec_qIL9ggml_type17ELi4ELb0ELb0EEvPKvS2_PKi31ggml_cuda_mm_fusion_args_devicePfj15HIP_vector_typeIjLj3EEjjjS8_jjjS8_jjjj,"axG",@progbits,_ZL13mul_mat_vec_qIL9ggml_type17ELi4ELb0ELb0EEvPKvS2_PKi31ggml_cuda_mm_fusion_args_devicePfj15HIP_vector_typeIjLj3EEjjjS8_jjjS8_jjjj,comdat
.Lfunc_end175:
	.size	_ZL13mul_mat_vec_qIL9ggml_type17ELi4ELb0ELb0EEvPKvS2_PKi31ggml_cuda_mm_fusion_args_devicePfj15HIP_vector_typeIjLj3EEjjjS8_jjjS8_jjjj, .Lfunc_end175-_ZL13mul_mat_vec_qIL9ggml_type17ELi4ELb0ELb0EEvPKvS2_PKi31ggml_cuda_mm_fusion_args_devicePfj15HIP_vector_typeIjLj3EEjjjS8_jjjS8_jjjj
                                        ; -- End function
	.section	.AMDGPU.csdata,"",@progbits
; Kernel info:
; codeLenInByte = 6720
; NumSgprs: 36
; NumVgprs: 63
; NumAgprs: 0
; TotalNumVgprs: 63
; ScratchSize: 48
; MemoryBound: 0
; FloatMode: 240
; IeeeMode: 1
; LDSByteSize: 2048 bytes/workgroup (compile time only)
; SGPRBlocks: 4
; VGPRBlocks: 7
; NumSGPRsForWavesPerEU: 36
; NumVGPRsForWavesPerEU: 63
; AccumOffset: 64
; Occupancy: 8
; WaveLimiterHint : 0
; COMPUTE_PGM_RSRC2:SCRATCH_EN: 1
; COMPUTE_PGM_RSRC2:USER_SGPR: 2
; COMPUTE_PGM_RSRC2:TRAP_HANDLER: 0
; COMPUTE_PGM_RSRC2:TGID_X_EN: 1
; COMPUTE_PGM_RSRC2:TGID_Y_EN: 1
; COMPUTE_PGM_RSRC2:TGID_Z_EN: 1
; COMPUTE_PGM_RSRC2:TIDIG_COMP_CNT: 1
; COMPUTE_PGM_RSRC3_GFX90A:ACCUM_OFFSET: 15
; COMPUTE_PGM_RSRC3_GFX90A:TG_SPLIT: 0
	.section	.text._ZL13mul_mat_vec_qIL9ggml_type17ELi5ELb0ELb0EEvPKvS2_PKi31ggml_cuda_mm_fusion_args_devicePfj15HIP_vector_typeIjLj3EEjjjS8_jjjS8_jjjj,"axG",@progbits,_ZL13mul_mat_vec_qIL9ggml_type17ELi5ELb0ELb0EEvPKvS2_PKi31ggml_cuda_mm_fusion_args_devicePfj15HIP_vector_typeIjLj3EEjjjS8_jjjS8_jjjj,comdat
	.globl	_ZL13mul_mat_vec_qIL9ggml_type17ELi5ELb0ELb0EEvPKvS2_PKi31ggml_cuda_mm_fusion_args_devicePfj15HIP_vector_typeIjLj3EEjjjS8_jjjS8_jjjj ; -- Begin function _ZL13mul_mat_vec_qIL9ggml_type17ELi5ELb0ELb0EEvPKvS2_PKi31ggml_cuda_mm_fusion_args_devicePfj15HIP_vector_typeIjLj3EEjjjS8_jjjS8_jjjj
	.p2align	8
	.type	_ZL13mul_mat_vec_qIL9ggml_type17ELi5ELb0ELb0EEvPKvS2_PKi31ggml_cuda_mm_fusion_args_devicePfj15HIP_vector_typeIjLj3EEjjjS8_jjjS8_jjjj,@function
_ZL13mul_mat_vec_qIL9ggml_type17ELi5ELb0ELb0EEvPKvS2_PKi31ggml_cuda_mm_fusion_args_devicePfj15HIP_vector_typeIjLj3EEjjjS8_jjjS8_jjjj: ; @_ZL13mul_mat_vec_qIL9ggml_type17ELi5ELb0ELb0EEvPKvS2_PKi31ggml_cuda_mm_fusion_args_devicePfj15HIP_vector_typeIjLj3EEjjjS8_jjjS8_jjjj
; %bb.0:
	v_bfe_u32 v17, v0, 10, 10
	v_and_b32_e32 v16, 0x3ff, v0
	s_mov_b32 s20, 0
	s_load_dword s5, s[0:1], 0x40
	s_load_dwordx4 s[8:11], s[0:1], 0x50
	s_load_dword s27, s[0:1], 0x60
	s_load_dwordx4 s[12:15], s[0:1], 0x68
	;; [unrolled: 2-line block ×3, first 2 shown]
	v_lshl_or_b32 v4, v17, 6, v16
	s_mov_b32 s21, s20
	s_waitcnt lgkmcnt(0)
	s_lshr_b32 s5, s5, 8
	v_mov_b32_e32 v19, 0
	s_mov_b32 s22, s20
	s_mov_b32 s23, s20
	v_mov_b64_e32 v[0:1], s[20:21]
	v_lshrrev_b32_e32 v34, 3, v4
	s_lshl_b32 s2, s2, 1
	v_mov_b32_e32 v18, v19
	v_mov_b64_e32 v[2:3], s[22:23]
	v_cmp_gt_u32_e32 vcc, s5, v34
	scratch_store_dwordx2 off, v[18:19], off offset:32
	scratch_store_dwordx4 off, v[0:3], off offset:16
	scratch_store_dwordx4 off, v[0:3], off
	s_and_saveexec_b64 s[6:7], vcc
	s_cbranch_execz .LBB176_4
; %bb.1:
	s_load_dwordx4 s[20:23], s[0:1], 0x0
	s_mul_i32 s17, s4, s17
	s_mul_i32 s24, s17, 36
	;; [unrolled: 1-line block ×3, first 2 shown]
	s_mul_hi_u32 s19, s17, 36
	s_waitcnt lgkmcnt(0)
	s_add_u32 s24, s22, s24
	s_addc_u32 s19, s23, s19
	s_mul_i32 s28, s13, 36
	s_mul_hi_u32 s29, s13, 36
	s_add_u32 s24, s24, s28
	s_mul_hi_u32 s11, s11, s3
	s_addc_u32 s25, s19, s29
	s_add_i32 s11, s3, s11
	s_lshr_b32 s11, s11, s27
	s_mul_i32 s11, s11, s12
	s_mul_hi_u32 s12, s15, s4
	s_add_i32 s12, s4, s12
	s_lshr_b32 s12, s12, s26
	s_mul_i32 s12, s12, s16
	s_mul_i32 s13, s2, s8
	s_add_i32 s12, s12, s11
	s_add_i32 s11, s12, s13
	;; [unrolled: 1-line block ×3, first 2 shown]
	s_mul_i32 s8, s8, s13
	v_lshl_add_u32 v1, v17, 6, v16
	s_add_i32 s8, s12, s8
	v_lshrrev_b32_e32 v1, 3, v1
	s_movk_i32 s12, 0x120
	v_mov_b64_e32 v[2:3], s[28:29]
	v_mad_u64_u32 v[2:3], s[12:13], v1, s12, v[2:3]
	v_lshlrev_b32_e32 v0, 1, v16
	v_and_b32_e32 v18, 7, v16
	v_mad_u64_u32 v[2:3], s[12:13], s17, 36, v[2:3]
	v_and_b32_e32 v0, 14, v0
	v_mad_u64_u32 v[2:3], s[12:13], v18, 36, v[2:3]
	v_lshlrev_b32_e32 v0, 1, v0
	v_lshl_add_u64 v[2:3], v[2:3], 0, s[22:23]
	v_lshlrev_b32_e32 v35, 3, v34
	s_lshl_b32 s15, s9, 2
	s_mul_i32 s19, s9, 3
	s_lshl_b32 s26, s9, 1
	v_lshl_add_u64 v[20:21], v[2:3], 0, 16
	s_mov_b64 s[12:13], 0
	s_movk_i32 s22, 0x4a
	v_mov_b64_e32 v[22:23], s[20:21]
	v_lshlrev_b32_e32 v26, 1, v0
	v_mov_b32_e32 v27, v19
	s_mov_b32 s23, 0x1010101
	s_movk_i32 s27, 0xff00
	s_mov_b64 s[16:17], 0x900
	v_mov_b32_e32 v36, 8
	v_mov_b32_e32 v37, 6
	;; [unrolled: 1-line block ×12, first 2 shown]
.LBB176_2:                              ; =>This Inner Loop Header: Depth=1
	v_add_u32_e32 v28, s11, v34
	v_mad_i64_i32 v[30:31], s[20:21], v28, s22, v[22:23]
	v_lshl_add_u64 v[28:29], v[30:31], 0, v[26:27]
	global_load_dword v54, v[20:21], off offset:16
	global_load_dwordx4 v[8:11], v[20:21], off
	global_load_dwordx4 v[12:15], v[20:21], off offset:-16
	global_load_dwordx2 v[32:33], v[28:29], off offset:2
	s_getpc_b64 s[20:21]
	s_add_u32 s20, s20, _ZL10iq2xs_grid@rel32@lo+4
	s_addc_u32 s21, s21, _ZL10iq2xs_grid@rel32@hi+12
	v_lshl_add_u64 v[28:29], v[30:31], 0, v[18:19]
	v_mov_b32_e32 v50, 0
	v_lshl_add_u64 v[20:21], v[20:21], 0, s[16:17]
	s_waitcnt vmcnt(1)
	v_cvt_f32_f16_e32 v12, v12
	s_waitcnt vmcnt(0)
	v_and_b32_e32 v38, 0x1ff, v32
	v_lshlrev_b32_e32 v38, 3, v38
	global_load_dwordx2 v[38:39], v38, s[20:21]
	v_lshrrev_b16_e32 v40, 9, v32
	v_bcnt_u32_b32 v41, v40, 0
	v_and_b32_e32 v41, 1, v41
	v_lshl_or_b32 v41, v41, 7, v40
	v_mul_lo_u32 v41, v41, s23
	v_and_b32_e32 v42, 0x8000000, v41
	v_lshrrev_b32_e32 v44, 8, v41
	v_lshrrev_b16_e32 v45, 1, v44
	v_cmp_ne_u16_sdwa s[28:29], v42, v19 src0_sel:BYTE_3 src1_sel:DWORD
	v_lshlrev_b16_e32 v43, 6, v32
	v_bfe_i32 v45, v45, 0, 1
	v_lshrrev_b32_e32 v46, 18, v41
	v_cndmask_b32_e64 v42, 0, -1, s[28:29]
	v_ashrrev_i16_e32 v43, 15, v43
	v_bfe_i32 v46, v46, 0, 1
	v_lshlrev_b16_e32 v42, 8, v42
	v_lshlrev_b16_e32 v45, 8, v45
	v_or_b32_sdwa v47, v46, v42 dst_sel:WORD_1 dst_unused:UNUSED_PAD src0_sel:BYTE_0 src1_sel:DWORD
	v_or_b32_sdwa v48, v43, v45 dst_sel:DWORD dst_unused:UNUSED_PAD src0_sel:BYTE_0 src1_sel:DWORD
	v_or_b32_sdwa v47, v48, v47 dst_sel:DWORD dst_unused:UNUSED_PAD src0_sel:WORD_0 src1_sel:DWORD
	v_lshlrev_b16_e32 v43, 8, v43
	v_bfe_i32 v40, v40, 4, 1
	s_waitcnt vmcnt(0)
	v_xor_b32_e32 v38, v38, v47
	v_and_b32_e32 v47, 0xffffff00, v38
	v_sub_i16 v45, v47, v45 clamp
	v_lshlrev_b16_e32 v47, 8, v38
	v_and_b32_e32 v45, 0xffffff00, v45
	v_sub_i16 v43, v47, v43 clamp
	v_or_b32_sdwa v43, v43, v45 dst_sel:DWORD dst_unused:UNUSED_PAD src0_sel:BYTE_1 src1_sel:DWORD
	v_and_b32_sdwa v45, v38, s27 dst_sel:DWORD dst_unused:UNUSED_PAD src0_sel:WORD_1 src1_sel:DWORD
	v_sub_i16 v42, v45, v42 clamp
	v_lshlrev_b16_sdwa v38, v36, v38 dst_sel:DWORD dst_unused:UNUSED_PAD src0_sel:DWORD src1_sel:WORD_1
	v_lshlrev_b16_e32 v45, 8, v46
	v_and_b32_e32 v42, 0xffffff00, v42
	v_sub_i16 v38, v38, v45 clamp
	v_or_b32_sdwa v38, v38, v42 dst_sel:WORD_1 dst_unused:UNUSED_PAD src0_sel:BYTE_1 src1_sel:DWORD
	v_and_b32_e32 v42, 0x80000000, v41
	v_or_b32_sdwa v38, v43, v38 dst_sel:DWORD dst_unused:UNUSED_PAD src0_sel:WORD_0 src1_sel:DWORD
	v_lshrrev_b16_e32 v43, 5, v44
	v_cmp_ne_u16_sdwa s[28:29], v42, v19 src0_sel:BYTE_3 src1_sel:DWORD
	v_bfe_i32 v43, v43, 0, 1
	v_lshrrev_b32_e32 v41, 22, v41
	v_cndmask_b32_e64 v42, 0, -1, s[28:29]
	v_bfe_i32 v41, v41, 0, 1
	v_lshlrev_b16_e32 v42, 8, v42
	v_lshlrev_b16_e32 v43, 8, v43
	v_or_b32_sdwa v44, v41, v42 dst_sel:WORD_1 dst_unused:UNUSED_PAD src0_sel:BYTE_0 src1_sel:DWORD
	v_or_b32_sdwa v45, v40, v43 dst_sel:DWORD dst_unused:UNUSED_PAD src0_sel:BYTE_0 src1_sel:DWORD
	v_or_b32_sdwa v44, v45, v44 dst_sel:DWORD dst_unused:UNUSED_PAD src0_sel:WORD_0 src1_sel:DWORD
	v_xor_b32_e32 v39, v39, v44
	v_and_b32_e32 v44, 0xffffff00, v39
	v_sub_i16 v43, v44, v43 clamp
	v_lshlrev_b16_e32 v44, 8, v39
	v_lshlrev_b16_e32 v40, 8, v40
	v_and_b32_e32 v43, 0xffffff00, v43
	v_sub_i16 v40, v44, v40 clamp
	v_or_b32_sdwa v40, v40, v43 dst_sel:DWORD dst_unused:UNUSED_PAD src0_sel:BYTE_1 src1_sel:DWORD
	v_and_b32_sdwa v43, v39, s27 dst_sel:DWORD dst_unused:UNUSED_PAD src0_sel:WORD_1 src1_sel:DWORD
	v_sub_i16 v42, v43, v42 clamp
	v_lshlrev_b16_sdwa v39, v36, v39 dst_sel:DWORD dst_unused:UNUSED_PAD src0_sel:DWORD src1_sel:WORD_1
	v_lshlrev_b16_e32 v41, 8, v41
	v_and_b32_e32 v42, 0xffffff00, v42
	v_sub_i16 v39, v39, v41 clamp
	v_or_b32_sdwa v39, v39, v42 dst_sel:WORD_1 dst_unused:UNUSED_PAD src0_sel:BYTE_1 src1_sel:DWORD
	v_lshrrev_b32_e32 v42, 25, v32
	v_or_b32_sdwa v39, v40, v39 dst_sel:DWORD dst_unused:UNUSED_PAD src0_sel:WORD_0 src1_sel:DWORD
	v_lshrrev_b32_e32 v40, 13, v32
	v_and_b32_e32 v40, 0xff8, v40
	global_load_dwordx2 v[40:41], v40, s[20:21]
	v_bcnt_u32_b32 v42, v42, 0
	v_and_b32_e32 v42, 1, v42
	v_alignbit_b32 v42, v42, v32, 25
	v_mul_lo_u32 v42, v42, s23
	v_and_b32_e32 v43, 0x8000000, v42
	v_lshrrev_b32_e32 v45, 8, v42
	v_lshrrev_b16_e32 v46, 1, v45
	v_cmp_ne_u16_sdwa s[28:29], v43, v19 src0_sel:BYTE_3 src1_sel:DWORD
	v_lshlrev_b16_sdwa v44, v37, v32 dst_sel:DWORD dst_unused:UNUSED_PAD src0_sel:DWORD src1_sel:WORD_1
	v_bfe_i32 v46, v46, 0, 1
	v_lshrrev_b32_e32 v47, 18, v42
	v_cndmask_b32_e64 v43, 0, -1, s[28:29]
	v_ashrrev_i16_e32 v44, 15, v44
	v_bfe_i32 v47, v47, 0, 1
	v_lshlrev_b16_e32 v43, 8, v43
	v_lshlrev_b16_e32 v46, 8, v46
	v_or_b32_sdwa v48, v47, v43 dst_sel:WORD_1 dst_unused:UNUSED_PAD src0_sel:BYTE_0 src1_sel:DWORD
	v_or_b32_sdwa v49, v44, v46 dst_sel:DWORD dst_unused:UNUSED_PAD src0_sel:BYTE_0 src1_sel:DWORD
	v_or_b32_sdwa v48, v49, v48 dst_sel:DWORD dst_unused:UNUSED_PAD src0_sel:WORD_0 src1_sel:DWORD
	v_lshlrev_b16_e32 v44, 8, v44
	v_bfe_i32 v32, v32, 29, 1
	v_dot4c_i32_i8_e32 v50, v38, v13
	v_dot4c_i32_i8_e32 v50, v39, v14
	s_waitcnt vmcnt(0)
	v_xor_b32_e32 v40, v40, v48
	v_and_b32_e32 v48, 0xffffff00, v40
	v_sub_i16 v46, v48, v46 clamp
	v_lshlrev_b16_e32 v48, 8, v40
	v_and_b32_e32 v46, 0xffffff00, v46
	v_sub_i16 v44, v48, v44 clamp
	v_or_b32_sdwa v44, v44, v46 dst_sel:DWORD dst_unused:UNUSED_PAD src0_sel:BYTE_1 src1_sel:DWORD
	v_and_b32_sdwa v46, v40, s27 dst_sel:DWORD dst_unused:UNUSED_PAD src0_sel:WORD_1 src1_sel:DWORD
	v_sub_i16 v43, v46, v43 clamp
	v_lshlrev_b16_sdwa v40, v36, v40 dst_sel:DWORD dst_unused:UNUSED_PAD src0_sel:DWORD src1_sel:WORD_1
	v_lshlrev_b16_e32 v46, 8, v47
	v_and_b32_e32 v43, 0xffffff00, v43
	v_sub_i16 v40, v40, v46 clamp
	v_or_b32_sdwa v40, v40, v43 dst_sel:WORD_1 dst_unused:UNUSED_PAD src0_sel:BYTE_1 src1_sel:DWORD
	v_and_b32_e32 v43, 0x80000000, v42
	v_or_b32_sdwa v40, v44, v40 dst_sel:DWORD dst_unused:UNUSED_PAD src0_sel:WORD_0 src1_sel:DWORD
	v_lshrrev_b16_e32 v44, 5, v45
	v_cmp_ne_u16_sdwa s[28:29], v43, v19 src0_sel:BYTE_3 src1_sel:DWORD
	v_bfe_i32 v44, v44, 0, 1
	v_lshrrev_b32_e32 v42, 22, v42
	v_cndmask_b32_e64 v43, 0, -1, s[28:29]
	v_bfe_i32 v42, v42, 0, 1
	v_lshlrev_b16_e32 v43, 8, v43
	v_lshlrev_b16_e32 v44, 8, v44
	v_or_b32_sdwa v45, v42, v43 dst_sel:WORD_1 dst_unused:UNUSED_PAD src0_sel:BYTE_0 src1_sel:DWORD
	v_or_b32_sdwa v46, v32, v44 dst_sel:DWORD dst_unused:UNUSED_PAD src0_sel:BYTE_0 src1_sel:DWORD
	v_or_b32_sdwa v45, v46, v45 dst_sel:DWORD dst_unused:UNUSED_PAD src0_sel:WORD_0 src1_sel:DWORD
	v_xor_b32_e32 v41, v41, v45
	v_and_b32_e32 v45, 0xffffff00, v41
	v_sub_i16 v44, v45, v44 clamp
	v_lshlrev_b16_e32 v45, 8, v41
	v_lshlrev_b16_e32 v32, 8, v32
	v_and_b32_e32 v44, 0xffffff00, v44
	v_sub_i16 v32, v45, v32 clamp
	v_or_b32_sdwa v32, v32, v44 dst_sel:DWORD dst_unused:UNUSED_PAD src0_sel:BYTE_1 src1_sel:DWORD
	v_and_b32_sdwa v44, v41, s27 dst_sel:DWORD dst_unused:UNUSED_PAD src0_sel:WORD_1 src1_sel:DWORD
	v_sub_i16 v43, v44, v43 clamp
	v_lshlrev_b16_sdwa v41, v36, v41 dst_sel:DWORD dst_unused:UNUSED_PAD src0_sel:DWORD src1_sel:WORD_1
	v_lshlrev_b16_e32 v42, 8, v42
	v_and_b32_e32 v43, 0xffffff00, v43
	v_sub_i16 v41, v41, v42 clamp
	v_or_b32_sdwa v41, v41, v43 dst_sel:WORD_1 dst_unused:UNUSED_PAD src0_sel:BYTE_1 src1_sel:DWORD
	v_lshlrev_b16_e32 v46, 6, v33
	v_or_b32_sdwa v41, v32, v41 dst_sel:DWORD dst_unused:UNUSED_PAD src0_sel:WORD_0 src1_sel:DWORD
	v_and_b32_e32 v32, 0x1ff, v33
	v_lshlrev_b32_e32 v32, 3, v32
	global_load_dwordx2 v[42:43], v32, s[20:21]
	v_lshrrev_b16_e32 v32, 9, v33
	v_bcnt_u32_b32 v44, v32, 0
	v_and_b32_e32 v44, 1, v44
	v_lshl_or_b32 v44, v44, 7, v32
	v_mul_lo_u32 v44, v44, s23
	v_and_b32_e32 v45, 0x8000000, v44
	v_lshrrev_b32_e32 v47, 8, v44
	v_lshrrev_b16_e32 v48, 1, v47
	v_cmp_ne_u16_sdwa s[28:29], v45, v19 src0_sel:BYTE_3 src1_sel:DWORD
	v_bfe_i32 v48, v48, 0, 1
	v_lshrrev_b32_e32 v49, 18, v44
	v_cndmask_b32_e64 v45, 0, -1, s[28:29]
	v_ashrrev_i16_e32 v46, 15, v46
	v_bfe_i32 v49, v49, 0, 1
	v_lshlrev_b16_e32 v45, 8, v45
	v_lshlrev_b16_e32 v48, 8, v48
	v_or_b32_sdwa v51, v49, v45 dst_sel:WORD_1 dst_unused:UNUSED_PAD src0_sel:BYTE_0 src1_sel:DWORD
	v_or_b32_sdwa v52, v46, v48 dst_sel:DWORD dst_unused:UNUSED_PAD src0_sel:BYTE_0 src1_sel:DWORD
	v_or_b32_sdwa v51, v52, v51 dst_sel:DWORD dst_unused:UNUSED_PAD src0_sel:WORD_0 src1_sel:DWORD
	v_lshlrev_b16_e32 v46, 8, v46
	v_bfe_i32 v32, v32, 4, 1
	v_dot4c_i32_i8_e32 v50, v40, v15
	v_dot4c_i32_i8_e32 v50, v41, v8
	s_waitcnt vmcnt(0)
	v_xor_b32_e32 v42, v42, v51
	v_and_b32_e32 v51, 0xffffff00, v42
	v_sub_i16 v48, v51, v48 clamp
	v_lshlrev_b16_e32 v51, 8, v42
	v_and_b32_e32 v48, 0xffffff00, v48
	v_sub_i16 v46, v51, v46 clamp
	v_or_b32_sdwa v46, v46, v48 dst_sel:DWORD dst_unused:UNUSED_PAD src0_sel:BYTE_1 src1_sel:DWORD
	v_and_b32_sdwa v48, v42, s27 dst_sel:DWORD dst_unused:UNUSED_PAD src0_sel:WORD_1 src1_sel:DWORD
	v_sub_i16 v45, v48, v45 clamp
	v_lshlrev_b16_sdwa v42, v36, v42 dst_sel:DWORD dst_unused:UNUSED_PAD src0_sel:DWORD src1_sel:WORD_1
	v_lshlrev_b16_e32 v48, 8, v49
	v_and_b32_e32 v45, 0xffffff00, v45
	v_sub_i16 v42, v42, v48 clamp
	v_or_b32_sdwa v42, v42, v45 dst_sel:WORD_1 dst_unused:UNUSED_PAD src0_sel:BYTE_1 src1_sel:DWORD
	v_and_b32_e32 v45, 0x80000000, v44
	v_or_b32_sdwa v42, v46, v42 dst_sel:DWORD dst_unused:UNUSED_PAD src0_sel:WORD_0 src1_sel:DWORD
	v_lshrrev_b16_e32 v46, 5, v47
	v_cmp_ne_u16_sdwa s[28:29], v45, v19 src0_sel:BYTE_3 src1_sel:DWORD
	v_bfe_i32 v46, v46, 0, 1
	v_lshrrev_b32_e32 v44, 22, v44
	v_cndmask_b32_e64 v45, 0, -1, s[28:29]
	v_bfe_i32 v44, v44, 0, 1
	v_lshlrev_b16_e32 v45, 8, v45
	v_lshlrev_b16_e32 v46, 8, v46
	v_or_b32_sdwa v47, v44, v45 dst_sel:WORD_1 dst_unused:UNUSED_PAD src0_sel:BYTE_0 src1_sel:DWORD
	v_or_b32_sdwa v48, v32, v46 dst_sel:DWORD dst_unused:UNUSED_PAD src0_sel:BYTE_0 src1_sel:DWORD
	v_or_b32_sdwa v47, v48, v47 dst_sel:DWORD dst_unused:UNUSED_PAD src0_sel:WORD_0 src1_sel:DWORD
	v_xor_b32_e32 v43, v43, v47
	v_and_b32_e32 v47, 0xffffff00, v43
	v_sub_i16 v46, v47, v46 clamp
	v_lshlrev_b16_e32 v47, 8, v43
	v_lshlrev_b16_e32 v32, 8, v32
	v_and_b32_e32 v46, 0xffffff00, v46
	v_sub_i16 v32, v47, v32 clamp
	v_or_b32_sdwa v32, v32, v46 dst_sel:DWORD dst_unused:UNUSED_PAD src0_sel:BYTE_1 src1_sel:DWORD
	v_and_b32_sdwa v46, v43, s27 dst_sel:DWORD dst_unused:UNUSED_PAD src0_sel:WORD_1 src1_sel:DWORD
	v_sub_i16 v45, v46, v45 clamp
	v_lshlrev_b16_sdwa v43, v36, v43 dst_sel:DWORD dst_unused:UNUSED_PAD src0_sel:DWORD src1_sel:WORD_1
	v_lshlrev_b16_e32 v44, 8, v44
	v_and_b32_e32 v45, 0xffffff00, v45
	v_sub_i16 v43, v43, v44 clamp
	v_or_b32_sdwa v43, v43, v45 dst_sel:WORD_1 dst_unused:UNUSED_PAD src0_sel:BYTE_1 src1_sel:DWORD
	v_lshlrev_b16_sdwa v47, v37, v33 dst_sel:DWORD dst_unused:UNUSED_PAD src0_sel:DWORD src1_sel:WORD_1
	v_or_b32_sdwa v43, v32, v43 dst_sel:DWORD dst_unused:UNUSED_PAD src0_sel:WORD_0 src1_sel:DWORD
	v_lshrrev_b32_e32 v32, 13, v33
	v_and_b32_e32 v32, 0xff8, v32
	global_load_dwordx2 v[44:45], v32, s[20:21]
	v_lshrrev_b32_e32 v32, 25, v33
	v_bcnt_u32_b32 v32, v32, 0
	v_and_b32_e32 v32, 1, v32
	v_alignbit_b32 v32, v32, v33, 25
	v_mul_lo_u32 v32, v32, s23
	v_and_b32_e32 v46, 0x8000000, v32
	v_lshrrev_b32_e32 v48, 8, v32
	v_lshrrev_b16_e32 v49, 1, v48
	v_cmp_ne_u16_sdwa s[28:29], v46, v19 src0_sel:BYTE_3 src1_sel:DWORD
	v_bfe_i32 v49, v49, 0, 1
	v_lshrrev_b32_e32 v52, 18, v32
	v_cndmask_b32_e64 v46, 0, -1, s[28:29]
	v_ashrrev_i16_e32 v47, 15, v47
	v_bfe_i32 v52, v52, 0, 1
	v_lshlrev_b16_e32 v46, 8, v46
	v_lshlrev_b16_e32 v49, 8, v49
	v_or_b32_sdwa v53, v52, v46 dst_sel:WORD_1 dst_unused:UNUSED_PAD src0_sel:BYTE_0 src1_sel:DWORD
	v_or_b32_sdwa v55, v47, v49 dst_sel:DWORD dst_unused:UNUSED_PAD src0_sel:BYTE_0 src1_sel:DWORD
	v_or_b32_sdwa v53, v55, v53 dst_sel:DWORD dst_unused:UNUSED_PAD src0_sel:WORD_0 src1_sel:DWORD
	v_lshlrev_b16_e32 v47, 8, v47
	v_bfe_i32 v33, v33, 29, 1
	v_mov_b32_e32 v51, 0
	v_dot4c_i32_i8_e32 v51, v42, v9
	v_dot4c_i32_i8_e32 v51, v43, v10
	s_waitcnt vmcnt(0)
	v_xor_b32_e32 v44, v44, v53
	v_and_b32_e32 v53, 0xffffff00, v44
	v_sub_i16 v49, v53, v49 clamp
	v_lshlrev_b16_e32 v53, 8, v44
	v_and_b32_e32 v49, 0xffffff00, v49
	v_sub_i16 v47, v53, v47 clamp
	v_or_b32_sdwa v47, v47, v49 dst_sel:DWORD dst_unused:UNUSED_PAD src0_sel:BYTE_1 src1_sel:DWORD
	v_and_b32_sdwa v49, v44, s27 dst_sel:DWORD dst_unused:UNUSED_PAD src0_sel:WORD_1 src1_sel:DWORD
	v_sub_i16 v46, v49, v46 clamp
	v_lshlrev_b16_sdwa v44, v36, v44 dst_sel:DWORD dst_unused:UNUSED_PAD src0_sel:DWORD src1_sel:WORD_1
	v_lshlrev_b16_e32 v49, 8, v52
	v_and_b32_e32 v46, 0xffffff00, v46
	v_sub_i16 v44, v44, v49 clamp
	v_or_b32_sdwa v44, v44, v46 dst_sel:WORD_1 dst_unused:UNUSED_PAD src0_sel:BYTE_1 src1_sel:DWORD
	v_and_b32_e32 v46, 0x80000000, v32
	v_or_b32_sdwa v44, v47, v44 dst_sel:DWORD dst_unused:UNUSED_PAD src0_sel:WORD_0 src1_sel:DWORD
	v_lshrrev_b16_e32 v47, 5, v48
	v_cmp_ne_u16_sdwa s[28:29], v46, v19 src0_sel:BYTE_3 src1_sel:DWORD
	v_bfe_i32 v47, v47, 0, 1
	v_lshrrev_b32_e32 v32, 22, v32
	v_cndmask_b32_e64 v46, 0, -1, s[28:29]
	v_bfe_i32 v32, v32, 0, 1
	v_lshlrev_b16_e32 v46, 8, v46
	v_lshlrev_b16_e32 v47, 8, v47
	v_or_b32_sdwa v48, v32, v46 dst_sel:WORD_1 dst_unused:UNUSED_PAD src0_sel:BYTE_0 src1_sel:DWORD
	v_or_b32_sdwa v49, v33, v47 dst_sel:DWORD dst_unused:UNUSED_PAD src0_sel:BYTE_0 src1_sel:DWORD
	v_or_b32_sdwa v48, v49, v48 dst_sel:DWORD dst_unused:UNUSED_PAD src0_sel:WORD_0 src1_sel:DWORD
	v_xor_b32_e32 v45, v45, v48
	v_and_b32_e32 v48, 0xffffff00, v45
	v_sub_i16 v47, v48, v47 clamp
	v_lshlrev_b16_e32 v48, 8, v45
	v_lshlrev_b16_e32 v33, 8, v33
	v_and_b32_e32 v47, 0xffffff00, v47
	v_sub_i16 v33, v48, v33 clamp
	v_or_b32_sdwa v33, v33, v47 dst_sel:DWORD dst_unused:UNUSED_PAD src0_sel:BYTE_1 src1_sel:DWORD
	v_and_b32_sdwa v47, v45, s27 dst_sel:DWORD dst_unused:UNUSED_PAD src0_sel:WORD_1 src1_sel:DWORD
	v_sub_i16 v46, v47, v46 clamp
	v_lshlrev_b16_sdwa v45, v36, v45 dst_sel:DWORD dst_unused:UNUSED_PAD src0_sel:DWORD src1_sel:WORD_1
	v_lshlrev_b16_e32 v32, 8, v32
	v_and_b32_e32 v46, 0xffffff00, v46
	v_sub_i16 v32, v45, v32 clamp
	global_load_ushort v52, v[30:31], off
	v_add_u32_e32 v30, s8, v34
	v_or_b32_sdwa v32, v32, v46 dst_sel:WORD_1 dst_unused:UNUSED_PAD src0_sel:BYTE_1 src1_sel:DWORD
	v_mad_i64_i32 v[30:31], s[28:29], v30, s22, v[22:23]
	v_or_b32_sdwa v45, v33, v32 dst_sel:DWORD dst_unused:UNUSED_PAD src0_sel:WORD_0 src1_sel:DWORD
	v_lshl_add_u64 v[32:33], v[30:31], 0, v[26:27]
	global_load_dwordx2 v[48:49], v[32:33], off offset:2
	v_dot4c_i32_i8_e32 v51, v44, v11
	v_dot4c_i32_i8_e32 v51, v45, v54
	v_lshl_add_u64 v[32:33], v[30:31], 0, v[18:19]
	v_add_u32_e32 v34, 8, v34
	v_cmp_le_u32_e32 vcc, s5, v34
	s_or_b64 s[12:13], vcc, s[12:13]
	s_waitcnt vmcnt(0)
	v_and_b32_e32 v46, 0x1ff, v48
	v_lshlrev_b32_e32 v46, 3, v46
	global_load_dwordx2 v[46:47], v46, s[20:21]
	v_lshrrev_b16_e32 v53, 9, v48
	v_bcnt_u32_b32 v55, v53, 0
	v_and_b32_e32 v55, 1, v55
	v_lshl_or_b32 v55, v55, 7, v53
	v_mul_lo_u32 v55, v55, s23
	v_and_b32_e32 v56, 0x8000000, v55
	v_lshrrev_b32_e32 v58, 8, v55
	v_lshrrev_b16_e32 v59, 1, v58
	v_cmp_ne_u16_sdwa s[28:29], v56, v19 src0_sel:BYTE_3 src1_sel:DWORD
	v_lshlrev_b16_e32 v57, 6, v48
	v_bfe_i32 v59, v59, 0, 1
	v_lshrrev_b32_e32 v60, 18, v55
	v_cndmask_b32_e64 v56, 0, -1, s[28:29]
	v_ashrrev_i16_e32 v57, 15, v57
	v_bfe_i32 v60, v60, 0, 1
	v_lshlrev_b16_e32 v56, 8, v56
	v_lshlrev_b16_e32 v59, 8, v59
	v_or_b32_sdwa v61, v60, v56 dst_sel:WORD_1 dst_unused:UNUSED_PAD src0_sel:BYTE_0 src1_sel:DWORD
	v_or_b32_sdwa v62, v57, v59 dst_sel:DWORD dst_unused:UNUSED_PAD src0_sel:BYTE_0 src1_sel:DWORD
	v_or_b32_sdwa v61, v62, v61 dst_sel:DWORD dst_unused:UNUSED_PAD src0_sel:WORD_0 src1_sel:DWORD
	v_lshlrev_b16_e32 v57, 8, v57
	v_bfe_i32 v53, v53, 4, 1
	s_waitcnt vmcnt(0)
	v_xor_b32_e32 v46, v46, v61
	v_and_b32_e32 v61, 0xffffff00, v46
	v_sub_i16 v59, v61, v59 clamp
	v_lshlrev_b16_e32 v61, 8, v46
	v_and_b32_e32 v59, 0xffffff00, v59
	v_sub_i16 v57, v61, v57 clamp
	v_or_b32_sdwa v57, v57, v59 dst_sel:DWORD dst_unused:UNUSED_PAD src0_sel:BYTE_1 src1_sel:DWORD
	v_and_b32_sdwa v59, v46, s27 dst_sel:DWORD dst_unused:UNUSED_PAD src0_sel:WORD_1 src1_sel:DWORD
	v_sub_i16 v56, v59, v56 clamp
	v_lshlrev_b16_sdwa v46, v36, v46 dst_sel:DWORD dst_unused:UNUSED_PAD src0_sel:DWORD src1_sel:WORD_1
	v_lshlrev_b16_e32 v59, 8, v60
	v_and_b32_e32 v56, 0xffffff00, v56
	v_sub_i16 v46, v46, v59 clamp
	v_or_b32_sdwa v46, v46, v56 dst_sel:WORD_1 dst_unused:UNUSED_PAD src0_sel:BYTE_1 src1_sel:DWORD
	v_and_b32_e32 v56, 0x80000000, v55
	v_or_b32_sdwa v46, v57, v46 dst_sel:DWORD dst_unused:UNUSED_PAD src0_sel:WORD_0 src1_sel:DWORD
	v_lshrrev_b16_e32 v57, 5, v58
	v_cmp_ne_u16_sdwa s[28:29], v56, v19 src0_sel:BYTE_3 src1_sel:DWORD
	v_bfe_i32 v57, v57, 0, 1
	v_lshrrev_b32_e32 v55, 22, v55
	v_cndmask_b32_e64 v56, 0, -1, s[28:29]
	v_bfe_i32 v55, v55, 0, 1
	v_lshlrev_b16_e32 v56, 8, v56
	v_lshlrev_b16_e32 v57, 8, v57
	v_or_b32_sdwa v58, v55, v56 dst_sel:WORD_1 dst_unused:UNUSED_PAD src0_sel:BYTE_0 src1_sel:DWORD
	v_or_b32_sdwa v59, v53, v57 dst_sel:DWORD dst_unused:UNUSED_PAD src0_sel:BYTE_0 src1_sel:DWORD
	v_or_b32_sdwa v58, v59, v58 dst_sel:DWORD dst_unused:UNUSED_PAD src0_sel:WORD_0 src1_sel:DWORD
	v_xor_b32_e32 v47, v47, v58
	v_and_b32_e32 v58, 0xffffff00, v47
	v_sub_i16 v57, v58, v57 clamp
	v_lshlrev_b16_e32 v58, 8, v47
	v_lshlrev_b16_e32 v53, 8, v53
	v_and_b32_e32 v57, 0xffffff00, v57
	v_sub_i16 v53, v58, v53 clamp
	v_or_b32_sdwa v53, v53, v57 dst_sel:DWORD dst_unused:UNUSED_PAD src0_sel:BYTE_1 src1_sel:DWORD
	v_and_b32_sdwa v57, v47, s27 dst_sel:DWORD dst_unused:UNUSED_PAD src0_sel:WORD_1 src1_sel:DWORD
	v_sub_i16 v56, v57, v56 clamp
	v_lshlrev_b16_sdwa v47, v36, v47 dst_sel:DWORD dst_unused:UNUSED_PAD src0_sel:DWORD src1_sel:WORD_1
	v_lshlrev_b16_e32 v55, 8, v55
	v_and_b32_e32 v56, 0xffffff00, v56
	v_sub_i16 v47, v47, v55 clamp
	v_or_b32_sdwa v47, v47, v56 dst_sel:WORD_1 dst_unused:UNUSED_PAD src0_sel:BYTE_1 src1_sel:DWORD
	v_lshlrev_b16_sdwa v55, v37, v48 dst_sel:DWORD dst_unused:UNUSED_PAD src0_sel:DWORD src1_sel:WORD_1
	v_or_b32_sdwa v47, v53, v47 dst_sel:DWORD dst_unused:UNUSED_PAD src0_sel:WORD_0 src1_sel:DWORD
	v_mov_b32_e32 v53, 0
	v_dot4c_i32_i8_e32 v53, v46, v13
	v_lshrrev_b32_e32 v13, 13, v48
	v_and_b32_e32 v13, 0xff8, v13
	global_load_dwordx2 v[56:57], v13, s[20:21]
	v_lshrrev_b32_e32 v13, 25, v48
	v_bcnt_u32_b32 v13, v13, 0
	v_and_b32_e32 v13, 1, v13
	v_alignbit_b32 v13, v13, v48, 25
	v_dot4c_i32_i8_e32 v53, v47, v14
	v_mul_lo_u32 v14, v13, s23
	v_and_b32_e32 v13, 0x8000000, v14
	v_lshrrev_b32_e32 v58, 8, v14
	v_lshrrev_b16_e32 v59, 1, v58
	v_cmp_ne_u16_sdwa s[28:29], v13, v19 src0_sel:BYTE_3 src1_sel:DWORD
	v_bfe_i32 v59, v59, 0, 1
	v_lshrrev_b32_e32 v60, 18, v14
	v_cndmask_b32_e64 v13, 0, -1, s[28:29]
	v_ashrrev_i16_e32 v55, 15, v55
	v_bfe_i32 v60, v60, 0, 1
	v_lshlrev_b16_e32 v13, 8, v13
	v_lshlrev_b16_e32 v59, 8, v59
	v_or_b32_sdwa v61, v60, v13 dst_sel:WORD_1 dst_unused:UNUSED_PAD src0_sel:BYTE_0 src1_sel:DWORD
	v_or_b32_sdwa v62, v55, v59 dst_sel:DWORD dst_unused:UNUSED_PAD src0_sel:BYTE_0 src1_sel:DWORD
	v_or_b32_sdwa v61, v62, v61 dst_sel:DWORD dst_unused:UNUSED_PAD src0_sel:WORD_0 src1_sel:DWORD
	v_lshlrev_b16_e32 v55, 8, v55
	v_bfe_i32 v48, v48, 29, 1
	s_waitcnt vmcnt(0)
	v_xor_b32_e32 v56, v56, v61
	v_and_b32_e32 v61, 0xffffff00, v56
	v_sub_i16 v59, v61, v59 clamp
	v_lshlrev_b16_e32 v61, 8, v56
	v_and_b32_e32 v59, 0xffffff00, v59
	v_sub_i16 v55, v61, v55 clamp
	v_or_b32_sdwa v55, v55, v59 dst_sel:DWORD dst_unused:UNUSED_PAD src0_sel:BYTE_1 src1_sel:DWORD
	v_and_b32_sdwa v59, v56, s27 dst_sel:DWORD dst_unused:UNUSED_PAD src0_sel:WORD_1 src1_sel:DWORD
	v_sub_i16 v13, v59, v13 clamp
	v_lshlrev_b16_sdwa v56, v36, v56 dst_sel:DWORD dst_unused:UNUSED_PAD src0_sel:DWORD src1_sel:WORD_1
	v_lshlrev_b16_e32 v59, 8, v60
	v_and_b32_e32 v13, 0xffffff00, v13
	v_sub_i16 v56, v56, v59 clamp
	v_or_b32_sdwa v13, v56, v13 dst_sel:WORD_1 dst_unused:UNUSED_PAD src0_sel:BYTE_1 src1_sel:DWORD
	v_lshrrev_b16_e32 v56, 5, v58
	v_or_b32_sdwa v13, v55, v13 dst_sel:DWORD dst_unused:UNUSED_PAD src0_sel:WORD_0 src1_sel:DWORD
	v_and_b32_e32 v55, 0x80000000, v14
	v_cmp_ne_u16_sdwa s[28:29], v55, v19 src0_sel:BYTE_3 src1_sel:DWORD
	v_bfe_i32 v56, v56, 0, 1
	v_lshrrev_b32_e32 v14, 22, v14
	v_cndmask_b32_e64 v55, 0, -1, s[28:29]
	v_bfe_i32 v14, v14, 0, 1
	v_lshlrev_b16_e32 v55, 8, v55
	v_lshlrev_b16_e32 v56, 8, v56
	v_or_b32_sdwa v58, v14, v55 dst_sel:WORD_1 dst_unused:UNUSED_PAD src0_sel:BYTE_0 src1_sel:DWORD
	v_or_b32_sdwa v59, v48, v56 dst_sel:DWORD dst_unused:UNUSED_PAD src0_sel:BYTE_0 src1_sel:DWORD
	v_or_b32_sdwa v58, v59, v58 dst_sel:DWORD dst_unused:UNUSED_PAD src0_sel:WORD_0 src1_sel:DWORD
	v_xor_b32_e32 v57, v57, v58
	v_and_b32_e32 v58, 0xffffff00, v57
	v_sub_i16 v56, v58, v56 clamp
	v_lshlrev_b16_e32 v58, 8, v57
	v_lshlrev_b16_e32 v48, 8, v48
	v_and_b32_e32 v56, 0xffffff00, v56
	v_sub_i16 v48, v58, v48 clamp
	v_or_b32_sdwa v48, v48, v56 dst_sel:DWORD dst_unused:UNUSED_PAD src0_sel:BYTE_1 src1_sel:DWORD
	v_and_b32_sdwa v56, v57, s27 dst_sel:DWORD dst_unused:UNUSED_PAD src0_sel:WORD_1 src1_sel:DWORD
	v_sub_i16 v55, v56, v55 clamp
	v_lshlrev_b16_sdwa v56, v36, v57 dst_sel:DWORD dst_unused:UNUSED_PAD src0_sel:DWORD src1_sel:WORD_1
	v_lshlrev_b16_e32 v14, 8, v14
	v_and_b32_e32 v55, 0xffffff00, v55
	v_sub_i16 v14, v56, v14 clamp
	v_or_b32_sdwa v14, v14, v55 dst_sel:WORD_1 dst_unused:UNUSED_PAD src0_sel:BYTE_1 src1_sel:DWORD
	v_dot4c_i32_i8_e32 v53, v13, v15
	v_or_b32_sdwa v14, v48, v14 dst_sel:DWORD dst_unused:UNUSED_PAD src0_sel:WORD_0 src1_sel:DWORD
	v_dot4c_i32_i8_e32 v53, v14, v8
	v_and_b32_e32 v8, 0x1ff, v49
	v_lshlrev_b32_e32 v8, 3, v8
	global_load_dwordx2 v[56:57], v8, s[20:21]
	v_lshrrev_b16_e32 v8, 9, v49
	v_bcnt_u32_b32 v15, v8, 0
	v_and_b32_e32 v15, 1, v15
	v_lshl_or_b32 v15, v15, 7, v8
	v_mul_lo_u32 v48, v15, s23
	v_and_b32_e32 v15, 0x8000000, v48
	v_lshrrev_b32_e32 v58, 8, v48
	v_lshrrev_b16_e32 v59, 1, v58
	v_cmp_ne_u16_sdwa s[28:29], v15, v19 src0_sel:BYTE_3 src1_sel:DWORD
	v_lshlrev_b16_e32 v55, 6, v49
	v_bfe_i32 v59, v59, 0, 1
	v_lshrrev_b32_e32 v60, 18, v48
	v_cndmask_b32_e64 v15, 0, -1, s[28:29]
	v_ashrrev_i16_e32 v55, 15, v55
	v_bfe_i32 v60, v60, 0, 1
	v_lshlrev_b16_e32 v15, 8, v15
	v_lshlrev_b16_e32 v59, 8, v59
	v_or_b32_sdwa v61, v60, v15 dst_sel:WORD_1 dst_unused:UNUSED_PAD src0_sel:BYTE_0 src1_sel:DWORD
	v_or_b32_sdwa v62, v55, v59 dst_sel:DWORD dst_unused:UNUSED_PAD src0_sel:BYTE_0 src1_sel:DWORD
	v_or_b32_sdwa v61, v62, v61 dst_sel:DWORD dst_unused:UNUSED_PAD src0_sel:WORD_0 src1_sel:DWORD
	v_lshlrev_b16_e32 v55, 8, v55
	v_bfe_i32 v8, v8, 4, 1
	s_waitcnt vmcnt(0)
	v_xor_b32_e32 v56, v56, v61
	v_and_b32_e32 v61, 0xffffff00, v56
	v_sub_i16 v59, v61, v59 clamp
	v_lshlrev_b16_e32 v61, 8, v56
	v_and_b32_e32 v59, 0xffffff00, v59
	v_sub_i16 v55, v61, v55 clamp
	v_or_b32_sdwa v55, v55, v59 dst_sel:DWORD dst_unused:UNUSED_PAD src0_sel:BYTE_1 src1_sel:DWORD
	v_and_b32_sdwa v59, v56, s27 dst_sel:DWORD dst_unused:UNUSED_PAD src0_sel:WORD_1 src1_sel:DWORD
	v_sub_i16 v15, v59, v15 clamp
	v_lshlrev_b16_sdwa v56, v36, v56 dst_sel:DWORD dst_unused:UNUSED_PAD src0_sel:DWORD src1_sel:WORD_1
	v_lshlrev_b16_e32 v59, 8, v60
	v_and_b32_e32 v15, 0xffffff00, v15
	v_sub_i16 v56, v56, v59 clamp
	v_or_b32_sdwa v15, v56, v15 dst_sel:WORD_1 dst_unused:UNUSED_PAD src0_sel:BYTE_1 src1_sel:DWORD
	v_lshrrev_b16_e32 v56, 5, v58
	v_or_b32_sdwa v15, v55, v15 dst_sel:DWORD dst_unused:UNUSED_PAD src0_sel:WORD_0 src1_sel:DWORD
	v_and_b32_e32 v55, 0x80000000, v48
	v_cmp_ne_u16_sdwa s[28:29], v55, v19 src0_sel:BYTE_3 src1_sel:DWORD
	v_bfe_i32 v56, v56, 0, 1
	v_lshrrev_b32_e32 v48, 22, v48
	v_cndmask_b32_e64 v55, 0, -1, s[28:29]
	v_bfe_i32 v48, v48, 0, 1
	v_lshlrev_b16_e32 v55, 8, v55
	v_lshlrev_b16_e32 v56, 8, v56
	v_or_b32_sdwa v58, v48, v55 dst_sel:WORD_1 dst_unused:UNUSED_PAD src0_sel:BYTE_0 src1_sel:DWORD
	v_or_b32_sdwa v59, v8, v56 dst_sel:DWORD dst_unused:UNUSED_PAD src0_sel:BYTE_0 src1_sel:DWORD
	v_or_b32_sdwa v58, v59, v58 dst_sel:DWORD dst_unused:UNUSED_PAD src0_sel:WORD_0 src1_sel:DWORD
	v_xor_b32_e32 v57, v57, v58
	v_and_b32_e32 v58, 0xffffff00, v57
	v_sub_i16 v56, v58, v56 clamp
	v_lshlrev_b16_e32 v58, 8, v57
	v_lshlrev_b16_e32 v8, 8, v8
	v_and_b32_e32 v56, 0xffffff00, v56
	v_sub_i16 v8, v58, v8 clamp
	v_or_b32_sdwa v8, v8, v56 dst_sel:DWORD dst_unused:UNUSED_PAD src0_sel:BYTE_1 src1_sel:DWORD
	v_and_b32_sdwa v56, v57, s27 dst_sel:DWORD dst_unused:UNUSED_PAD src0_sel:WORD_1 src1_sel:DWORD
	v_sub_i16 v55, v56, v55 clamp
	v_lshlrev_b16_sdwa v56, v36, v57 dst_sel:DWORD dst_unused:UNUSED_PAD src0_sel:DWORD src1_sel:WORD_1
	v_lshlrev_b16_e32 v48, 8, v48
	v_and_b32_e32 v55, 0xffffff00, v55
	v_sub_i16 v48, v56, v48 clamp
	v_or_b32_sdwa v48, v48, v55 dst_sel:WORD_1 dst_unused:UNUSED_PAD src0_sel:BYTE_1 src1_sel:DWORD
	v_lshlrev_b16_sdwa v55, v37, v49 dst_sel:DWORD dst_unused:UNUSED_PAD src0_sel:DWORD src1_sel:WORD_1
	v_or_b32_sdwa v48, v8, v48 dst_sel:DWORD dst_unused:UNUSED_PAD src0_sel:WORD_0 src1_sel:DWORD
	v_mov_b32_e32 v8, 0
	v_dot4c_i32_i8_e32 v8, v15, v9
	v_lshrrev_b32_e32 v9, 13, v49
	v_and_b32_e32 v9, 0xff8, v9
	global_load_dwordx2 v[56:57], v9, s[20:21]
	v_lshrrev_b32_e32 v9, 25, v49
	v_bcnt_u32_b32 v9, v9, 0
	v_and_b32_e32 v9, 1, v9
	v_alignbit_b32 v9, v9, v49, 25
	v_mul_lo_u32 v9, v9, s23
	v_dot4c_i32_i8_e32 v8, v48, v10
	v_and_b32_e32 v10, 0x8000000, v9
	v_lshrrev_b32_e32 v58, 8, v9
	v_lshrrev_b16_e32 v59, 1, v58
	v_cmp_ne_u16_sdwa s[20:21], v10, v19 src0_sel:BYTE_3 src1_sel:DWORD
	v_bfe_i32 v59, v59, 0, 1
	v_lshrrev_b32_e32 v60, 18, v9
	v_cndmask_b32_e64 v10, 0, -1, s[20:21]
	v_ashrrev_i16_e32 v55, 15, v55
	v_bfe_i32 v60, v60, 0, 1
	v_lshlrev_b16_e32 v10, 8, v10
	v_lshlrev_b16_e32 v59, 8, v59
	v_or_b32_sdwa v61, v60, v10 dst_sel:WORD_1 dst_unused:UNUSED_PAD src0_sel:BYTE_0 src1_sel:DWORD
	v_or_b32_sdwa v62, v55, v59 dst_sel:DWORD dst_unused:UNUSED_PAD src0_sel:BYTE_0 src1_sel:DWORD
	v_or_b32_sdwa v61, v62, v61 dst_sel:DWORD dst_unused:UNUSED_PAD src0_sel:WORD_0 src1_sel:DWORD
	v_lshlrev_b16_e32 v55, 8, v55
	v_bfe_i32 v49, v49, 29, 1
	s_waitcnt vmcnt(0)
	v_xor_b32_e32 v56, v56, v61
	v_and_b32_e32 v61, 0xffffff00, v56
	v_sub_i16 v59, v61, v59 clamp
	v_lshlrev_b16_e32 v61, 8, v56
	v_and_b32_e32 v59, 0xffffff00, v59
	v_sub_i16 v55, v61, v55 clamp
	v_or_b32_sdwa v55, v55, v59 dst_sel:DWORD dst_unused:UNUSED_PAD src0_sel:BYTE_1 src1_sel:DWORD
	v_and_b32_sdwa v59, v56, s27 dst_sel:DWORD dst_unused:UNUSED_PAD src0_sel:WORD_1 src1_sel:DWORD
	v_sub_i16 v10, v59, v10 clamp
	v_lshlrev_b16_sdwa v56, v36, v56 dst_sel:DWORD dst_unused:UNUSED_PAD src0_sel:DWORD src1_sel:WORD_1
	v_lshlrev_b16_e32 v59, 8, v60
	v_and_b32_e32 v10, 0xffffff00, v10
	v_sub_i16 v56, v56, v59 clamp
	v_or_b32_sdwa v10, v56, v10 dst_sel:WORD_1 dst_unused:UNUSED_PAD src0_sel:BYTE_1 src1_sel:DWORD
	v_lshrrev_b16_e32 v56, 5, v58
	v_or_b32_sdwa v10, v55, v10 dst_sel:DWORD dst_unused:UNUSED_PAD src0_sel:WORD_0 src1_sel:DWORD
	v_and_b32_e32 v55, 0x80000000, v9
	v_cmp_ne_u16_sdwa s[20:21], v55, v19 src0_sel:BYTE_3 src1_sel:DWORD
	v_bfe_i32 v56, v56, 0, 1
	v_lshrrev_b32_e32 v9, 22, v9
	v_cndmask_b32_e64 v55, 0, -1, s[20:21]
	v_bfe_i32 v9, v9, 0, 1
	v_lshlrev_b16_e32 v55, 8, v55
	v_lshlrev_b16_e32 v56, 8, v56
	v_or_b32_sdwa v58, v9, v55 dst_sel:WORD_1 dst_unused:UNUSED_PAD src0_sel:BYTE_0 src1_sel:DWORD
	v_or_b32_sdwa v59, v49, v56 dst_sel:DWORD dst_unused:UNUSED_PAD src0_sel:BYTE_0 src1_sel:DWORD
	v_or_b32_sdwa v58, v59, v58 dst_sel:DWORD dst_unused:UNUSED_PAD src0_sel:WORD_0 src1_sel:DWORD
	v_xor_b32_e32 v57, v57, v58
	v_and_b32_e32 v58, 0xffffff00, v57
	v_sub_i16 v56, v58, v56 clamp
	v_lshlrev_b16_e32 v58, 8, v57
	v_lshlrev_b16_e32 v49, 8, v49
	v_and_b32_e32 v56, 0xffffff00, v56
	v_sub_i16 v49, v58, v49 clamp
	v_or_b32_sdwa v49, v49, v56 dst_sel:DWORD dst_unused:UNUSED_PAD src0_sel:BYTE_1 src1_sel:DWORD
	v_and_b32_sdwa v56, v57, s27 dst_sel:DWORD dst_unused:UNUSED_PAD src0_sel:WORD_1 src1_sel:DWORD
	v_sub_i16 v55, v56, v55 clamp
	v_lshlrev_b16_sdwa v56, v36, v57 dst_sel:DWORD dst_unused:UNUSED_PAD src0_sel:DWORD src1_sel:WORD_1
	v_lshlrev_b16_e32 v9, 8, v9
	v_and_b32_e32 v55, 0xffffff00, v55
	v_sub_i16 v9, v56, v9 clamp
	v_or_b32_sdwa v9, v9, v55 dst_sel:WORD_1 dst_unused:UNUSED_PAD src0_sel:BYTE_1 src1_sel:DWORD
	v_dot4c_i32_i8_e32 v8, v10, v11
	v_or_b32_sdwa v49, v49, v9 dst_sel:DWORD dst_unused:UNUSED_PAD src0_sel:WORD_0 src1_sel:DWORD
	v_dot4c_i32_i8_e32 v8, v49, v54
	global_load_ushort v9, v[30:31], off
	global_load_ubyte v54, v[28:29], off offset:66
	global_load_ubyte v55, v[32:33], off offset:66
	s_waitcnt vmcnt(2)
	v_cvt_f32_f16_e32 v9, v9
	s_waitcnt vmcnt(1)
	v_and_b32_e32 v30, 15, v54
	s_waitcnt vmcnt(0)
	v_lshrrev_b32_e32 v11, 4, v55
	v_lshrrev_b32_e32 v28, 4, v54
	v_mul_lo_u32 v31, v50, v30
	v_add_u32_e32 v50, v51, v50
	v_mul_lo_u32 v33, v51, v28
	v_mul_lo_u32 v54, v8, v11
	v_add_u32_e32 v8, v8, v53
	v_lshrrev_b32_e32 v51, 31, v50
	v_add_u32_e32 v50, v50, v51
	v_lshrrev_b32_e32 v51, 31, v8
	v_and_b32_e32 v29, 15, v55
	v_ashrrev_i32_e32 v50, 1, v50
	v_add_u32_e32 v8, v8, v51
	v_mul_lo_u32 v32, v53, v29
	v_ashrrev_i32_e32 v8, 1, v8
	v_add3_u32 v31, v33, v31, v50
	v_add3_u32 v8, v54, v32, v8
	v_ashrrev_i32_e32 v32, 31, v31
	v_lshrrev_b32_e32 v32, 30, v32
	v_add_u32_e32 v31, v31, v32
	v_ashrrev_i32_e32 v32, 31, v8
	v_lshrrev_b32_e32 v32, 30, v32
	v_add_u32_e32 v8, v8, v32
	v_ashrrev_i32_e32 v31, 2, v31
	v_ashrrev_i32_e32 v50, 2, v8
	v_cvt_f32_f16_e32 v8, v52
	v_cvt_f32_i32_e32 v51, v50
	v_cvt_f32_i32_e32 v50, v31
	v_pk_mul_f32 v[32:33], v[12:13], v[8:9] op_sel_hi:[0,1]
	v_add_u32_e32 v12, s9, v35
	v_pk_fma_f32 v[4:5], v[32:33], v[50:51], v[4:5]
	v_mad_u64_u32 v[32:33], s[20:21], v12, 36, s[24:25]
	v_mad_u64_u32 v[32:33], s[20:21], v18, 36, v[32:33]
	global_load_dword v31, v[32:33], off offset:32
	global_load_dwordx4 v[50:53], v[32:33], off offset:16
	global_load_dwordx4 v[54:57], v[32:33], off
	v_mov_b32_e32 v32, 0
	v_mov_b32_e32 v33, 0
	s_waitcnt vmcnt(1)
	v_dot4c_i32_i8_e32 v33, v42, v51
	s_waitcnt vmcnt(0)
	v_cvt_f32_f16_e32 v12, v54
	v_mov_b32_e32 v54, 0
	v_dot4c_i32_i8_e32 v32, v38, v55
	v_dot4c_i32_i8_e32 v54, v46, v55
	v_dot4c_i32_i8_e32 v32, v39, v56
	v_dot4c_i32_i8_e32 v54, v47, v56
	v_dot4c_i32_i8_e32 v32, v40, v57
	v_dot4c_i32_i8_e32 v54, v13, v57
	v_dot4c_i32_i8_e32 v32, v41, v50
	v_dot4c_i32_i8_e32 v54, v14, v50
	v_mov_b32_e32 v50, 0
	v_dot4c_i32_i8_e32 v33, v43, v52
	v_dot4c_i32_i8_e32 v50, v15, v51
	v_dot4c_i32_i8_e32 v33, v44, v53
	v_dot4c_i32_i8_e32 v50, v48, v52
	v_dot4c_i32_i8_e32 v33, v45, v31
	v_dot4c_i32_i8_e32 v50, v10, v53
	v_dot4c_i32_i8_e32 v50, v49, v31
	v_mul_lo_u32 v31, v32, v30
	v_add_u32_e32 v32, v33, v32
	v_mul_lo_u32 v52, v33, v28
	v_lshrrev_b32_e32 v33, 31, v32
	v_mul_lo_u32 v53, v50, v11
	v_add_u32_e32 v50, v50, v54
	v_add_u32_e32 v32, v32, v33
	v_ashrrev_i32_e32 v32, 1, v32
	v_lshrrev_b32_e32 v33, 31, v50
	v_add_u32_e32 v33, v50, v33
	v_add3_u32 v31, v52, v31, v32
	v_mul_lo_u32 v51, v54, v29
	v_ashrrev_i32_e32 v33, 1, v33
	v_ashrrev_i32_e32 v32, 31, v31
	v_add3_u32 v33, v53, v51, v33
	v_lshrrev_b32_e32 v32, 30, v32
	v_add_u32_e32 v31, v31, v32
	v_ashrrev_i32_e32 v32, 31, v33
	v_lshrrev_b32_e32 v32, 30, v32
	v_add_u32_e32 v32, v33, v32
	v_ashrrev_i32_e32 v31, 2, v31
	v_ashrrev_i32_e32 v50, 2, v32
	v_cvt_f32_i32_e32 v51, v50
	v_cvt_f32_i32_e32 v50, v31
	v_pk_mul_f32 v[32:33], v[12:13], v[8:9] op_sel_hi:[0,1]
	v_add_u32_e32 v12, s26, v35
	v_pk_fma_f32 v[6:7], v[32:33], v[50:51], v[6:7]
	v_mad_u64_u32 v[32:33], s[20:21], v12, 36, s[24:25]
	v_mad_u64_u32 v[32:33], s[20:21], v18, 36, v[32:33]
	global_load_dword v31, v[32:33], off offset:32
	global_load_dwordx4 v[50:53], v[32:33], off offset:16
	global_load_dwordx4 v[54:57], v[32:33], off
	v_mov_b32_e32 v32, 0
	v_mov_b32_e32 v33, 0
	s_waitcnt vmcnt(1)
	v_dot4c_i32_i8_e32 v33, v42, v51
	s_waitcnt vmcnt(0)
	v_cvt_f32_f16_e32 v12, v54
	v_mov_b32_e32 v54, 0
	v_dot4c_i32_i8_e32 v32, v38, v55
	v_dot4c_i32_i8_e32 v54, v46, v55
	v_dot4c_i32_i8_e32 v32, v39, v56
	v_dot4c_i32_i8_e32 v54, v47, v56
	v_dot4c_i32_i8_e32 v32, v40, v57
	v_dot4c_i32_i8_e32 v54, v13, v57
	v_dot4c_i32_i8_e32 v32, v41, v50
	v_dot4c_i32_i8_e32 v54, v14, v50
	v_mov_b32_e32 v50, 0
	v_dot4c_i32_i8_e32 v33, v43, v52
	v_dot4c_i32_i8_e32 v50, v15, v51
	v_dot4c_i32_i8_e32 v33, v44, v53
	v_dot4c_i32_i8_e32 v50, v48, v52
	v_dot4c_i32_i8_e32 v33, v45, v31
	v_dot4c_i32_i8_e32 v50, v10, v53
	v_dot4c_i32_i8_e32 v50, v49, v31
	v_mul_lo_u32 v31, v32, v30
	v_add_u32_e32 v32, v33, v32
	v_mul_lo_u32 v52, v33, v28
	v_lshrrev_b32_e32 v33, 31, v32
	v_mul_lo_u32 v53, v50, v11
	v_add_u32_e32 v50, v50, v54
	v_add_u32_e32 v32, v32, v33
	v_ashrrev_i32_e32 v32, 1, v32
	v_lshrrev_b32_e32 v33, 31, v50
	v_add_u32_e32 v33, v50, v33
	v_add3_u32 v31, v52, v31, v32
	v_mul_lo_u32 v51, v54, v29
	v_ashrrev_i32_e32 v33, 1, v33
	v_ashrrev_i32_e32 v32, 31, v31
	v_add3_u32 v33, v53, v51, v33
	v_lshrrev_b32_e32 v32, 30, v32
	v_add_u32_e32 v31, v31, v32
	v_ashrrev_i32_e32 v32, 31, v33
	v_lshrrev_b32_e32 v32, 30, v32
	v_add_u32_e32 v32, v33, v32
	v_ashrrev_i32_e32 v31, 2, v31
	v_ashrrev_i32_e32 v50, 2, v32
	;; [unrolled: 55-line block ×3, first 2 shown]
	v_cvt_f32_i32_e32 v51, v50
	v_cvt_f32_i32_e32 v50, v31
	v_pk_mul_f32 v[32:33], v[12:13], v[8:9] op_sel_hi:[0,1]
	v_add_u32_e32 v12, s15, v35
	v_add_u32_e32 v35, 64, v35
	v_pk_fma_f32 v[2:3], v[32:33], v[50:51], v[2:3]
	v_mad_u64_u32 v[32:33], s[20:21], v12, 36, s[24:25]
	v_mad_u64_u32 v[32:33], s[20:21], v18, 36, v[32:33]
	global_load_dword v31, v[32:33], off offset:32
	global_load_dwordx4 v[50:53], v[32:33], off offset:16
	global_load_dwordx4 v[54:57], v[32:33], off
	v_mov_b32_e32 v32, 0
	v_mov_b32_e32 v33, 0
	s_waitcnt vmcnt(1)
	v_dot4c_i32_i8_e32 v33, v42, v51
	s_waitcnt vmcnt(0)
	v_dot4c_i32_i8_e32 v32, v38, v55
	v_mov_b32_e32 v38, 0
	v_dot4c_i32_i8_e32 v38, v46, v55
	v_dot4c_i32_i8_e32 v38, v47, v56
	;; [unrolled: 1-line block ×3, first 2 shown]
	v_mov_b32_e32 v13, 0
	v_dot4c_i32_i8_e32 v32, v39, v56
	v_dot4c_i32_i8_e32 v33, v43, v52
	;; [unrolled: 1-line block ×11, first 2 shown]
	v_mul_lo_u32 v15, v33, v28
	v_add_u32_e32 v28, v33, v32
	v_mul_lo_u32 v14, v38, v29
	v_mul_lo_u32 v11, v13, v11
	v_add_u32_e32 v13, v13, v38
	v_lshrrev_b32_e32 v29, 31, v28
	v_add_u32_e32 v28, v28, v29
	v_lshrrev_b32_e32 v29, 31, v13
	v_mul_lo_u32 v10, v32, v30
	v_ashrrev_i32_e32 v28, 1, v28
	v_add_u32_e32 v13, v13, v29
	v_ashrrev_i32_e32 v13, 1, v13
	v_add3_u32 v10, v15, v10, v28
	v_add3_u32 v11, v11, v14, v13
	v_ashrrev_i32_e32 v13, 31, v10
	v_lshrrev_b32_e32 v13, 30, v13
	v_add_u32_e32 v10, v10, v13
	v_ashrrev_i32_e32 v13, 31, v11
	v_lshrrev_b32_e32 v13, 30, v13
	v_add_u32_e32 v11, v11, v13
	v_cvt_f32_f16_e32 v12, v54
	v_ashrrev_i32_e32 v10, 2, v10
	v_ashrrev_i32_e32 v11, 2, v11
	v_cvt_f32_i32_e32 v11, v11
	v_cvt_f32_i32_e32 v10, v10
	v_pk_mul_f32 v[8:9], v[12:13], v[8:9] op_sel_hi:[0,1]
	v_pk_fma_f32 v[24:25], v[8:9], v[10:11], v[24:25]
	s_andn2_b64 exec, exec, s[12:13]
	s_cbranch_execnz .LBB176_2
; %bb.3:
	s_or_b64 exec, exec, s[12:13]
	scratch_store_dwordx4 off, v[4:7], off
	scratch_store_dwordx4 off, v[0:3], off offset:16
	scratch_store_dwordx2 off, v[24:25], off offset:32
.LBB176_4:
	s_or_b64 exec, exec, s[6:7]
	s_mov_b32 s5, 0
	v_cmp_eq_u32_e32 vcc, 0, v17
	s_waitcnt lgkmcnt(0)
	; wave barrier
	s_and_saveexec_b64 s[6:7], vcc
	s_cbranch_execz .LBB176_15
; %bb.5:
	scratch_load_dwordx2 v[2:3], off, off
	v_mbcnt_lo_u32_b32 v0, -1, 0
	v_mbcnt_hi_u32_b32 v12, -1, v0
	s_load_dwordx2 s[6:7], s[0:1], 0x38
	s_mul_i32 s0, s3, s14
	v_or_b32_e32 v1, s2, v16
	v_and_b32_e32 v0, 64, v12
	s_mul_i32 s4, s4, s18
	s_add_i32 s2, s0, s2
	v_cmp_gt_u32_e64 s[0:1], s10, v1
	v_xor_b32_e32 v1, 32, v12
	v_add_u32_e32 v13, 64, v0
	s_add_i32 s4, s2, s4
	v_cmp_lt_i32_e64 s[2:3], v1, v13
	v_cmp_gt_u32_e32 vcc, 2, v16
	s_nop 0
	v_cndmask_b32_e64 v0, v12, v1, s[2:3]
	v_lshlrev_b32_e32 v0, 2, v0
	v_xor_b32_e32 v1, 16, v12
	v_cmp_lt_i32_e64 s[2:3], v1, v13
	s_waitcnt vmcnt(0)
	ds_bpermute_b32 v4, v0, v2
	ds_bpermute_b32 v5, v0, v3
	v_cndmask_b32_e64 v1, v12, v1, s[2:3]
	v_lshlrev_b32_e32 v1, 2, v1
	s_waitcnt lgkmcnt(0)
	v_pk_add_f32 v[4:5], v[2:3], v[4:5]
	ds_bpermute_b32 v6, v1, v4
	ds_bpermute_b32 v7, v1, v5
	v_xor_b32_e32 v2, 8, v12
	v_cmp_lt_i32_e64 s[2:3], v2, v13
	v_xor_b32_e32 v3, 4, v12
	s_waitcnt lgkmcnt(0)
	v_pk_add_f32 v[4:5], v[4:5], v[6:7]
	v_cndmask_b32_e64 v2, v12, v2, s[2:3]
	v_lshlrev_b32_e32 v2, 2, v2
	ds_bpermute_b32 v6, v2, v4
	ds_bpermute_b32 v7, v2, v5
	v_cmp_lt_i32_e64 s[2:3], v3, v13
	s_waitcnt lgkmcnt(0)
	v_pk_add_f32 v[6:7], v[4:5], v[6:7]
	v_cndmask_b32_e64 v3, v12, v3, s[2:3]
	v_lshlrev_b32_e32 v3, 2, v3
	ds_bpermute_b32 v8, v3, v6
	ds_bpermute_b32 v9, v3, v7
	v_xor_b32_e32 v4, 2, v12
	v_cmp_lt_i32_e64 s[2:3], v4, v13
	v_xor_b32_e32 v5, 1, v12
	s_waitcnt lgkmcnt(0)
	v_pk_add_f32 v[8:9], v[6:7], v[8:9]
	v_cndmask_b32_e64 v4, v12, v4, s[2:3]
	v_lshlrev_b32_e32 v4, 2, v4
	ds_bpermute_b32 v10, v4, v8
	ds_bpermute_b32 v11, v4, v9
	v_cmp_lt_i32_e64 s[2:3], v5, v13
	s_waitcnt lgkmcnt(0)
	v_pk_add_f32 v[8:9], v[8:9], v[10:11]
	v_cndmask_b32_e64 v5, v12, v5, s[2:3]
	v_lshlrev_b32_e32 v6, 2, v5
	ds_bpermute_b32 v10, v6, v8
	ds_bpermute_b32 v11, v6, v9
	s_lshl_b64 s[2:3], s[4:5], 2
	s_add_u32 s2, s6, s2
	s_addc_u32 s3, s7, s3
	s_and_b64 s[0:1], vcc, s[0:1]
	s_waitcnt lgkmcnt(0)
	v_pk_add_f32 v[8:9], v[8:9], v[10:11]
	v_lshlrev_b32_e32 v5, 2, v16
	scratch_store_dwordx2 off, v[8:9], off
	s_and_saveexec_b64 s[4:5], s[0:1]
	s_cbranch_execz .LBB176_7
; %bb.6:
	scratch_load_dword v7, v5, off
	s_waitcnt vmcnt(0)
	global_store_dword v5, v7, s[2:3]
.LBB176_7:
	s_or_b64 exec, exec, s[4:5]
	scratch_load_dwordx2 v[8:9], off, off offset:8
	s_waitcnt vmcnt(0)
	ds_bpermute_b32 v10, v0, v8
	ds_bpermute_b32 v11, v0, v9
	s_waitcnt lgkmcnt(0)
	v_pk_add_f32 v[8:9], v[8:9], v[10:11]
	ds_bpermute_b32 v10, v1, v8
	ds_bpermute_b32 v11, v1, v9
	s_waitcnt lgkmcnt(0)
	v_pk_add_f32 v[8:9], v[8:9], v[10:11]
	ds_bpermute_b32 v10, v2, v8
	ds_bpermute_b32 v11, v2, v9
	s_waitcnt lgkmcnt(0)
	v_pk_add_f32 v[8:9], v[8:9], v[10:11]
	ds_bpermute_b32 v10, v3, v8
	ds_bpermute_b32 v11, v3, v9
	s_waitcnt lgkmcnt(0)
	v_pk_add_f32 v[8:9], v[8:9], v[10:11]
	ds_bpermute_b32 v10, v4, v8
	ds_bpermute_b32 v11, v4, v9
	s_waitcnt lgkmcnt(0)
	v_pk_add_f32 v[8:9], v[8:9], v[10:11]
	ds_bpermute_b32 v10, v6, v8
	ds_bpermute_b32 v11, v6, v9
	s_waitcnt lgkmcnt(0)
	v_pk_add_f32 v[8:9], v[8:9], v[10:11]
	scratch_store_dwordx2 off, v[8:9], off offset:8
	s_and_saveexec_b64 s[4:5], s[0:1]
	s_cbranch_execz .LBB176_9
; %bb.8:
	scratch_load_dword v7, v5, off offset:8
	v_add_u32_e32 v8, s10, v16
	v_mov_b32_e32 v9, 0
	v_lshl_add_u64 v[8:9], v[8:9], 2, s[2:3]
	s_waitcnt vmcnt(0)
	global_store_dword v[8:9], v7, off
.LBB176_9:
	s_or_b64 exec, exec, s[4:5]
	scratch_load_dwordx2 v[8:9], off, off offset:16
	s_waitcnt vmcnt(0)
	ds_bpermute_b32 v10, v0, v8
	ds_bpermute_b32 v11, v0, v9
	s_waitcnt lgkmcnt(0)
	v_pk_add_f32 v[8:9], v[8:9], v[10:11]
	ds_bpermute_b32 v10, v1, v8
	ds_bpermute_b32 v11, v1, v9
	s_waitcnt lgkmcnt(0)
	v_pk_add_f32 v[8:9], v[8:9], v[10:11]
	;; [unrolled: 4-line block ×6, first 2 shown]
	scratch_store_dwordx2 off, v[8:9], off offset:16
	s_and_saveexec_b64 s[4:5], s[0:1]
	s_cbranch_execz .LBB176_11
; %bb.10:
	scratch_load_dword v7, v5, off offset:16
	v_lshl_or_b32 v8, s10, 1, v16
	v_mov_b32_e32 v9, 0
	v_lshl_add_u64 v[8:9], v[8:9], 2, s[2:3]
	s_waitcnt vmcnt(0)
	global_store_dword v[8:9], v7, off
.LBB176_11:
	s_or_b64 exec, exec, s[4:5]
	scratch_load_dwordx2 v[8:9], off, off offset:24
	s_waitcnt vmcnt(0)
	ds_bpermute_b32 v10, v0, v8
	ds_bpermute_b32 v11, v0, v9
	s_waitcnt lgkmcnt(0)
	v_pk_add_f32 v[8:9], v[8:9], v[10:11]
	ds_bpermute_b32 v10, v1, v8
	ds_bpermute_b32 v11, v1, v9
	s_waitcnt lgkmcnt(0)
	v_pk_add_f32 v[8:9], v[8:9], v[10:11]
	;; [unrolled: 4-line block ×6, first 2 shown]
	scratch_store_dwordx2 off, v[8:9], off offset:24
	s_and_saveexec_b64 s[4:5], s[0:1]
	s_cbranch_execz .LBB176_13
; %bb.12:
	scratch_load_dword v7, v5, off offset:24
	v_mad_u64_u32 v[8:9], s[6:7], s10, 3, v[16:17]
	v_mov_b32_e32 v9, 0
	v_lshl_add_u64 v[8:9], v[8:9], 2, s[2:3]
	s_waitcnt vmcnt(0)
	global_store_dword v[8:9], v7, off
.LBB176_13:
	s_or_b64 exec, exec, s[4:5]
	scratch_load_dwordx2 v[8:9], off, off offset:32
	s_waitcnt vmcnt(0)
	ds_bpermute_b32 v10, v0, v8
	ds_bpermute_b32 v11, v0, v9
	s_waitcnt lgkmcnt(0)
	v_pk_add_f32 v[8:9], v[8:9], v[10:11]
	ds_bpermute_b32 v0, v1, v8
	ds_bpermute_b32 v1, v1, v9
	s_waitcnt lgkmcnt(0)
	v_pk_add_f32 v[0:1], v[8:9], v[0:1]
	;; [unrolled: 4-line block ×6, first 2 shown]
	scratch_store_dwordx2 off, v[0:1], off offset:32
	s_and_b64 exec, exec, s[0:1]
	s_cbranch_execz .LBB176_15
; %bb.14:
	scratch_load_dword v2, v5, off offset:32
	v_lshl_or_b32 v0, s10, 2, v16
	v_mov_b32_e32 v1, 0
	v_lshl_add_u64 v[0:1], v[0:1], 2, s[2:3]
	s_waitcnt vmcnt(0)
	global_store_dword v[0:1], v2, off
.LBB176_15:
	s_endpgm
	.section	.rodata,"a",@progbits
	.p2align	6, 0x0
	.amdhsa_kernel _ZL13mul_mat_vec_qIL9ggml_type17ELi5ELb0ELb0EEvPKvS2_PKi31ggml_cuda_mm_fusion_args_devicePfj15HIP_vector_typeIjLj3EEjjjS8_jjjS8_jjjj
		.amdhsa_group_segment_fixed_size 0
		.amdhsa_private_segment_fixed_size 48
		.amdhsa_kernarg_size 144
		.amdhsa_user_sgpr_count 2
		.amdhsa_user_sgpr_dispatch_ptr 0
		.amdhsa_user_sgpr_queue_ptr 0
		.amdhsa_user_sgpr_kernarg_segment_ptr 1
		.amdhsa_user_sgpr_dispatch_id 0
		.amdhsa_user_sgpr_kernarg_preload_length 0
		.amdhsa_user_sgpr_kernarg_preload_offset 0
		.amdhsa_user_sgpr_private_segment_size 0
		.amdhsa_uses_dynamic_stack 0
		.amdhsa_enable_private_segment 1
		.amdhsa_system_sgpr_workgroup_id_x 1
		.amdhsa_system_sgpr_workgroup_id_y 1
		.amdhsa_system_sgpr_workgroup_id_z 1
		.amdhsa_system_sgpr_workgroup_info 0
		.amdhsa_system_vgpr_workitem_id 1
		.amdhsa_next_free_vgpr 63
		.amdhsa_next_free_sgpr 30
		.amdhsa_accum_offset 64
		.amdhsa_reserve_vcc 1
		.amdhsa_float_round_mode_32 0
		.amdhsa_float_round_mode_16_64 0
		.amdhsa_float_denorm_mode_32 3
		.amdhsa_float_denorm_mode_16_64 3
		.amdhsa_dx10_clamp 1
		.amdhsa_ieee_mode 1
		.amdhsa_fp16_overflow 0
		.amdhsa_tg_split 0
		.amdhsa_exception_fp_ieee_invalid_op 0
		.amdhsa_exception_fp_denorm_src 0
		.amdhsa_exception_fp_ieee_div_zero 0
		.amdhsa_exception_fp_ieee_overflow 0
		.amdhsa_exception_fp_ieee_underflow 0
		.amdhsa_exception_fp_ieee_inexact 0
		.amdhsa_exception_int_div_zero 0
	.end_amdhsa_kernel
	.section	.text._ZL13mul_mat_vec_qIL9ggml_type17ELi5ELb0ELb0EEvPKvS2_PKi31ggml_cuda_mm_fusion_args_devicePfj15HIP_vector_typeIjLj3EEjjjS8_jjjS8_jjjj,"axG",@progbits,_ZL13mul_mat_vec_qIL9ggml_type17ELi5ELb0ELb0EEvPKvS2_PKi31ggml_cuda_mm_fusion_args_devicePfj15HIP_vector_typeIjLj3EEjjjS8_jjjS8_jjjj,comdat
.Lfunc_end176:
	.size	_ZL13mul_mat_vec_qIL9ggml_type17ELi5ELb0ELb0EEvPKvS2_PKi31ggml_cuda_mm_fusion_args_devicePfj15HIP_vector_typeIjLj3EEjjjS8_jjjS8_jjjj, .Lfunc_end176-_ZL13mul_mat_vec_qIL9ggml_type17ELi5ELb0ELb0EEvPKvS2_PKi31ggml_cuda_mm_fusion_args_devicePfj15HIP_vector_typeIjLj3EEjjjS8_jjjS8_jjjj
                                        ; -- End function
	.section	.AMDGPU.csdata,"",@progbits
; Kernel info:
; codeLenInByte = 7136
; NumSgprs: 36
; NumVgprs: 63
; NumAgprs: 0
; TotalNumVgprs: 63
; ScratchSize: 48
; MemoryBound: 0
; FloatMode: 240
; IeeeMode: 1
; LDSByteSize: 0 bytes/workgroup (compile time only)
; SGPRBlocks: 4
; VGPRBlocks: 7
; NumSGPRsForWavesPerEU: 36
; NumVGPRsForWavesPerEU: 63
; AccumOffset: 64
; Occupancy: 8
; WaveLimiterHint : 0
; COMPUTE_PGM_RSRC2:SCRATCH_EN: 1
; COMPUTE_PGM_RSRC2:USER_SGPR: 2
; COMPUTE_PGM_RSRC2:TRAP_HANDLER: 0
; COMPUTE_PGM_RSRC2:TGID_X_EN: 1
; COMPUTE_PGM_RSRC2:TGID_Y_EN: 1
; COMPUTE_PGM_RSRC2:TGID_Z_EN: 1
; COMPUTE_PGM_RSRC2:TIDIG_COMP_CNT: 1
; COMPUTE_PGM_RSRC3_GFX90A:ACCUM_OFFSET: 15
; COMPUTE_PGM_RSRC3_GFX90A:TG_SPLIT: 0
	.section	.text._ZL13mul_mat_vec_qIL9ggml_type17ELi6ELb0ELb0EEvPKvS2_PKi31ggml_cuda_mm_fusion_args_devicePfj15HIP_vector_typeIjLj3EEjjjS8_jjjS8_jjjj,"axG",@progbits,_ZL13mul_mat_vec_qIL9ggml_type17ELi6ELb0ELb0EEvPKvS2_PKi31ggml_cuda_mm_fusion_args_devicePfj15HIP_vector_typeIjLj3EEjjjS8_jjjS8_jjjj,comdat
	.globl	_ZL13mul_mat_vec_qIL9ggml_type17ELi6ELb0ELb0EEvPKvS2_PKi31ggml_cuda_mm_fusion_args_devicePfj15HIP_vector_typeIjLj3EEjjjS8_jjjS8_jjjj ; -- Begin function _ZL13mul_mat_vec_qIL9ggml_type17ELi6ELb0ELb0EEvPKvS2_PKi31ggml_cuda_mm_fusion_args_devicePfj15HIP_vector_typeIjLj3EEjjjS8_jjjS8_jjjj
	.p2align	8
	.type	_ZL13mul_mat_vec_qIL9ggml_type17ELi6ELb0ELb0EEvPKvS2_PKi31ggml_cuda_mm_fusion_args_devicePfj15HIP_vector_typeIjLj3EEjjjS8_jjjS8_jjjj,@function
_ZL13mul_mat_vec_qIL9ggml_type17ELi6ELb0ELb0EEvPKvS2_PKi31ggml_cuda_mm_fusion_args_devicePfj15HIP_vector_typeIjLj3EEjjjS8_jjjS8_jjjj: ; @_ZL13mul_mat_vec_qIL9ggml_type17ELi6ELb0ELb0EEvPKvS2_PKi31ggml_cuda_mm_fusion_args_devicePfj15HIP_vector_typeIjLj3EEjjjS8_jjjS8_jjjj
; %bb.0:
	v_bfe_u32 v21, v0, 10, 10
	v_and_b32_e32 v20, 0x3ff, v0
	s_mov_b32 s20, 0
	s_load_dword s5, s[0:1], 0x40
	s_load_dwordx4 s[8:11], s[0:1], 0x50
	s_load_dword s27, s[0:1], 0x60
	s_load_dwordx4 s[12:15], s[0:1], 0x68
	;; [unrolled: 2-line block ×3, first 2 shown]
	v_lshl_or_b32 v4, v21, 6, v20
	s_mov_b32 s21, s20
	s_waitcnt lgkmcnt(0)
	s_lshr_b32 s5, s5, 8
	s_mov_b32 s22, s20
	s_mov_b32 s23, s20
	v_mov_b64_e32 v[0:1], s[20:21]
	v_lshrrev_b32_e32 v36, 3, v4
	s_lshl_b32 s2, s2, 1
	v_mov_b64_e32 v[2:3], s[22:23]
	v_cmp_gt_u32_e32 vcc, s5, v36
	scratch_store_dwordx4 off, v[0:3], off offset:32
	scratch_store_dwordx4 off, v[0:3], off offset:16
	scratch_store_dwordx4 off, v[0:3], off
	s_and_saveexec_b64 s[6:7], vcc
	s_cbranch_execz .LBB177_4
; %bb.1:
	s_load_dwordx4 s[20:23], s[0:1], 0x0
	s_mul_i32 s17, s4, s17
	s_mul_i32 s24, s17, 36
	;; [unrolled: 1-line block ×3, first 2 shown]
	s_mul_hi_u32 s19, s17, 36
	s_waitcnt lgkmcnt(0)
	s_add_u32 s24, s22, s24
	s_addc_u32 s19, s23, s19
	s_mul_i32 s28, s13, 36
	s_mul_hi_u32 s29, s13, 36
	s_add_u32 s24, s24, s28
	s_mul_hi_u32 s11, s11, s3
	s_addc_u32 s25, s19, s29
	s_add_i32 s11, s3, s11
	s_lshr_b32 s11, s11, s27
	s_mul_i32 s11, s11, s12
	s_mul_hi_u32 s12, s15, s4
	s_add_i32 s12, s4, s12
	s_lshr_b32 s12, s12, s26
	s_mul_i32 s12, s12, s16
	s_mul_i32 s13, s2, s8
	s_add_i32 s12, s12, s11
	s_add_i32 s11, s12, s13
	;; [unrolled: 1-line block ×3, first 2 shown]
	s_mul_i32 s8, s8, s13
	v_lshl_add_u32 v1, v21, 6, v20
	s_add_i32 s8, s12, s8
	v_lshrrev_b32_e32 v1, 3, v1
	s_movk_i32 s12, 0x120
	v_mov_b64_e32 v[2:3], s[28:29]
	v_mad_u64_u32 v[2:3], s[12:13], v1, s12, v[2:3]
	v_lshlrev_b32_e32 v0, 1, v20
	v_and_b32_e32 v22, 7, v20
	v_mad_u64_u32 v[2:3], s[12:13], s17, 36, v[2:3]
	v_and_b32_e32 v0, 14, v0
	v_mad_u64_u32 v[2:3], s[12:13], v22, 36, v[2:3]
	v_lshlrev_b32_e32 v0, 1, v0
	v_mov_b32_e32 v23, 0
	v_lshl_add_u64 v[2:3], v[2:3], 0, s[22:23]
	v_lshlrev_b32_e32 v37, 3, v36
	s_mul_i32 s15, s9, 5
	s_lshl_b32 s19, s9, 2
	s_mul_i32 s26, s9, 3
	s_lshl_b32 s27, s9, 1
	v_lshl_add_u64 v[24:25], v[2:3], 0, 16
	s_mov_b64 s[12:13], 0
	s_movk_i32 s22, 0x4a
	v_mov_b64_e32 v[26:27], s[20:21]
	v_lshlrev_b32_e32 v28, 1, v0
	v_mov_b32_e32 v29, v23
	s_mov_b32 s23, 0x1010101
	s_movk_i32 s28, 0xff00
	s_mov_b64 s[16:17], 0x900
	v_mov_b32_e32 v38, 8
	v_mov_b32_e32 v39, 6
	;; [unrolled: 1-line block ×14, first 2 shown]
.LBB177_2:                              ; =>This Inner Loop Header: Depth=1
	v_add_u32_e32 v30, s11, v36
	v_mad_i64_i32 v[32:33], s[20:21], v30, s22, v[26:27]
	v_lshl_add_u64 v[30:31], v[32:33], 0, v[28:29]
	global_load_dword v55, v[24:25], off offset:16
	global_load_dwordx4 v[12:15], v[24:25], off
	global_load_dwordx4 v[16:19], v[24:25], off offset:-16
	global_load_dwordx2 v[34:35], v[30:31], off offset:2
	s_getpc_b64 s[20:21]
	s_add_u32 s20, s20, _ZL10iq2xs_grid@rel32@lo+4
	s_addc_u32 s21, s21, _ZL10iq2xs_grid@rel32@hi+12
	v_lshl_add_u64 v[30:31], v[32:33], 0, v[22:23]
	v_mov_b32_e32 v52, 0
	v_lshl_add_u64 v[24:25], v[24:25], 0, s[16:17]
	s_waitcnt vmcnt(1)
	v_cvt_f32_f16_e32 v16, v16
	s_waitcnt vmcnt(0)
	v_and_b32_e32 v40, 0x1ff, v34
	v_lshlrev_b32_e32 v40, 3, v40
	global_load_dwordx2 v[40:41], v40, s[20:21]
	v_lshrrev_b16_e32 v42, 9, v34
	v_bcnt_u32_b32 v43, v42, 0
	v_and_b32_e32 v43, 1, v43
	v_lshl_or_b32 v43, v43, 7, v42
	v_mul_lo_u32 v43, v43, s23
	v_and_b32_e32 v44, 0x8000000, v43
	v_lshrrev_b32_e32 v46, 8, v43
	v_lshrrev_b16_e32 v47, 1, v46
	v_cmp_ne_u16_sdwa s[30:31], v44, v23 src0_sel:BYTE_3 src1_sel:DWORD
	v_lshlrev_b16_e32 v45, 6, v34
	v_bfe_i32 v47, v47, 0, 1
	v_lshrrev_b32_e32 v48, 18, v43
	v_cndmask_b32_e64 v44, 0, -1, s[30:31]
	v_ashrrev_i16_e32 v45, 15, v45
	v_bfe_i32 v48, v48, 0, 1
	v_lshlrev_b16_e32 v44, 8, v44
	v_lshlrev_b16_e32 v47, 8, v47
	v_or_b32_sdwa v49, v48, v44 dst_sel:WORD_1 dst_unused:UNUSED_PAD src0_sel:BYTE_0 src1_sel:DWORD
	v_or_b32_sdwa v50, v45, v47 dst_sel:DWORD dst_unused:UNUSED_PAD src0_sel:BYTE_0 src1_sel:DWORD
	v_or_b32_sdwa v49, v50, v49 dst_sel:DWORD dst_unused:UNUSED_PAD src0_sel:WORD_0 src1_sel:DWORD
	v_lshlrev_b16_e32 v45, 8, v45
	v_bfe_i32 v42, v42, 4, 1
	s_waitcnt vmcnt(0)
	v_xor_b32_e32 v40, v40, v49
	v_and_b32_e32 v49, 0xffffff00, v40
	v_sub_i16 v47, v49, v47 clamp
	v_lshlrev_b16_e32 v49, 8, v40
	v_and_b32_e32 v47, 0xffffff00, v47
	v_sub_i16 v45, v49, v45 clamp
	v_or_b32_sdwa v45, v45, v47 dst_sel:DWORD dst_unused:UNUSED_PAD src0_sel:BYTE_1 src1_sel:DWORD
	v_and_b32_sdwa v47, v40, s28 dst_sel:DWORD dst_unused:UNUSED_PAD src0_sel:WORD_1 src1_sel:DWORD
	v_sub_i16 v44, v47, v44 clamp
	v_lshlrev_b16_sdwa v40, v38, v40 dst_sel:DWORD dst_unused:UNUSED_PAD src0_sel:DWORD src1_sel:WORD_1
	v_lshlrev_b16_e32 v47, 8, v48
	v_and_b32_e32 v44, 0xffffff00, v44
	v_sub_i16 v40, v40, v47 clamp
	v_or_b32_sdwa v40, v40, v44 dst_sel:WORD_1 dst_unused:UNUSED_PAD src0_sel:BYTE_1 src1_sel:DWORD
	v_and_b32_e32 v44, 0x80000000, v43
	v_or_b32_sdwa v40, v45, v40 dst_sel:DWORD dst_unused:UNUSED_PAD src0_sel:WORD_0 src1_sel:DWORD
	v_lshrrev_b16_e32 v45, 5, v46
	v_cmp_ne_u16_sdwa s[30:31], v44, v23 src0_sel:BYTE_3 src1_sel:DWORD
	v_bfe_i32 v45, v45, 0, 1
	v_lshrrev_b32_e32 v43, 22, v43
	v_cndmask_b32_e64 v44, 0, -1, s[30:31]
	v_bfe_i32 v43, v43, 0, 1
	v_lshlrev_b16_e32 v44, 8, v44
	v_lshlrev_b16_e32 v45, 8, v45
	v_or_b32_sdwa v46, v43, v44 dst_sel:WORD_1 dst_unused:UNUSED_PAD src0_sel:BYTE_0 src1_sel:DWORD
	v_or_b32_sdwa v47, v42, v45 dst_sel:DWORD dst_unused:UNUSED_PAD src0_sel:BYTE_0 src1_sel:DWORD
	v_or_b32_sdwa v46, v47, v46 dst_sel:DWORD dst_unused:UNUSED_PAD src0_sel:WORD_0 src1_sel:DWORD
	v_xor_b32_e32 v41, v41, v46
	v_and_b32_e32 v46, 0xffffff00, v41
	v_sub_i16 v45, v46, v45 clamp
	v_lshlrev_b16_e32 v46, 8, v41
	v_lshlrev_b16_e32 v42, 8, v42
	v_and_b32_e32 v45, 0xffffff00, v45
	v_sub_i16 v42, v46, v42 clamp
	v_or_b32_sdwa v42, v42, v45 dst_sel:DWORD dst_unused:UNUSED_PAD src0_sel:BYTE_1 src1_sel:DWORD
	v_and_b32_sdwa v45, v41, s28 dst_sel:DWORD dst_unused:UNUSED_PAD src0_sel:WORD_1 src1_sel:DWORD
	v_sub_i16 v44, v45, v44 clamp
	v_lshlrev_b16_sdwa v41, v38, v41 dst_sel:DWORD dst_unused:UNUSED_PAD src0_sel:DWORD src1_sel:WORD_1
	v_lshlrev_b16_e32 v43, 8, v43
	v_and_b32_e32 v44, 0xffffff00, v44
	v_sub_i16 v41, v41, v43 clamp
	v_or_b32_sdwa v41, v41, v44 dst_sel:WORD_1 dst_unused:UNUSED_PAD src0_sel:BYTE_1 src1_sel:DWORD
	v_lshrrev_b32_e32 v44, 25, v34
	v_or_b32_sdwa v41, v42, v41 dst_sel:DWORD dst_unused:UNUSED_PAD src0_sel:WORD_0 src1_sel:DWORD
	v_lshrrev_b32_e32 v42, 13, v34
	v_and_b32_e32 v42, 0xff8, v42
	global_load_dwordx2 v[42:43], v42, s[20:21]
	v_bcnt_u32_b32 v44, v44, 0
	v_and_b32_e32 v44, 1, v44
	v_alignbit_b32 v44, v44, v34, 25
	v_mul_lo_u32 v44, v44, s23
	v_and_b32_e32 v45, 0x8000000, v44
	v_lshrrev_b32_e32 v47, 8, v44
	v_lshrrev_b16_e32 v48, 1, v47
	v_cmp_ne_u16_sdwa s[30:31], v45, v23 src0_sel:BYTE_3 src1_sel:DWORD
	v_lshlrev_b16_sdwa v46, v39, v34 dst_sel:DWORD dst_unused:UNUSED_PAD src0_sel:DWORD src1_sel:WORD_1
	v_bfe_i32 v48, v48, 0, 1
	v_lshrrev_b32_e32 v49, 18, v44
	v_cndmask_b32_e64 v45, 0, -1, s[30:31]
	v_ashrrev_i16_e32 v46, 15, v46
	v_bfe_i32 v49, v49, 0, 1
	v_lshlrev_b16_e32 v45, 8, v45
	v_lshlrev_b16_e32 v48, 8, v48
	v_or_b32_sdwa v50, v49, v45 dst_sel:WORD_1 dst_unused:UNUSED_PAD src0_sel:BYTE_0 src1_sel:DWORD
	v_or_b32_sdwa v51, v46, v48 dst_sel:DWORD dst_unused:UNUSED_PAD src0_sel:BYTE_0 src1_sel:DWORD
	v_or_b32_sdwa v50, v51, v50 dst_sel:DWORD dst_unused:UNUSED_PAD src0_sel:WORD_0 src1_sel:DWORD
	v_lshlrev_b16_e32 v46, 8, v46
	v_bfe_i32 v34, v34, 29, 1
	v_dot4c_i32_i8_e32 v52, v40, v17
	v_dot4c_i32_i8_e32 v52, v41, v18
	s_waitcnt vmcnt(0)
	v_xor_b32_e32 v42, v42, v50
	v_and_b32_e32 v50, 0xffffff00, v42
	v_sub_i16 v48, v50, v48 clamp
	v_lshlrev_b16_e32 v50, 8, v42
	v_and_b32_e32 v48, 0xffffff00, v48
	v_sub_i16 v46, v50, v46 clamp
	v_or_b32_sdwa v46, v46, v48 dst_sel:DWORD dst_unused:UNUSED_PAD src0_sel:BYTE_1 src1_sel:DWORD
	v_and_b32_sdwa v48, v42, s28 dst_sel:DWORD dst_unused:UNUSED_PAD src0_sel:WORD_1 src1_sel:DWORD
	v_sub_i16 v45, v48, v45 clamp
	v_lshlrev_b16_sdwa v42, v38, v42 dst_sel:DWORD dst_unused:UNUSED_PAD src0_sel:DWORD src1_sel:WORD_1
	v_lshlrev_b16_e32 v48, 8, v49
	v_and_b32_e32 v45, 0xffffff00, v45
	v_sub_i16 v42, v42, v48 clamp
	v_or_b32_sdwa v42, v42, v45 dst_sel:WORD_1 dst_unused:UNUSED_PAD src0_sel:BYTE_1 src1_sel:DWORD
	v_and_b32_e32 v45, 0x80000000, v44
	v_or_b32_sdwa v42, v46, v42 dst_sel:DWORD dst_unused:UNUSED_PAD src0_sel:WORD_0 src1_sel:DWORD
	v_lshrrev_b16_e32 v46, 5, v47
	v_cmp_ne_u16_sdwa s[30:31], v45, v23 src0_sel:BYTE_3 src1_sel:DWORD
	v_bfe_i32 v46, v46, 0, 1
	v_lshrrev_b32_e32 v44, 22, v44
	v_cndmask_b32_e64 v45, 0, -1, s[30:31]
	v_bfe_i32 v44, v44, 0, 1
	v_lshlrev_b16_e32 v45, 8, v45
	v_lshlrev_b16_e32 v46, 8, v46
	v_or_b32_sdwa v47, v44, v45 dst_sel:WORD_1 dst_unused:UNUSED_PAD src0_sel:BYTE_0 src1_sel:DWORD
	v_or_b32_sdwa v48, v34, v46 dst_sel:DWORD dst_unused:UNUSED_PAD src0_sel:BYTE_0 src1_sel:DWORD
	v_or_b32_sdwa v47, v48, v47 dst_sel:DWORD dst_unused:UNUSED_PAD src0_sel:WORD_0 src1_sel:DWORD
	v_xor_b32_e32 v43, v43, v47
	v_and_b32_e32 v47, 0xffffff00, v43
	v_sub_i16 v46, v47, v46 clamp
	v_lshlrev_b16_e32 v47, 8, v43
	v_lshlrev_b16_e32 v34, 8, v34
	v_and_b32_e32 v46, 0xffffff00, v46
	v_sub_i16 v34, v47, v34 clamp
	v_or_b32_sdwa v34, v34, v46 dst_sel:DWORD dst_unused:UNUSED_PAD src0_sel:BYTE_1 src1_sel:DWORD
	v_and_b32_sdwa v46, v43, s28 dst_sel:DWORD dst_unused:UNUSED_PAD src0_sel:WORD_1 src1_sel:DWORD
	v_sub_i16 v45, v46, v45 clamp
	v_lshlrev_b16_sdwa v43, v38, v43 dst_sel:DWORD dst_unused:UNUSED_PAD src0_sel:DWORD src1_sel:WORD_1
	v_lshlrev_b16_e32 v44, 8, v44
	v_and_b32_e32 v45, 0xffffff00, v45
	v_sub_i16 v43, v43, v44 clamp
	v_or_b32_sdwa v43, v43, v45 dst_sel:WORD_1 dst_unused:UNUSED_PAD src0_sel:BYTE_1 src1_sel:DWORD
	v_lshlrev_b16_e32 v48, 6, v35
	v_or_b32_sdwa v43, v34, v43 dst_sel:DWORD dst_unused:UNUSED_PAD src0_sel:WORD_0 src1_sel:DWORD
	v_and_b32_e32 v34, 0x1ff, v35
	v_lshlrev_b32_e32 v34, 3, v34
	global_load_dwordx2 v[44:45], v34, s[20:21]
	v_lshrrev_b16_e32 v34, 9, v35
	v_bcnt_u32_b32 v46, v34, 0
	v_and_b32_e32 v46, 1, v46
	v_lshl_or_b32 v46, v46, 7, v34
	v_mul_lo_u32 v46, v46, s23
	v_and_b32_e32 v47, 0x8000000, v46
	v_lshrrev_b32_e32 v49, 8, v46
	v_lshrrev_b16_e32 v50, 1, v49
	v_cmp_ne_u16_sdwa s[30:31], v47, v23 src0_sel:BYTE_3 src1_sel:DWORD
	v_bfe_i32 v50, v50, 0, 1
	v_lshrrev_b32_e32 v51, 18, v46
	v_cndmask_b32_e64 v47, 0, -1, s[30:31]
	v_ashrrev_i16_e32 v48, 15, v48
	v_bfe_i32 v51, v51, 0, 1
	v_lshlrev_b16_e32 v47, 8, v47
	v_lshlrev_b16_e32 v50, 8, v50
	v_or_b32_sdwa v53, v51, v47 dst_sel:WORD_1 dst_unused:UNUSED_PAD src0_sel:BYTE_0 src1_sel:DWORD
	v_or_b32_sdwa v54, v48, v50 dst_sel:DWORD dst_unused:UNUSED_PAD src0_sel:BYTE_0 src1_sel:DWORD
	v_or_b32_sdwa v53, v54, v53 dst_sel:DWORD dst_unused:UNUSED_PAD src0_sel:WORD_0 src1_sel:DWORD
	v_lshlrev_b16_e32 v48, 8, v48
	v_bfe_i32 v34, v34, 4, 1
	v_dot4c_i32_i8_e32 v52, v42, v19
	v_dot4c_i32_i8_e32 v52, v43, v12
	s_waitcnt vmcnt(0)
	v_xor_b32_e32 v44, v44, v53
	v_and_b32_e32 v53, 0xffffff00, v44
	v_sub_i16 v50, v53, v50 clamp
	v_lshlrev_b16_e32 v53, 8, v44
	v_and_b32_e32 v50, 0xffffff00, v50
	v_sub_i16 v48, v53, v48 clamp
	v_or_b32_sdwa v48, v48, v50 dst_sel:DWORD dst_unused:UNUSED_PAD src0_sel:BYTE_1 src1_sel:DWORD
	v_and_b32_sdwa v50, v44, s28 dst_sel:DWORD dst_unused:UNUSED_PAD src0_sel:WORD_1 src1_sel:DWORD
	v_sub_i16 v47, v50, v47 clamp
	v_lshlrev_b16_sdwa v44, v38, v44 dst_sel:DWORD dst_unused:UNUSED_PAD src0_sel:DWORD src1_sel:WORD_1
	v_lshlrev_b16_e32 v50, 8, v51
	v_and_b32_e32 v47, 0xffffff00, v47
	v_sub_i16 v44, v44, v50 clamp
	v_or_b32_sdwa v44, v44, v47 dst_sel:WORD_1 dst_unused:UNUSED_PAD src0_sel:BYTE_1 src1_sel:DWORD
	v_and_b32_e32 v47, 0x80000000, v46
	v_or_b32_sdwa v44, v48, v44 dst_sel:DWORD dst_unused:UNUSED_PAD src0_sel:WORD_0 src1_sel:DWORD
	v_lshrrev_b16_e32 v48, 5, v49
	v_cmp_ne_u16_sdwa s[30:31], v47, v23 src0_sel:BYTE_3 src1_sel:DWORD
	v_bfe_i32 v48, v48, 0, 1
	v_lshrrev_b32_e32 v46, 22, v46
	v_cndmask_b32_e64 v47, 0, -1, s[30:31]
	v_bfe_i32 v46, v46, 0, 1
	v_lshlrev_b16_e32 v47, 8, v47
	v_lshlrev_b16_e32 v48, 8, v48
	v_or_b32_sdwa v49, v46, v47 dst_sel:WORD_1 dst_unused:UNUSED_PAD src0_sel:BYTE_0 src1_sel:DWORD
	v_or_b32_sdwa v50, v34, v48 dst_sel:DWORD dst_unused:UNUSED_PAD src0_sel:BYTE_0 src1_sel:DWORD
	v_or_b32_sdwa v49, v50, v49 dst_sel:DWORD dst_unused:UNUSED_PAD src0_sel:WORD_0 src1_sel:DWORD
	v_xor_b32_e32 v45, v45, v49
	v_and_b32_e32 v49, 0xffffff00, v45
	v_sub_i16 v48, v49, v48 clamp
	v_lshlrev_b16_e32 v49, 8, v45
	v_lshlrev_b16_e32 v34, 8, v34
	v_and_b32_e32 v48, 0xffffff00, v48
	v_sub_i16 v34, v49, v34 clamp
	v_or_b32_sdwa v34, v34, v48 dst_sel:DWORD dst_unused:UNUSED_PAD src0_sel:BYTE_1 src1_sel:DWORD
	v_and_b32_sdwa v48, v45, s28 dst_sel:DWORD dst_unused:UNUSED_PAD src0_sel:WORD_1 src1_sel:DWORD
	v_sub_i16 v47, v48, v47 clamp
	v_lshlrev_b16_sdwa v45, v38, v45 dst_sel:DWORD dst_unused:UNUSED_PAD src0_sel:DWORD src1_sel:WORD_1
	v_lshlrev_b16_e32 v46, 8, v46
	v_and_b32_e32 v47, 0xffffff00, v47
	v_sub_i16 v45, v45, v46 clamp
	v_or_b32_sdwa v45, v45, v47 dst_sel:WORD_1 dst_unused:UNUSED_PAD src0_sel:BYTE_1 src1_sel:DWORD
	v_lshlrev_b16_sdwa v49, v39, v35 dst_sel:DWORD dst_unused:UNUSED_PAD src0_sel:DWORD src1_sel:WORD_1
	v_or_b32_sdwa v45, v34, v45 dst_sel:DWORD dst_unused:UNUSED_PAD src0_sel:WORD_0 src1_sel:DWORD
	v_lshrrev_b32_e32 v34, 13, v35
	v_and_b32_e32 v34, 0xff8, v34
	global_load_dwordx2 v[46:47], v34, s[20:21]
	v_lshrrev_b32_e32 v34, 25, v35
	v_bcnt_u32_b32 v34, v34, 0
	v_and_b32_e32 v34, 1, v34
	v_alignbit_b32 v34, v34, v35, 25
	v_mul_lo_u32 v34, v34, s23
	v_and_b32_e32 v48, 0x8000000, v34
	v_lshrrev_b32_e32 v50, 8, v34
	v_lshrrev_b16_e32 v51, 1, v50
	v_cmp_ne_u16_sdwa s[30:31], v48, v23 src0_sel:BYTE_3 src1_sel:DWORD
	v_bfe_i32 v51, v51, 0, 1
	v_lshrrev_b32_e32 v54, 18, v34
	v_cndmask_b32_e64 v48, 0, -1, s[30:31]
	v_ashrrev_i16_e32 v49, 15, v49
	v_bfe_i32 v54, v54, 0, 1
	v_lshlrev_b16_e32 v48, 8, v48
	v_lshlrev_b16_e32 v51, 8, v51
	v_or_b32_sdwa v56, v54, v48 dst_sel:WORD_1 dst_unused:UNUSED_PAD src0_sel:BYTE_0 src1_sel:DWORD
	v_or_b32_sdwa v57, v49, v51 dst_sel:DWORD dst_unused:UNUSED_PAD src0_sel:BYTE_0 src1_sel:DWORD
	v_or_b32_sdwa v56, v57, v56 dst_sel:DWORD dst_unused:UNUSED_PAD src0_sel:WORD_0 src1_sel:DWORD
	v_lshlrev_b16_e32 v49, 8, v49
	v_bfe_i32 v35, v35, 29, 1
	v_mov_b32_e32 v53, 0
	v_dot4c_i32_i8_e32 v53, v44, v13
	v_dot4c_i32_i8_e32 v53, v45, v14
	s_waitcnt vmcnt(0)
	v_xor_b32_e32 v46, v46, v56
	v_and_b32_e32 v56, 0xffffff00, v46
	v_sub_i16 v51, v56, v51 clamp
	v_lshlrev_b16_e32 v56, 8, v46
	v_and_b32_e32 v51, 0xffffff00, v51
	v_sub_i16 v49, v56, v49 clamp
	v_or_b32_sdwa v49, v49, v51 dst_sel:DWORD dst_unused:UNUSED_PAD src0_sel:BYTE_1 src1_sel:DWORD
	v_and_b32_sdwa v51, v46, s28 dst_sel:DWORD dst_unused:UNUSED_PAD src0_sel:WORD_1 src1_sel:DWORD
	v_sub_i16 v48, v51, v48 clamp
	v_lshlrev_b16_sdwa v46, v38, v46 dst_sel:DWORD dst_unused:UNUSED_PAD src0_sel:DWORD src1_sel:WORD_1
	v_lshlrev_b16_e32 v51, 8, v54
	v_and_b32_e32 v48, 0xffffff00, v48
	v_sub_i16 v46, v46, v51 clamp
	v_or_b32_sdwa v46, v46, v48 dst_sel:WORD_1 dst_unused:UNUSED_PAD src0_sel:BYTE_1 src1_sel:DWORD
	v_and_b32_e32 v48, 0x80000000, v34
	v_or_b32_sdwa v46, v49, v46 dst_sel:DWORD dst_unused:UNUSED_PAD src0_sel:WORD_0 src1_sel:DWORD
	v_lshrrev_b16_e32 v49, 5, v50
	v_cmp_ne_u16_sdwa s[30:31], v48, v23 src0_sel:BYTE_3 src1_sel:DWORD
	v_bfe_i32 v49, v49, 0, 1
	v_lshrrev_b32_e32 v34, 22, v34
	v_cndmask_b32_e64 v48, 0, -1, s[30:31]
	v_bfe_i32 v34, v34, 0, 1
	v_lshlrev_b16_e32 v48, 8, v48
	v_lshlrev_b16_e32 v49, 8, v49
	v_or_b32_sdwa v50, v34, v48 dst_sel:WORD_1 dst_unused:UNUSED_PAD src0_sel:BYTE_0 src1_sel:DWORD
	v_or_b32_sdwa v51, v35, v49 dst_sel:DWORD dst_unused:UNUSED_PAD src0_sel:BYTE_0 src1_sel:DWORD
	v_or_b32_sdwa v50, v51, v50 dst_sel:DWORD dst_unused:UNUSED_PAD src0_sel:WORD_0 src1_sel:DWORD
	v_xor_b32_e32 v47, v47, v50
	v_and_b32_e32 v50, 0xffffff00, v47
	v_sub_i16 v49, v50, v49 clamp
	v_lshlrev_b16_e32 v50, 8, v47
	v_lshlrev_b16_e32 v35, 8, v35
	v_and_b32_e32 v49, 0xffffff00, v49
	v_sub_i16 v35, v50, v35 clamp
	v_or_b32_sdwa v35, v35, v49 dst_sel:DWORD dst_unused:UNUSED_PAD src0_sel:BYTE_1 src1_sel:DWORD
	v_and_b32_sdwa v49, v47, s28 dst_sel:DWORD dst_unused:UNUSED_PAD src0_sel:WORD_1 src1_sel:DWORD
	v_sub_i16 v48, v49, v48 clamp
	v_lshlrev_b16_sdwa v47, v38, v47 dst_sel:DWORD dst_unused:UNUSED_PAD src0_sel:DWORD src1_sel:WORD_1
	v_lshlrev_b16_e32 v34, 8, v34
	v_and_b32_e32 v48, 0xffffff00, v48
	v_sub_i16 v34, v47, v34 clamp
	global_load_ushort v54, v[32:33], off
	v_add_u32_e32 v32, s8, v36
	v_or_b32_sdwa v34, v34, v48 dst_sel:WORD_1 dst_unused:UNUSED_PAD src0_sel:BYTE_1 src1_sel:DWORD
	v_mad_i64_i32 v[32:33], s[30:31], v32, s22, v[26:27]
	v_or_b32_sdwa v47, v35, v34 dst_sel:DWORD dst_unused:UNUSED_PAD src0_sel:WORD_0 src1_sel:DWORD
	v_lshl_add_u64 v[34:35], v[32:33], 0, v[28:29]
	global_load_dwordx2 v[50:51], v[34:35], off offset:2
	v_dot4c_i32_i8_e32 v53, v46, v15
	v_dot4c_i32_i8_e32 v53, v47, v55
	v_lshl_add_u64 v[34:35], v[32:33], 0, v[22:23]
	v_add_u32_e32 v36, 8, v36
	v_cmp_le_u32_e32 vcc, s5, v36
	s_or_b64 s[12:13], vcc, s[12:13]
	s_waitcnt vmcnt(0)
	v_and_b32_e32 v48, 0x1ff, v50
	v_lshlrev_b32_e32 v48, 3, v48
	global_load_dwordx2 v[48:49], v48, s[20:21]
	v_lshrrev_b16_e32 v56, 9, v50
	v_bcnt_u32_b32 v57, v56, 0
	v_and_b32_e32 v57, 1, v57
	v_lshl_or_b32 v57, v57, 7, v56
	v_mul_lo_u32 v57, v57, s23
	v_and_b32_e32 v58, 0x8000000, v57
	v_lshrrev_b32_e32 v60, 8, v57
	v_lshrrev_b16_e32 v61, 1, v60
	v_cmp_ne_u16_sdwa s[30:31], v58, v23 src0_sel:BYTE_3 src1_sel:DWORD
	v_lshlrev_b16_e32 v59, 6, v50
	v_bfe_i32 v61, v61, 0, 1
	v_lshrrev_b32_e32 v62, 18, v57
	v_cndmask_b32_e64 v58, 0, -1, s[30:31]
	v_ashrrev_i16_e32 v59, 15, v59
	v_bfe_i32 v62, v62, 0, 1
	v_lshlrev_b16_e32 v58, 8, v58
	v_lshlrev_b16_e32 v61, 8, v61
	v_or_b32_sdwa v63, v62, v58 dst_sel:WORD_1 dst_unused:UNUSED_PAD src0_sel:BYTE_0 src1_sel:DWORD
	v_or_b32_sdwa v64, v59, v61 dst_sel:DWORD dst_unused:UNUSED_PAD src0_sel:BYTE_0 src1_sel:DWORD
	v_or_b32_sdwa v63, v64, v63 dst_sel:DWORD dst_unused:UNUSED_PAD src0_sel:WORD_0 src1_sel:DWORD
	v_lshlrev_b16_e32 v59, 8, v59
	v_bfe_i32 v56, v56, 4, 1
	s_waitcnt vmcnt(0)
	v_xor_b32_e32 v48, v48, v63
	v_and_b32_e32 v63, 0xffffff00, v48
	v_sub_i16 v61, v63, v61 clamp
	v_lshlrev_b16_e32 v63, 8, v48
	v_and_b32_e32 v61, 0xffffff00, v61
	v_sub_i16 v59, v63, v59 clamp
	v_or_b32_sdwa v59, v59, v61 dst_sel:DWORD dst_unused:UNUSED_PAD src0_sel:BYTE_1 src1_sel:DWORD
	v_and_b32_sdwa v61, v48, s28 dst_sel:DWORD dst_unused:UNUSED_PAD src0_sel:WORD_1 src1_sel:DWORD
	v_sub_i16 v58, v61, v58 clamp
	v_lshlrev_b16_sdwa v48, v38, v48 dst_sel:DWORD dst_unused:UNUSED_PAD src0_sel:DWORD src1_sel:WORD_1
	v_lshlrev_b16_e32 v61, 8, v62
	v_and_b32_e32 v58, 0xffffff00, v58
	v_sub_i16 v48, v48, v61 clamp
	v_or_b32_sdwa v48, v48, v58 dst_sel:WORD_1 dst_unused:UNUSED_PAD src0_sel:BYTE_1 src1_sel:DWORD
	v_and_b32_e32 v58, 0x80000000, v57
	v_or_b32_sdwa v48, v59, v48 dst_sel:DWORD dst_unused:UNUSED_PAD src0_sel:WORD_0 src1_sel:DWORD
	v_lshrrev_b16_e32 v59, 5, v60
	v_cmp_ne_u16_sdwa s[30:31], v58, v23 src0_sel:BYTE_3 src1_sel:DWORD
	v_bfe_i32 v59, v59, 0, 1
	v_lshrrev_b32_e32 v57, 22, v57
	v_cndmask_b32_e64 v58, 0, -1, s[30:31]
	v_bfe_i32 v57, v57, 0, 1
	v_lshlrev_b16_e32 v58, 8, v58
	v_lshlrev_b16_e32 v59, 8, v59
	v_or_b32_sdwa v60, v57, v58 dst_sel:WORD_1 dst_unused:UNUSED_PAD src0_sel:BYTE_0 src1_sel:DWORD
	v_or_b32_sdwa v61, v56, v59 dst_sel:DWORD dst_unused:UNUSED_PAD src0_sel:BYTE_0 src1_sel:DWORD
	v_or_b32_sdwa v60, v61, v60 dst_sel:DWORD dst_unused:UNUSED_PAD src0_sel:WORD_0 src1_sel:DWORD
	v_xor_b32_e32 v49, v49, v60
	v_and_b32_e32 v60, 0xffffff00, v49
	v_sub_i16 v59, v60, v59 clamp
	v_lshlrev_b16_e32 v60, 8, v49
	v_lshlrev_b16_e32 v56, 8, v56
	v_and_b32_e32 v59, 0xffffff00, v59
	v_sub_i16 v56, v60, v56 clamp
	v_or_b32_sdwa v56, v56, v59 dst_sel:DWORD dst_unused:UNUSED_PAD src0_sel:BYTE_1 src1_sel:DWORD
	v_and_b32_sdwa v59, v49, s28 dst_sel:DWORD dst_unused:UNUSED_PAD src0_sel:WORD_1 src1_sel:DWORD
	v_sub_i16 v58, v59, v58 clamp
	v_lshlrev_b16_sdwa v49, v38, v49 dst_sel:DWORD dst_unused:UNUSED_PAD src0_sel:DWORD src1_sel:WORD_1
	v_lshlrev_b16_e32 v57, 8, v57
	v_and_b32_e32 v58, 0xffffff00, v58
	v_sub_i16 v49, v49, v57 clamp
	v_or_b32_sdwa v49, v49, v58 dst_sel:WORD_1 dst_unused:UNUSED_PAD src0_sel:BYTE_1 src1_sel:DWORD
	v_lshlrev_b16_sdwa v57, v39, v50 dst_sel:DWORD dst_unused:UNUSED_PAD src0_sel:DWORD src1_sel:WORD_1
	v_or_b32_sdwa v49, v56, v49 dst_sel:DWORD dst_unused:UNUSED_PAD src0_sel:WORD_0 src1_sel:DWORD
	v_mov_b32_e32 v56, 0
	v_dot4c_i32_i8_e32 v56, v48, v17
	v_lshrrev_b32_e32 v17, 13, v50
	v_and_b32_e32 v17, 0xff8, v17
	global_load_dwordx2 v[58:59], v17, s[20:21]
	v_lshrrev_b32_e32 v17, 25, v50
	v_bcnt_u32_b32 v17, v17, 0
	v_and_b32_e32 v17, 1, v17
	v_alignbit_b32 v17, v17, v50, 25
	v_dot4c_i32_i8_e32 v56, v49, v18
	v_mul_lo_u32 v18, v17, s23
	v_and_b32_e32 v17, 0x8000000, v18
	v_lshrrev_b32_e32 v60, 8, v18
	v_lshrrev_b16_e32 v61, 1, v60
	v_cmp_ne_u16_sdwa s[30:31], v17, v23 src0_sel:BYTE_3 src1_sel:DWORD
	v_bfe_i32 v61, v61, 0, 1
	v_lshrrev_b32_e32 v62, 18, v18
	v_cndmask_b32_e64 v17, 0, -1, s[30:31]
	v_ashrrev_i16_e32 v57, 15, v57
	v_bfe_i32 v62, v62, 0, 1
	v_lshlrev_b16_e32 v17, 8, v17
	v_lshlrev_b16_e32 v61, 8, v61
	v_or_b32_sdwa v63, v62, v17 dst_sel:WORD_1 dst_unused:UNUSED_PAD src0_sel:BYTE_0 src1_sel:DWORD
	v_or_b32_sdwa v64, v57, v61 dst_sel:DWORD dst_unused:UNUSED_PAD src0_sel:BYTE_0 src1_sel:DWORD
	v_or_b32_sdwa v63, v64, v63 dst_sel:DWORD dst_unused:UNUSED_PAD src0_sel:WORD_0 src1_sel:DWORD
	v_lshlrev_b16_e32 v57, 8, v57
	v_bfe_i32 v50, v50, 29, 1
	s_waitcnt vmcnt(0)
	v_xor_b32_e32 v58, v58, v63
	v_and_b32_e32 v63, 0xffffff00, v58
	v_sub_i16 v61, v63, v61 clamp
	v_lshlrev_b16_e32 v63, 8, v58
	v_and_b32_e32 v61, 0xffffff00, v61
	v_sub_i16 v57, v63, v57 clamp
	v_or_b32_sdwa v57, v57, v61 dst_sel:DWORD dst_unused:UNUSED_PAD src0_sel:BYTE_1 src1_sel:DWORD
	v_and_b32_sdwa v61, v58, s28 dst_sel:DWORD dst_unused:UNUSED_PAD src0_sel:WORD_1 src1_sel:DWORD
	v_sub_i16 v17, v61, v17 clamp
	v_lshlrev_b16_sdwa v58, v38, v58 dst_sel:DWORD dst_unused:UNUSED_PAD src0_sel:DWORD src1_sel:WORD_1
	v_lshlrev_b16_e32 v61, 8, v62
	v_and_b32_e32 v17, 0xffffff00, v17
	v_sub_i16 v58, v58, v61 clamp
	v_or_b32_sdwa v17, v58, v17 dst_sel:WORD_1 dst_unused:UNUSED_PAD src0_sel:BYTE_1 src1_sel:DWORD
	v_lshrrev_b16_e32 v58, 5, v60
	v_or_b32_sdwa v17, v57, v17 dst_sel:DWORD dst_unused:UNUSED_PAD src0_sel:WORD_0 src1_sel:DWORD
	v_and_b32_e32 v57, 0x80000000, v18
	v_cmp_ne_u16_sdwa s[30:31], v57, v23 src0_sel:BYTE_3 src1_sel:DWORD
	v_bfe_i32 v58, v58, 0, 1
	v_lshrrev_b32_e32 v18, 22, v18
	v_cndmask_b32_e64 v57, 0, -1, s[30:31]
	v_bfe_i32 v18, v18, 0, 1
	v_lshlrev_b16_e32 v57, 8, v57
	v_lshlrev_b16_e32 v58, 8, v58
	v_or_b32_sdwa v60, v18, v57 dst_sel:WORD_1 dst_unused:UNUSED_PAD src0_sel:BYTE_0 src1_sel:DWORD
	v_or_b32_sdwa v61, v50, v58 dst_sel:DWORD dst_unused:UNUSED_PAD src0_sel:BYTE_0 src1_sel:DWORD
	v_or_b32_sdwa v60, v61, v60 dst_sel:DWORD dst_unused:UNUSED_PAD src0_sel:WORD_0 src1_sel:DWORD
	v_xor_b32_e32 v59, v59, v60
	v_and_b32_e32 v60, 0xffffff00, v59
	v_sub_i16 v58, v60, v58 clamp
	v_lshlrev_b16_e32 v60, 8, v59
	v_lshlrev_b16_e32 v50, 8, v50
	v_and_b32_e32 v58, 0xffffff00, v58
	v_sub_i16 v50, v60, v50 clamp
	v_or_b32_sdwa v50, v50, v58 dst_sel:DWORD dst_unused:UNUSED_PAD src0_sel:BYTE_1 src1_sel:DWORD
	v_and_b32_sdwa v58, v59, s28 dst_sel:DWORD dst_unused:UNUSED_PAD src0_sel:WORD_1 src1_sel:DWORD
	v_sub_i16 v57, v58, v57 clamp
	v_lshlrev_b16_sdwa v58, v38, v59 dst_sel:DWORD dst_unused:UNUSED_PAD src0_sel:DWORD src1_sel:WORD_1
	v_lshlrev_b16_e32 v18, 8, v18
	v_and_b32_e32 v57, 0xffffff00, v57
	v_sub_i16 v18, v58, v18 clamp
	v_or_b32_sdwa v18, v18, v57 dst_sel:WORD_1 dst_unused:UNUSED_PAD src0_sel:BYTE_1 src1_sel:DWORD
	v_dot4c_i32_i8_e32 v56, v17, v19
	v_or_b32_sdwa v18, v50, v18 dst_sel:DWORD dst_unused:UNUSED_PAD src0_sel:WORD_0 src1_sel:DWORD
	v_dot4c_i32_i8_e32 v56, v18, v12
	v_and_b32_e32 v12, 0x1ff, v51
	v_lshlrev_b32_e32 v12, 3, v12
	global_load_dwordx2 v[58:59], v12, s[20:21]
	v_lshrrev_b16_e32 v12, 9, v51
	v_bcnt_u32_b32 v19, v12, 0
	v_and_b32_e32 v19, 1, v19
	v_lshl_or_b32 v19, v19, 7, v12
	v_mul_lo_u32 v50, v19, s23
	v_and_b32_e32 v19, 0x8000000, v50
	v_lshrrev_b32_e32 v60, 8, v50
	v_lshrrev_b16_e32 v61, 1, v60
	v_cmp_ne_u16_sdwa s[30:31], v19, v23 src0_sel:BYTE_3 src1_sel:DWORD
	v_lshlrev_b16_e32 v57, 6, v51
	v_bfe_i32 v61, v61, 0, 1
	v_lshrrev_b32_e32 v62, 18, v50
	v_cndmask_b32_e64 v19, 0, -1, s[30:31]
	v_ashrrev_i16_e32 v57, 15, v57
	v_bfe_i32 v62, v62, 0, 1
	v_lshlrev_b16_e32 v19, 8, v19
	v_lshlrev_b16_e32 v61, 8, v61
	v_or_b32_sdwa v63, v62, v19 dst_sel:WORD_1 dst_unused:UNUSED_PAD src0_sel:BYTE_0 src1_sel:DWORD
	v_or_b32_sdwa v64, v57, v61 dst_sel:DWORD dst_unused:UNUSED_PAD src0_sel:BYTE_0 src1_sel:DWORD
	v_or_b32_sdwa v63, v64, v63 dst_sel:DWORD dst_unused:UNUSED_PAD src0_sel:WORD_0 src1_sel:DWORD
	v_lshlrev_b16_e32 v57, 8, v57
	v_bfe_i32 v12, v12, 4, 1
	s_waitcnt vmcnt(0)
	v_xor_b32_e32 v58, v58, v63
	v_and_b32_e32 v63, 0xffffff00, v58
	v_sub_i16 v61, v63, v61 clamp
	v_lshlrev_b16_e32 v63, 8, v58
	v_and_b32_e32 v61, 0xffffff00, v61
	v_sub_i16 v57, v63, v57 clamp
	v_or_b32_sdwa v57, v57, v61 dst_sel:DWORD dst_unused:UNUSED_PAD src0_sel:BYTE_1 src1_sel:DWORD
	v_and_b32_sdwa v61, v58, s28 dst_sel:DWORD dst_unused:UNUSED_PAD src0_sel:WORD_1 src1_sel:DWORD
	v_sub_i16 v19, v61, v19 clamp
	v_lshlrev_b16_sdwa v58, v38, v58 dst_sel:DWORD dst_unused:UNUSED_PAD src0_sel:DWORD src1_sel:WORD_1
	v_lshlrev_b16_e32 v61, 8, v62
	v_and_b32_e32 v19, 0xffffff00, v19
	v_sub_i16 v58, v58, v61 clamp
	v_or_b32_sdwa v19, v58, v19 dst_sel:WORD_1 dst_unused:UNUSED_PAD src0_sel:BYTE_1 src1_sel:DWORD
	v_lshrrev_b16_e32 v58, 5, v60
	v_or_b32_sdwa v19, v57, v19 dst_sel:DWORD dst_unused:UNUSED_PAD src0_sel:WORD_0 src1_sel:DWORD
	v_and_b32_e32 v57, 0x80000000, v50
	v_cmp_ne_u16_sdwa s[30:31], v57, v23 src0_sel:BYTE_3 src1_sel:DWORD
	v_bfe_i32 v58, v58, 0, 1
	v_lshrrev_b32_e32 v50, 22, v50
	v_cndmask_b32_e64 v57, 0, -1, s[30:31]
	v_bfe_i32 v50, v50, 0, 1
	v_lshlrev_b16_e32 v57, 8, v57
	v_lshlrev_b16_e32 v58, 8, v58
	v_or_b32_sdwa v60, v50, v57 dst_sel:WORD_1 dst_unused:UNUSED_PAD src0_sel:BYTE_0 src1_sel:DWORD
	v_or_b32_sdwa v61, v12, v58 dst_sel:DWORD dst_unused:UNUSED_PAD src0_sel:BYTE_0 src1_sel:DWORD
	v_or_b32_sdwa v60, v61, v60 dst_sel:DWORD dst_unused:UNUSED_PAD src0_sel:WORD_0 src1_sel:DWORD
	v_xor_b32_e32 v59, v59, v60
	v_and_b32_e32 v60, 0xffffff00, v59
	v_sub_i16 v58, v60, v58 clamp
	v_lshlrev_b16_e32 v60, 8, v59
	v_lshlrev_b16_e32 v12, 8, v12
	v_and_b32_e32 v58, 0xffffff00, v58
	v_sub_i16 v12, v60, v12 clamp
	v_or_b32_sdwa v12, v12, v58 dst_sel:DWORD dst_unused:UNUSED_PAD src0_sel:BYTE_1 src1_sel:DWORD
	v_and_b32_sdwa v58, v59, s28 dst_sel:DWORD dst_unused:UNUSED_PAD src0_sel:WORD_1 src1_sel:DWORD
	v_sub_i16 v57, v58, v57 clamp
	v_lshlrev_b16_sdwa v58, v38, v59 dst_sel:DWORD dst_unused:UNUSED_PAD src0_sel:DWORD src1_sel:WORD_1
	v_lshlrev_b16_e32 v50, 8, v50
	v_and_b32_e32 v57, 0xffffff00, v57
	v_sub_i16 v50, v58, v50 clamp
	v_or_b32_sdwa v50, v50, v57 dst_sel:WORD_1 dst_unused:UNUSED_PAD src0_sel:BYTE_1 src1_sel:DWORD
	v_lshlrev_b16_sdwa v57, v39, v51 dst_sel:DWORD dst_unused:UNUSED_PAD src0_sel:DWORD src1_sel:WORD_1
	v_or_b32_sdwa v50, v12, v50 dst_sel:DWORD dst_unused:UNUSED_PAD src0_sel:WORD_0 src1_sel:DWORD
	v_mov_b32_e32 v12, 0
	v_dot4c_i32_i8_e32 v12, v19, v13
	v_lshrrev_b32_e32 v13, 13, v51
	v_and_b32_e32 v13, 0xff8, v13
	global_load_dwordx2 v[58:59], v13, s[20:21]
	v_lshrrev_b32_e32 v13, 25, v51
	v_bcnt_u32_b32 v13, v13, 0
	v_and_b32_e32 v13, 1, v13
	v_alignbit_b32 v13, v13, v51, 25
	v_mul_lo_u32 v13, v13, s23
	v_dot4c_i32_i8_e32 v12, v50, v14
	v_and_b32_e32 v14, 0x8000000, v13
	v_lshrrev_b32_e32 v60, 8, v13
	v_lshrrev_b16_e32 v61, 1, v60
	v_cmp_ne_u16_sdwa s[20:21], v14, v23 src0_sel:BYTE_3 src1_sel:DWORD
	v_bfe_i32 v61, v61, 0, 1
	v_lshrrev_b32_e32 v62, 18, v13
	v_cndmask_b32_e64 v14, 0, -1, s[20:21]
	v_ashrrev_i16_e32 v57, 15, v57
	v_bfe_i32 v62, v62, 0, 1
	v_lshlrev_b16_e32 v14, 8, v14
	v_lshlrev_b16_e32 v61, 8, v61
	v_or_b32_sdwa v63, v62, v14 dst_sel:WORD_1 dst_unused:UNUSED_PAD src0_sel:BYTE_0 src1_sel:DWORD
	v_or_b32_sdwa v64, v57, v61 dst_sel:DWORD dst_unused:UNUSED_PAD src0_sel:BYTE_0 src1_sel:DWORD
	v_or_b32_sdwa v63, v64, v63 dst_sel:DWORD dst_unused:UNUSED_PAD src0_sel:WORD_0 src1_sel:DWORD
	v_lshlrev_b16_e32 v57, 8, v57
	v_bfe_i32 v51, v51, 29, 1
	s_waitcnt vmcnt(0)
	v_xor_b32_e32 v58, v58, v63
	v_and_b32_e32 v63, 0xffffff00, v58
	v_sub_i16 v61, v63, v61 clamp
	v_lshlrev_b16_e32 v63, 8, v58
	v_and_b32_e32 v61, 0xffffff00, v61
	v_sub_i16 v57, v63, v57 clamp
	v_or_b32_sdwa v57, v57, v61 dst_sel:DWORD dst_unused:UNUSED_PAD src0_sel:BYTE_1 src1_sel:DWORD
	v_and_b32_sdwa v61, v58, s28 dst_sel:DWORD dst_unused:UNUSED_PAD src0_sel:WORD_1 src1_sel:DWORD
	v_sub_i16 v14, v61, v14 clamp
	v_lshlrev_b16_sdwa v58, v38, v58 dst_sel:DWORD dst_unused:UNUSED_PAD src0_sel:DWORD src1_sel:WORD_1
	v_lshlrev_b16_e32 v61, 8, v62
	v_and_b32_e32 v14, 0xffffff00, v14
	v_sub_i16 v58, v58, v61 clamp
	v_or_b32_sdwa v14, v58, v14 dst_sel:WORD_1 dst_unused:UNUSED_PAD src0_sel:BYTE_1 src1_sel:DWORD
	v_lshrrev_b16_e32 v58, 5, v60
	v_or_b32_sdwa v14, v57, v14 dst_sel:DWORD dst_unused:UNUSED_PAD src0_sel:WORD_0 src1_sel:DWORD
	v_and_b32_e32 v57, 0x80000000, v13
	v_cmp_ne_u16_sdwa s[20:21], v57, v23 src0_sel:BYTE_3 src1_sel:DWORD
	v_bfe_i32 v58, v58, 0, 1
	v_lshrrev_b32_e32 v13, 22, v13
	v_cndmask_b32_e64 v57, 0, -1, s[20:21]
	v_bfe_i32 v13, v13, 0, 1
	v_lshlrev_b16_e32 v57, 8, v57
	v_lshlrev_b16_e32 v58, 8, v58
	v_or_b32_sdwa v60, v13, v57 dst_sel:WORD_1 dst_unused:UNUSED_PAD src0_sel:BYTE_0 src1_sel:DWORD
	v_or_b32_sdwa v61, v51, v58 dst_sel:DWORD dst_unused:UNUSED_PAD src0_sel:BYTE_0 src1_sel:DWORD
	v_or_b32_sdwa v60, v61, v60 dst_sel:DWORD dst_unused:UNUSED_PAD src0_sel:WORD_0 src1_sel:DWORD
	v_xor_b32_e32 v59, v59, v60
	v_and_b32_e32 v60, 0xffffff00, v59
	v_sub_i16 v58, v60, v58 clamp
	v_lshlrev_b16_e32 v60, 8, v59
	v_lshlrev_b16_e32 v51, 8, v51
	v_and_b32_e32 v58, 0xffffff00, v58
	v_sub_i16 v51, v60, v51 clamp
	v_or_b32_sdwa v51, v51, v58 dst_sel:DWORD dst_unused:UNUSED_PAD src0_sel:BYTE_1 src1_sel:DWORD
	v_and_b32_sdwa v58, v59, s28 dst_sel:DWORD dst_unused:UNUSED_PAD src0_sel:WORD_1 src1_sel:DWORD
	v_sub_i16 v57, v58, v57 clamp
	v_lshlrev_b16_sdwa v58, v38, v59 dst_sel:DWORD dst_unused:UNUSED_PAD src0_sel:DWORD src1_sel:WORD_1
	v_lshlrev_b16_e32 v13, 8, v13
	v_and_b32_e32 v57, 0xffffff00, v57
	v_sub_i16 v13, v58, v13 clamp
	v_or_b32_sdwa v13, v13, v57 dst_sel:WORD_1 dst_unused:UNUSED_PAD src0_sel:BYTE_1 src1_sel:DWORD
	v_dot4c_i32_i8_e32 v12, v14, v15
	v_or_b32_sdwa v51, v51, v13 dst_sel:DWORD dst_unused:UNUSED_PAD src0_sel:WORD_0 src1_sel:DWORD
	v_dot4c_i32_i8_e32 v12, v51, v55
	global_load_ushort v13, v[32:33], off
	global_load_ubyte v55, v[30:31], off offset:66
	global_load_ubyte v57, v[34:35], off offset:66
	s_waitcnt vmcnt(2)
	v_cvt_f32_f16_e32 v13, v13
	s_waitcnt vmcnt(1)
	v_and_b32_e32 v32, 15, v55
	s_waitcnt vmcnt(0)
	v_lshrrev_b32_e32 v15, 4, v57
	v_lshrrev_b32_e32 v30, 4, v55
	v_mul_lo_u32 v33, v52, v32
	v_add_u32_e32 v52, v53, v52
	v_mul_lo_u32 v35, v53, v30
	v_mul_lo_u32 v55, v12, v15
	v_add_u32_e32 v12, v12, v56
	v_lshrrev_b32_e32 v53, 31, v52
	v_add_u32_e32 v52, v52, v53
	v_lshrrev_b32_e32 v53, 31, v12
	v_and_b32_e32 v31, 15, v57
	v_ashrrev_i32_e32 v52, 1, v52
	v_add_u32_e32 v12, v12, v53
	v_mul_lo_u32 v34, v56, v31
	v_ashrrev_i32_e32 v12, 1, v12
	v_add3_u32 v33, v35, v33, v52
	v_add3_u32 v12, v55, v34, v12
	v_ashrrev_i32_e32 v34, 31, v33
	v_lshrrev_b32_e32 v34, 30, v34
	v_add_u32_e32 v33, v33, v34
	v_ashrrev_i32_e32 v34, 31, v12
	v_lshrrev_b32_e32 v34, 30, v34
	v_add_u32_e32 v12, v12, v34
	v_ashrrev_i32_e32 v33, 2, v33
	v_ashrrev_i32_e32 v52, 2, v12
	v_cvt_f32_f16_e32 v12, v54
	v_cvt_f32_i32_e32 v53, v52
	v_cvt_f32_i32_e32 v52, v33
	v_pk_mul_f32 v[34:35], v[16:17], v[12:13] op_sel_hi:[0,1]
	v_add_u32_e32 v16, s9, v37
	v_pk_fma_f32 v[8:9], v[34:35], v[52:53], v[8:9]
	v_mad_u64_u32 v[34:35], s[20:21], v16, 36, s[24:25]
	v_mad_u64_u32 v[34:35], s[20:21], v22, 36, v[34:35]
	global_load_dword v33, v[34:35], off offset:32
	global_load_dwordx4 v[52:55], v[34:35], off offset:16
	global_load_dwordx4 v[56:59], v[34:35], off
	v_mov_b32_e32 v34, 0
	v_mov_b32_e32 v35, 0
	s_waitcnt vmcnt(1)
	v_dot4c_i32_i8_e32 v35, v44, v53
	s_waitcnt vmcnt(0)
	v_cvt_f32_f16_e32 v16, v56
	v_mov_b32_e32 v56, 0
	v_dot4c_i32_i8_e32 v34, v40, v57
	v_dot4c_i32_i8_e32 v56, v48, v57
	v_dot4c_i32_i8_e32 v34, v41, v58
	v_dot4c_i32_i8_e32 v56, v49, v58
	v_dot4c_i32_i8_e32 v34, v42, v59
	v_dot4c_i32_i8_e32 v56, v17, v59
	v_dot4c_i32_i8_e32 v34, v43, v52
	v_dot4c_i32_i8_e32 v56, v18, v52
	v_mov_b32_e32 v52, 0
	v_dot4c_i32_i8_e32 v35, v45, v54
	v_dot4c_i32_i8_e32 v52, v19, v53
	v_dot4c_i32_i8_e32 v35, v46, v55
	v_dot4c_i32_i8_e32 v52, v50, v54
	v_dot4c_i32_i8_e32 v35, v47, v33
	v_dot4c_i32_i8_e32 v52, v14, v55
	v_dot4c_i32_i8_e32 v52, v51, v33
	v_mul_lo_u32 v33, v34, v32
	v_add_u32_e32 v34, v35, v34
	v_mul_lo_u32 v54, v35, v30
	v_lshrrev_b32_e32 v35, 31, v34
	v_mul_lo_u32 v55, v52, v15
	v_add_u32_e32 v52, v52, v56
	v_add_u32_e32 v34, v34, v35
	v_ashrrev_i32_e32 v34, 1, v34
	v_lshrrev_b32_e32 v35, 31, v52
	v_add_u32_e32 v35, v52, v35
	v_add3_u32 v33, v54, v33, v34
	v_mul_lo_u32 v53, v56, v31
	v_ashrrev_i32_e32 v35, 1, v35
	v_ashrrev_i32_e32 v34, 31, v33
	v_add3_u32 v35, v55, v53, v35
	v_lshrrev_b32_e32 v34, 30, v34
	v_add_u32_e32 v33, v33, v34
	v_ashrrev_i32_e32 v34, 31, v35
	v_lshrrev_b32_e32 v34, 30, v34
	v_add_u32_e32 v34, v35, v34
	v_ashrrev_i32_e32 v33, 2, v33
	v_ashrrev_i32_e32 v52, 2, v34
	v_cvt_f32_i32_e32 v53, v52
	v_cvt_f32_i32_e32 v52, v33
	v_pk_mul_f32 v[34:35], v[16:17], v[12:13] op_sel_hi:[0,1]
	v_add_u32_e32 v16, s27, v37
	v_pk_fma_f32 v[10:11], v[34:35], v[52:53], v[10:11]
	v_mad_u64_u32 v[34:35], s[20:21], v16, 36, s[24:25]
	v_mad_u64_u32 v[34:35], s[20:21], v22, 36, v[34:35]
	global_load_dword v33, v[34:35], off offset:32
	global_load_dwordx4 v[52:55], v[34:35], off offset:16
	global_load_dwordx4 v[56:59], v[34:35], off
	v_mov_b32_e32 v34, 0
	v_mov_b32_e32 v35, 0
	s_waitcnt vmcnt(1)
	v_dot4c_i32_i8_e32 v35, v44, v53
	s_waitcnt vmcnt(0)
	v_cvt_f32_f16_e32 v16, v56
	v_mov_b32_e32 v56, 0
	v_dot4c_i32_i8_e32 v34, v40, v57
	v_dot4c_i32_i8_e32 v56, v48, v57
	v_dot4c_i32_i8_e32 v34, v41, v58
	v_dot4c_i32_i8_e32 v56, v49, v58
	v_dot4c_i32_i8_e32 v34, v42, v59
	v_dot4c_i32_i8_e32 v56, v17, v59
	v_dot4c_i32_i8_e32 v34, v43, v52
	v_dot4c_i32_i8_e32 v56, v18, v52
	v_mov_b32_e32 v52, 0
	v_dot4c_i32_i8_e32 v35, v45, v54
	v_dot4c_i32_i8_e32 v52, v19, v53
	v_dot4c_i32_i8_e32 v35, v46, v55
	v_dot4c_i32_i8_e32 v52, v50, v54
	v_dot4c_i32_i8_e32 v35, v47, v33
	v_dot4c_i32_i8_e32 v52, v14, v55
	v_dot4c_i32_i8_e32 v52, v51, v33
	v_mul_lo_u32 v33, v34, v32
	v_add_u32_e32 v34, v35, v34
	v_mul_lo_u32 v54, v35, v30
	v_lshrrev_b32_e32 v35, 31, v34
	v_mul_lo_u32 v55, v52, v15
	v_add_u32_e32 v52, v52, v56
	v_add_u32_e32 v34, v34, v35
	v_ashrrev_i32_e32 v34, 1, v34
	v_lshrrev_b32_e32 v35, 31, v52
	v_add_u32_e32 v35, v52, v35
	v_add3_u32 v33, v54, v33, v34
	v_mul_lo_u32 v53, v56, v31
	v_ashrrev_i32_e32 v35, 1, v35
	v_ashrrev_i32_e32 v34, 31, v33
	v_add3_u32 v35, v55, v53, v35
	v_lshrrev_b32_e32 v34, 30, v34
	v_add_u32_e32 v33, v33, v34
	v_ashrrev_i32_e32 v34, 31, v35
	v_lshrrev_b32_e32 v34, 30, v34
	v_add_u32_e32 v34, v35, v34
	v_ashrrev_i32_e32 v33, 2, v33
	v_ashrrev_i32_e32 v52, 2, v34
	;; [unrolled: 55-line block ×4, first 2 shown]
	v_cvt_f32_i32_e32 v53, v52
	v_cvt_f32_i32_e32 v52, v33
	v_pk_mul_f32 v[34:35], v[16:17], v[12:13] op_sel_hi:[0,1]
	v_add_u32_e32 v16, s15, v37
	v_add_u32_e32 v37, 64, v37
	v_pk_fma_f32 v[0:1], v[34:35], v[52:53], v[0:1]
	v_mad_u64_u32 v[34:35], s[20:21], v16, 36, s[24:25]
	v_mad_u64_u32 v[34:35], s[20:21], v22, 36, v[34:35]
	global_load_dword v33, v[34:35], off offset:32
	global_load_dwordx4 v[52:55], v[34:35], off offset:16
	global_load_dwordx4 v[56:59], v[34:35], off
	v_mov_b32_e32 v34, 0
	v_mov_b32_e32 v35, 0
	s_waitcnt vmcnt(1)
	v_dot4c_i32_i8_e32 v35, v44, v53
	s_waitcnt vmcnt(0)
	v_dot4c_i32_i8_e32 v34, v40, v57
	v_mov_b32_e32 v40, 0
	v_dot4c_i32_i8_e32 v40, v48, v57
	v_dot4c_i32_i8_e32 v40, v49, v58
	;; [unrolled: 1-line block ×3, first 2 shown]
	v_mov_b32_e32 v17, 0
	v_dot4c_i32_i8_e32 v34, v41, v58
	v_dot4c_i32_i8_e32 v35, v45, v54
	;; [unrolled: 1-line block ×11, first 2 shown]
	v_mul_lo_u32 v19, v35, v30
	v_add_u32_e32 v30, v35, v34
	v_mul_lo_u32 v18, v40, v31
	v_mul_lo_u32 v15, v17, v15
	v_add_u32_e32 v17, v17, v40
	v_lshrrev_b32_e32 v31, 31, v30
	v_add_u32_e32 v30, v30, v31
	v_lshrrev_b32_e32 v31, 31, v17
	v_mul_lo_u32 v14, v34, v32
	v_ashrrev_i32_e32 v30, 1, v30
	v_add_u32_e32 v17, v17, v31
	v_ashrrev_i32_e32 v17, 1, v17
	v_add3_u32 v14, v19, v14, v30
	v_add3_u32 v15, v15, v18, v17
	v_ashrrev_i32_e32 v17, 31, v14
	v_lshrrev_b32_e32 v17, 30, v17
	v_add_u32_e32 v14, v14, v17
	v_ashrrev_i32_e32 v17, 31, v15
	v_lshrrev_b32_e32 v17, 30, v17
	v_add_u32_e32 v15, v15, v17
	v_cvt_f32_f16_e32 v16, v56
	v_ashrrev_i32_e32 v14, 2, v14
	v_ashrrev_i32_e32 v15, 2, v15
	v_cvt_f32_i32_e32 v15, v15
	v_cvt_f32_i32_e32 v14, v14
	v_pk_mul_f32 v[12:13], v[16:17], v[12:13] op_sel_hi:[0,1]
	v_pk_fma_f32 v[2:3], v[12:13], v[14:15], v[2:3]
	s_andn2_b64 exec, exec, s[12:13]
	s_cbranch_execnz .LBB177_2
; %bb.3:
	s_or_b64 exec, exec, s[12:13]
	scratch_store_dwordx4 off, v[8:11], off
	scratch_store_dwordx4 off, v[4:7], off offset:16
	scratch_store_dwordx4 off, v[0:3], off offset:32
.LBB177_4:
	s_or_b64 exec, exec, s[6:7]
	s_mov_b32 s5, 0
	v_cmp_eq_u32_e32 vcc, 0, v21
	s_waitcnt lgkmcnt(0)
	; wave barrier
	s_and_saveexec_b64 s[6:7], vcc
	s_cbranch_execz .LBB177_17
; %bb.5:
	scratch_load_dwordx2 v[2:3], off, off
	v_mbcnt_lo_u32_b32 v0, -1, 0
	v_mbcnt_hi_u32_b32 v12, -1, v0
	s_load_dwordx2 s[6:7], s[0:1], 0x38
	s_mul_i32 s0, s3, s14
	v_or_b32_e32 v1, s2, v20
	v_and_b32_e32 v0, 64, v12
	s_mul_i32 s4, s4, s18
	s_add_i32 s2, s0, s2
	v_cmp_gt_u32_e64 s[0:1], s10, v1
	v_xor_b32_e32 v1, 32, v12
	v_add_u32_e32 v13, 64, v0
	s_add_i32 s4, s2, s4
	v_cmp_lt_i32_e64 s[2:3], v1, v13
	v_cmp_gt_u32_e32 vcc, 2, v20
	s_nop 0
	v_cndmask_b32_e64 v0, v12, v1, s[2:3]
	v_lshlrev_b32_e32 v0, 2, v0
	v_xor_b32_e32 v1, 16, v12
	v_cmp_lt_i32_e64 s[2:3], v1, v13
	s_waitcnt vmcnt(0)
	ds_bpermute_b32 v4, v0, v2
	ds_bpermute_b32 v5, v0, v3
	v_cndmask_b32_e64 v1, v12, v1, s[2:3]
	v_lshlrev_b32_e32 v1, 2, v1
	s_waitcnt lgkmcnt(0)
	v_pk_add_f32 v[4:5], v[2:3], v[4:5]
	ds_bpermute_b32 v6, v1, v4
	ds_bpermute_b32 v7, v1, v5
	v_xor_b32_e32 v2, 8, v12
	v_cmp_lt_i32_e64 s[2:3], v2, v13
	v_xor_b32_e32 v3, 4, v12
	s_waitcnt lgkmcnt(0)
	v_pk_add_f32 v[4:5], v[4:5], v[6:7]
	v_cndmask_b32_e64 v2, v12, v2, s[2:3]
	v_lshlrev_b32_e32 v2, 2, v2
	ds_bpermute_b32 v6, v2, v4
	ds_bpermute_b32 v7, v2, v5
	v_cmp_lt_i32_e64 s[2:3], v3, v13
	s_waitcnt lgkmcnt(0)
	v_pk_add_f32 v[6:7], v[4:5], v[6:7]
	v_cndmask_b32_e64 v3, v12, v3, s[2:3]
	v_lshlrev_b32_e32 v3, 2, v3
	ds_bpermute_b32 v8, v3, v6
	ds_bpermute_b32 v9, v3, v7
	v_xor_b32_e32 v4, 2, v12
	v_cmp_lt_i32_e64 s[2:3], v4, v13
	v_xor_b32_e32 v5, 1, v12
	s_waitcnt lgkmcnt(0)
	v_pk_add_f32 v[8:9], v[6:7], v[8:9]
	v_cndmask_b32_e64 v4, v12, v4, s[2:3]
	v_lshlrev_b32_e32 v4, 2, v4
	ds_bpermute_b32 v10, v4, v8
	ds_bpermute_b32 v11, v4, v9
	v_cmp_lt_i32_e64 s[2:3], v5, v13
	s_waitcnt lgkmcnt(0)
	v_pk_add_f32 v[8:9], v[8:9], v[10:11]
	v_cndmask_b32_e64 v5, v12, v5, s[2:3]
	v_lshlrev_b32_e32 v6, 2, v5
	ds_bpermute_b32 v10, v6, v8
	ds_bpermute_b32 v11, v6, v9
	s_lshl_b64 s[2:3], s[4:5], 2
	s_add_u32 s2, s6, s2
	s_addc_u32 s3, s7, s3
	s_and_b64 s[0:1], vcc, s[0:1]
	s_waitcnt lgkmcnt(0)
	v_pk_add_f32 v[8:9], v[8:9], v[10:11]
	v_lshlrev_b32_e32 v5, 2, v20
	scratch_store_dwordx2 off, v[8:9], off
	s_and_saveexec_b64 s[4:5], s[0:1]
	s_cbranch_execz .LBB177_7
; %bb.6:
	scratch_load_dword v7, v5, off
	s_waitcnt vmcnt(0)
	global_store_dword v5, v7, s[2:3]
.LBB177_7:
	s_or_b64 exec, exec, s[4:5]
	scratch_load_dwordx2 v[8:9], off, off offset:8
	s_waitcnt vmcnt(0)
	ds_bpermute_b32 v10, v0, v8
	ds_bpermute_b32 v11, v0, v9
	s_waitcnt lgkmcnt(0)
	v_pk_add_f32 v[8:9], v[8:9], v[10:11]
	ds_bpermute_b32 v10, v1, v8
	ds_bpermute_b32 v11, v1, v9
	s_waitcnt lgkmcnt(0)
	v_pk_add_f32 v[8:9], v[8:9], v[10:11]
	;; [unrolled: 4-line block ×6, first 2 shown]
	scratch_store_dwordx2 off, v[8:9], off offset:8
	s_and_saveexec_b64 s[4:5], s[0:1]
	s_cbranch_execz .LBB177_9
; %bb.8:
	scratch_load_dword v7, v5, off offset:8
	v_add_u32_e32 v8, s10, v20
	v_mov_b32_e32 v9, 0
	v_lshl_add_u64 v[8:9], v[8:9], 2, s[2:3]
	s_waitcnt vmcnt(0)
	global_store_dword v[8:9], v7, off
.LBB177_9:
	s_or_b64 exec, exec, s[4:5]
	scratch_load_dwordx2 v[8:9], off, off offset:16
	s_waitcnt vmcnt(0)
	ds_bpermute_b32 v10, v0, v8
	ds_bpermute_b32 v11, v0, v9
	s_waitcnt lgkmcnt(0)
	v_pk_add_f32 v[8:9], v[8:9], v[10:11]
	ds_bpermute_b32 v10, v1, v8
	ds_bpermute_b32 v11, v1, v9
	s_waitcnt lgkmcnt(0)
	v_pk_add_f32 v[8:9], v[8:9], v[10:11]
	;; [unrolled: 4-line block ×6, first 2 shown]
	scratch_store_dwordx2 off, v[8:9], off offset:16
	s_and_saveexec_b64 s[4:5], s[0:1]
	s_cbranch_execz .LBB177_11
; %bb.10:
	scratch_load_dword v7, v5, off offset:16
	v_lshl_or_b32 v8, s10, 1, v20
	v_mov_b32_e32 v9, 0
	v_lshl_add_u64 v[8:9], v[8:9], 2, s[2:3]
	s_waitcnt vmcnt(0)
	global_store_dword v[8:9], v7, off
.LBB177_11:
	s_or_b64 exec, exec, s[4:5]
	scratch_load_dwordx2 v[8:9], off, off offset:24
	s_waitcnt vmcnt(0)
	ds_bpermute_b32 v10, v0, v8
	ds_bpermute_b32 v11, v0, v9
	s_waitcnt lgkmcnt(0)
	v_pk_add_f32 v[8:9], v[8:9], v[10:11]
	ds_bpermute_b32 v10, v1, v8
	ds_bpermute_b32 v11, v1, v9
	s_waitcnt lgkmcnt(0)
	v_pk_add_f32 v[8:9], v[8:9], v[10:11]
	;; [unrolled: 4-line block ×6, first 2 shown]
	scratch_store_dwordx2 off, v[8:9], off offset:24
	s_and_saveexec_b64 s[4:5], s[0:1]
	s_cbranch_execz .LBB177_13
; %bb.12:
	scratch_load_dword v7, v5, off offset:24
	v_mad_u64_u32 v[8:9], s[6:7], s10, 3, v[20:21]
	v_mov_b32_e32 v9, 0
	v_lshl_add_u64 v[8:9], v[8:9], 2, s[2:3]
	s_waitcnt vmcnt(0)
	global_store_dword v[8:9], v7, off
.LBB177_13:
	s_or_b64 exec, exec, s[4:5]
	scratch_load_dwordx2 v[8:9], off, off offset:32
	s_waitcnt vmcnt(0)
	ds_bpermute_b32 v10, v0, v8
	ds_bpermute_b32 v11, v0, v9
	s_waitcnt lgkmcnt(0)
	v_pk_add_f32 v[8:9], v[8:9], v[10:11]
	ds_bpermute_b32 v10, v1, v8
	ds_bpermute_b32 v11, v1, v9
	s_waitcnt lgkmcnt(0)
	v_pk_add_f32 v[8:9], v[8:9], v[10:11]
	;; [unrolled: 4-line block ×6, first 2 shown]
	scratch_store_dwordx2 off, v[8:9], off offset:32
	s_and_saveexec_b64 s[4:5], s[0:1]
	s_cbranch_execz .LBB177_15
; %bb.14:
	scratch_load_dword v7, v5, off offset:32
	v_lshl_or_b32 v8, s10, 2, v20
	v_mov_b32_e32 v9, 0
	v_lshl_add_u64 v[8:9], v[8:9], 2, s[2:3]
	s_waitcnt vmcnt(0)
	global_store_dword v[8:9], v7, off
.LBB177_15:
	s_or_b64 exec, exec, s[4:5]
	scratch_load_dwordx2 v[8:9], off, off offset:40
	s_waitcnt vmcnt(0)
	ds_bpermute_b32 v10, v0, v8
	ds_bpermute_b32 v11, v0, v9
	s_waitcnt lgkmcnt(0)
	v_pk_add_f32 v[8:9], v[8:9], v[10:11]
	ds_bpermute_b32 v0, v1, v8
	ds_bpermute_b32 v1, v1, v9
	s_waitcnt lgkmcnt(0)
	v_pk_add_f32 v[0:1], v[8:9], v[0:1]
	ds_bpermute_b32 v8, v2, v0
	ds_bpermute_b32 v9, v2, v1
	s_waitcnt lgkmcnt(0)
	v_pk_add_f32 v[0:1], v[0:1], v[8:9]
	ds_bpermute_b32 v2, v3, v0
	ds_bpermute_b32 v3, v3, v1
	s_waitcnt lgkmcnt(0)
	v_pk_add_f32 v[0:1], v[0:1], v[2:3]
	ds_bpermute_b32 v2, v4, v0
	ds_bpermute_b32 v3, v4, v1
	s_waitcnt lgkmcnt(0)
	v_pk_add_f32 v[0:1], v[0:1], v[2:3]
	ds_bpermute_b32 v2, v6, v0
	ds_bpermute_b32 v3, v6, v1
	s_waitcnt lgkmcnt(0)
	v_pk_add_f32 v[0:1], v[0:1], v[2:3]
	scratch_store_dwordx2 off, v[0:1], off offset:40
	s_and_b64 exec, exec, s[0:1]
	s_cbranch_execz .LBB177_17
; %bb.16:
	scratch_load_dword v2, v5, off offset:40
	v_mad_u64_u32 v[0:1], s[0:1], s10, 5, v[20:21]
	v_mov_b32_e32 v1, 0
	v_lshl_add_u64 v[0:1], v[0:1], 2, s[2:3]
	s_waitcnt vmcnt(0)
	global_store_dword v[0:1], v2, off
.LBB177_17:
	s_endpgm
	.section	.rodata,"a",@progbits
	.p2align	6, 0x0
	.amdhsa_kernel _ZL13mul_mat_vec_qIL9ggml_type17ELi6ELb0ELb0EEvPKvS2_PKi31ggml_cuda_mm_fusion_args_devicePfj15HIP_vector_typeIjLj3EEjjjS8_jjjS8_jjjj
		.amdhsa_group_segment_fixed_size 0
		.amdhsa_private_segment_fixed_size 64
		.amdhsa_kernarg_size 144
		.amdhsa_user_sgpr_count 2
		.amdhsa_user_sgpr_dispatch_ptr 0
		.amdhsa_user_sgpr_queue_ptr 0
		.amdhsa_user_sgpr_kernarg_segment_ptr 1
		.amdhsa_user_sgpr_dispatch_id 0
		.amdhsa_user_sgpr_kernarg_preload_length 0
		.amdhsa_user_sgpr_kernarg_preload_offset 0
		.amdhsa_user_sgpr_private_segment_size 0
		.amdhsa_uses_dynamic_stack 0
		.amdhsa_enable_private_segment 1
		.amdhsa_system_sgpr_workgroup_id_x 1
		.amdhsa_system_sgpr_workgroup_id_y 1
		.amdhsa_system_sgpr_workgroup_id_z 1
		.amdhsa_system_sgpr_workgroup_info 0
		.amdhsa_system_vgpr_workitem_id 1
		.amdhsa_next_free_vgpr 65
		.amdhsa_next_free_sgpr 32
		.amdhsa_accum_offset 68
		.amdhsa_reserve_vcc 1
		.amdhsa_float_round_mode_32 0
		.amdhsa_float_round_mode_16_64 0
		.amdhsa_float_denorm_mode_32 3
		.amdhsa_float_denorm_mode_16_64 3
		.amdhsa_dx10_clamp 1
		.amdhsa_ieee_mode 1
		.amdhsa_fp16_overflow 0
		.amdhsa_tg_split 0
		.amdhsa_exception_fp_ieee_invalid_op 0
		.amdhsa_exception_fp_denorm_src 0
		.amdhsa_exception_fp_ieee_div_zero 0
		.amdhsa_exception_fp_ieee_overflow 0
		.amdhsa_exception_fp_ieee_underflow 0
		.amdhsa_exception_fp_ieee_inexact 0
		.amdhsa_exception_int_div_zero 0
	.end_amdhsa_kernel
	.section	.text._ZL13mul_mat_vec_qIL9ggml_type17ELi6ELb0ELb0EEvPKvS2_PKi31ggml_cuda_mm_fusion_args_devicePfj15HIP_vector_typeIjLj3EEjjjS8_jjjS8_jjjj,"axG",@progbits,_ZL13mul_mat_vec_qIL9ggml_type17ELi6ELb0ELb0EEvPKvS2_PKi31ggml_cuda_mm_fusion_args_devicePfj15HIP_vector_typeIjLj3EEjjjS8_jjjS8_jjjj,comdat
.Lfunc_end177:
	.size	_ZL13mul_mat_vec_qIL9ggml_type17ELi6ELb0ELb0EEvPKvS2_PKi31ggml_cuda_mm_fusion_args_devicePfj15HIP_vector_typeIjLj3EEjjjS8_jjjS8_jjjj, .Lfunc_end177-_ZL13mul_mat_vec_qIL9ggml_type17ELi6ELb0ELb0EEvPKvS2_PKi31ggml_cuda_mm_fusion_args_devicePfj15HIP_vector_typeIjLj3EEjjjS8_jjjS8_jjjj
                                        ; -- End function
	.section	.AMDGPU.csdata,"",@progbits
; Kernel info:
; codeLenInByte = 7656
; NumSgprs: 38
; NumVgprs: 65
; NumAgprs: 0
; TotalNumVgprs: 65
; ScratchSize: 64
; MemoryBound: 0
; FloatMode: 240
; IeeeMode: 1
; LDSByteSize: 0 bytes/workgroup (compile time only)
; SGPRBlocks: 4
; VGPRBlocks: 8
; NumSGPRsForWavesPerEU: 38
; NumVGPRsForWavesPerEU: 65
; AccumOffset: 68
; Occupancy: 7
; WaveLimiterHint : 0
; COMPUTE_PGM_RSRC2:SCRATCH_EN: 1
; COMPUTE_PGM_RSRC2:USER_SGPR: 2
; COMPUTE_PGM_RSRC2:TRAP_HANDLER: 0
; COMPUTE_PGM_RSRC2:TGID_X_EN: 1
; COMPUTE_PGM_RSRC2:TGID_Y_EN: 1
; COMPUTE_PGM_RSRC2:TGID_Z_EN: 1
; COMPUTE_PGM_RSRC2:TIDIG_COMP_CNT: 1
; COMPUTE_PGM_RSRC3_GFX90A:ACCUM_OFFSET: 16
; COMPUTE_PGM_RSRC3_GFX90A:TG_SPLIT: 0
	.section	.text._ZL13mul_mat_vec_qIL9ggml_type17ELi7ELb0ELb0EEvPKvS2_PKi31ggml_cuda_mm_fusion_args_devicePfj15HIP_vector_typeIjLj3EEjjjS8_jjjS8_jjjj,"axG",@progbits,_ZL13mul_mat_vec_qIL9ggml_type17ELi7ELb0ELb0EEvPKvS2_PKi31ggml_cuda_mm_fusion_args_devicePfj15HIP_vector_typeIjLj3EEjjjS8_jjjS8_jjjj,comdat
	.globl	_ZL13mul_mat_vec_qIL9ggml_type17ELi7ELb0ELb0EEvPKvS2_PKi31ggml_cuda_mm_fusion_args_devicePfj15HIP_vector_typeIjLj3EEjjjS8_jjjS8_jjjj ; -- Begin function _ZL13mul_mat_vec_qIL9ggml_type17ELi7ELb0ELb0EEvPKvS2_PKi31ggml_cuda_mm_fusion_args_devicePfj15HIP_vector_typeIjLj3EEjjjS8_jjjS8_jjjj
	.p2align	8
	.type	_ZL13mul_mat_vec_qIL9ggml_type17ELi7ELb0ELb0EEvPKvS2_PKi31ggml_cuda_mm_fusion_args_devicePfj15HIP_vector_typeIjLj3EEjjjS8_jjjS8_jjjj,@function
_ZL13mul_mat_vec_qIL9ggml_type17ELi7ELb0ELb0EEvPKvS2_PKi31ggml_cuda_mm_fusion_args_devicePfj15HIP_vector_typeIjLj3EEjjjS8_jjjS8_jjjj: ; @_ZL13mul_mat_vec_qIL9ggml_type17ELi7ELb0ELb0EEvPKvS2_PKi31ggml_cuda_mm_fusion_args_devicePfj15HIP_vector_typeIjLj3EEjjjS8_jjjS8_jjjj
; %bb.0:
	v_bfe_u32 v13, v0, 10, 10
	v_and_b32_e32 v12, 0x3ff, v0
	s_mov_b32 s20, 0
	s_load_dword s5, s[0:1], 0x40
	s_load_dwordx4 s[8:11], s[0:1], 0x50
	s_load_dword s27, s[0:1], 0x60
	s_load_dwordx4 s[12:15], s[0:1], 0x68
	;; [unrolled: 2-line block ×3, first 2 shown]
	v_lshl_or_b32 v4, v13, 6, v12
	s_mov_b32 s21, s20
	s_waitcnt lgkmcnt(0)
	s_lshr_b32 s5, s5, 8
	v_mov_b32_e32 v15, 0
	s_mov_b32 s22, s20
	s_mov_b32 s23, s20
	v_mov_b64_e32 v[0:1], s[20:21]
	v_lshrrev_b32_e32 v36, 3, v4
	s_lshl_b32 s2, s2, 1
	v_mov_b32_e32 v14, v15
	v_mov_b64_e32 v[2:3], s[22:23]
	v_cmp_gt_u32_e32 vcc, s5, v36
	scratch_store_dwordx2 off, v[14:15], off offset:48
	scratch_store_dwordx4 off, v[0:3], off offset:32
	scratch_store_dwordx4 off, v[0:3], off offset:16
	scratch_store_dwordx4 off, v[0:3], off
	s_and_saveexec_b64 s[6:7], vcc
	s_cbranch_execz .LBB178_3
; %bb.1:
	s_load_dwordx4 s[20:23], s[0:1], 0x0
	s_mul_i32 s17, s4, s17
	s_mul_i32 s24, s17, 36
	;; [unrolled: 1-line block ×3, first 2 shown]
	s_mul_hi_u32 s19, s17, 36
	s_waitcnt lgkmcnt(0)
	s_add_u32 s24, s22, s24
	s_addc_u32 s19, s23, s19
	s_mul_i32 s28, s13, 36
	s_mul_hi_u32 s29, s13, 36
	s_add_u32 s24, s24, s28
	s_mul_hi_u32 s11, s11, s3
	s_addc_u32 s25, s19, s29
	s_add_i32 s11, s3, s11
	s_lshr_b32 s11, s11, s27
	s_mul_i32 s11, s11, s12
	s_mul_hi_u32 s12, s15, s4
	s_add_i32 s12, s4, s12
	s_lshr_b32 s12, s12, s26
	s_mul_i32 s12, s12, s16
	s_mul_i32 s13, s2, s8
	s_add_i32 s12, s12, s11
	s_add_i32 s11, s12, s13
	;; [unrolled: 1-line block ×3, first 2 shown]
	s_mul_i32 s8, s8, s13
	v_lshl_add_u32 v1, v13, 6, v12
	s_add_i32 s8, s12, s8
	v_lshrrev_b32_e32 v1, 3, v1
	s_movk_i32 s12, 0x120
	v_mov_b64_e32 v[2:3], s[28:29]
	v_mad_u64_u32 v[2:3], s[12:13], v1, s12, v[2:3]
	v_lshlrev_b32_e32 v0, 1, v12
	v_and_b32_e32 v14, 7, v12
	v_mad_u64_u32 v[2:3], s[12:13], s17, 36, v[2:3]
	v_and_b32_e32 v0, 14, v0
	v_mad_u64_u32 v[2:3], s[12:13], v14, 36, v[2:3]
	v_lshlrev_b32_e32 v0, 1, v0
	v_lshl_add_u64 v[2:3], v[2:3], 0, s[22:23]
	v_lshlrev_b32_e32 v37, 3, v36
	s_mul_i32 s15, s9, 6
	s_mul_i32 s19, s9, 5
	s_lshl_b32 s26, s9, 2
	s_mul_i32 s27, s9, 3
	v_lshl_add_u64 v[16:17], v[2:3], 0, 16
	s_lshl_b32 s22, s9, 1
	s_mov_b64 s[12:13], 0
	s_movk_i32 s23, 0x4a
	v_mov_b64_e32 v[18:19], s[20:21]
	v_lshlrev_b32_e32 v20, 1, v0
	v_mov_b32_e32 v21, v15
	s_mov_b32 s28, 0x1010101
	s_movk_i32 s29, 0xff00
	s_mov_b64 s[16:17], 0x900
	v_mov_b32_e32 v38, 3
	v_mov_b32_e32 v39, 8
	;; [unrolled: 1-line block ×3, first 2 shown]
.LBB178_2:                              ; =>This Inner Loop Header: Depth=1
	v_add_u32_e32 v9, s11, v36
	v_mad_i64_i32 v[22:23], s[20:21], v9, s23, v[18:19]
	v_lshl_add_u64 v[30:31], v[22:23], 0, v[20:21]
	global_load_dword v8, v[16:17], off offset:16
	global_load_dwordx4 v[0:3], v[16:17], off
	global_load_dwordx4 v[4:7], v[16:17], off offset:-16
	global_load_ushort v9, v[30:31], off offset:2
	global_load_dword v46, v[30:31], off offset:2
	global_load_dword v44, v[30:31], off offset:4
	;; [unrolled: 1-line block ×3, first 2 shown]
	s_getpc_b64 s[20:21]
	s_add_u32 s20, s20, _ZL10iq2xs_grid@rel32@lo+4
	s_addc_u32 s21, s21, _ZL10iq2xs_grid@rel32@hi+12
	v_lshl_add_u64 v[24:25], v[22:23], 0, v[14:15]
	v_mov_b32_e32 v62, 0
	v_lshl_add_u64 v[16:17], v[16:17], 0, s[16:17]
	s_waitcnt vmcnt(3)
	v_and_b32_e32 v10, 0x1ff, v9
	v_lshlrev_b32_sdwa v10, v38, v10 dst_sel:DWORD dst_unused:UNUSED_PAD src0_sel:DWORD src1_sel:WORD_0
	global_load_dwordx2 v[10:11], v10, s[20:21]
	v_lshrrev_b16_e32 v26, 9, v9
	v_bcnt_u32_b32 v27, v26, 0
	v_and_b32_e32 v27, 1, v27
	v_lshl_or_b32 v27, v27, 7, v26
	v_mul_lo_u32 v27, v27, s28
	v_and_b32_e32 v28, 0x8000000, v27
	v_lshrrev_b32_e32 v29, 8, v27
	v_lshrrev_b16_e32 v32, 1, v29
	v_cmp_ne_u16_sdwa s[30:31], v28, v15 src0_sel:BYTE_3 src1_sel:DWORD
	v_lshlrev_b16_e32 v9, 6, v9
	v_bfe_i32 v32, v32, 0, 1
	v_lshrrev_b32_e32 v33, 18, v27
	v_cndmask_b32_e64 v28, 0, -1, s[30:31]
	v_ashrrev_i16_e32 v9, 15, v9
	v_bfe_i32 v33, v33, 0, 1
	v_lshlrev_b16_e32 v28, 8, v28
	v_lshlrev_b16_e32 v32, 8, v32
	v_or_b32_sdwa v34, v33, v28 dst_sel:WORD_1 dst_unused:UNUSED_PAD src0_sel:BYTE_0 src1_sel:DWORD
	v_or_b32_sdwa v35, v9, v32 dst_sel:DWORD dst_unused:UNUSED_PAD src0_sel:BYTE_0 src1_sel:DWORD
	v_or_b32_sdwa v34, v35, v34 dst_sel:DWORD dst_unused:UNUSED_PAD src0_sel:WORD_0 src1_sel:DWORD
	v_lshlrev_b16_e32 v9, 8, v9
	v_cvt_f32_f16_e32 v4, v4
	s_waitcnt vmcnt(0)
	v_xor_b32_e32 v10, v10, v34
	v_and_b32_e32 v34, 0xffffff00, v10
	v_sub_i16 v32, v34, v32 clamp
	v_lshlrev_b16_e32 v34, 8, v10
	v_and_b32_e32 v32, 0xffffff00, v32
	v_sub_i16 v9, v34, v9 clamp
	v_or_b32_sdwa v9, v9, v32 dst_sel:DWORD dst_unused:UNUSED_PAD src0_sel:BYTE_1 src1_sel:DWORD
	v_and_b32_sdwa v32, v10, s29 dst_sel:DWORD dst_unused:UNUSED_PAD src0_sel:WORD_1 src1_sel:DWORD
	v_sub_i16 v28, v32, v28 clamp
	v_lshlrev_b16_sdwa v10, v39, v10 dst_sel:DWORD dst_unused:UNUSED_PAD src0_sel:DWORD src1_sel:WORD_1
	v_lshlrev_b16_e32 v32, 8, v33
	v_and_b32_e32 v28, 0xffffff00, v28
	v_sub_i16 v10, v10, v32 clamp
	v_or_b32_sdwa v10, v10, v28 dst_sel:WORD_1 dst_unused:UNUSED_PAD src0_sel:BYTE_1 src1_sel:DWORD
	s_nop 0
	v_or_b32_sdwa v47, v9, v10 dst_sel:DWORD dst_unused:UNUSED_PAD src0_sel:WORD_0 src1_sel:DWORD
	v_and_b32_e32 v9, 0x80000000, v27
	v_bfe_i32 v10, v26, 4, 1
	v_lshrrev_b16_e32 v26, 5, v29
	v_cmp_ne_u16_sdwa s[30:31], v9, v15 src0_sel:BYTE_3 src1_sel:DWORD
	v_bfe_i32 v26, v26, 0, 1
	v_lshrrev_b32_e32 v27, 22, v27
	v_cndmask_b32_e64 v9, 0, -1, s[30:31]
	v_bfe_i32 v27, v27, 0, 1
	v_lshlrev_b16_e32 v9, 8, v9
	v_lshlrev_b16_e32 v26, 8, v26
	v_or_b32_sdwa v28, v27, v9 dst_sel:WORD_1 dst_unused:UNUSED_PAD src0_sel:BYTE_0 src1_sel:DWORD
	v_or_b32_sdwa v29, v10, v26 dst_sel:DWORD dst_unused:UNUSED_PAD src0_sel:BYTE_0 src1_sel:DWORD
	v_or_b32_sdwa v28, v29, v28 dst_sel:DWORD dst_unused:UNUSED_PAD src0_sel:WORD_0 src1_sel:DWORD
	v_xor_b32_e32 v11, v11, v28
	v_and_b32_e32 v28, 0xffffff00, v11
	v_sub_i16 v26, v28, v26 clamp
	v_lshlrev_b16_e32 v28, 8, v11
	v_lshlrev_b16_e32 v10, 8, v10
	v_and_b32_e32 v26, 0xffffff00, v26
	v_sub_i16 v10, v28, v10 clamp
	v_or_b32_sdwa v10, v10, v26 dst_sel:DWORD dst_unused:UNUSED_PAD src0_sel:BYTE_1 src1_sel:DWORD
	v_and_b32_sdwa v26, v11, s29 dst_sel:DWORD dst_unused:UNUSED_PAD src0_sel:WORD_1 src1_sel:DWORD
	v_sub_i16 v9, v26, v9 clamp
	v_lshlrev_b16_sdwa v11, v39, v11 dst_sel:DWORD dst_unused:UNUSED_PAD src0_sel:DWORD src1_sel:WORD_1
	v_lshlrev_b16_e32 v26, 8, v27
	v_and_b32_e32 v9, 0xffffff00, v9
	v_sub_i16 v11, v11, v26 clamp
	v_or_b32_sdwa v9, v11, v9 dst_sel:WORD_1 dst_unused:UNUSED_PAD src0_sel:BYTE_1 src1_sel:DWORD
	v_lshrrev_b32_e32 v26, 25, v46
	v_or_b32_sdwa v48, v10, v9 dst_sel:DWORD dst_unused:UNUSED_PAD src0_sel:WORD_0 src1_sel:DWORD
	v_lshrrev_b32_e32 v10, 13, v46
	v_and_b32_e32 v10, 0xff8, v10
	global_load_dwordx2 v[10:11], v10, s[20:21]
	v_bcnt_u32_b32 v27, v26, 0
	v_and_b32_e32 v27, 1, v27
	v_alignbit_b32 v27, v27, v46, 25
	v_mul_lo_u32 v27, v27, s28
	v_and_b32_e32 v28, 0x8000000, v27
	v_lshrrev_b32_e32 v32, 8, v27
	v_lshrrev_b16_e32 v33, 1, v32
	v_cmp_ne_u16_sdwa s[30:31], v28, v15 src0_sel:BYTE_3 src1_sel:DWORD
	v_lshlrev_b16_sdwa v29, v40, v46 dst_sel:DWORD dst_unused:UNUSED_PAD src0_sel:DWORD src1_sel:WORD_1
	v_bfe_i32 v33, v33, 0, 1
	v_lshrrev_b32_e32 v34, 18, v27
	v_cndmask_b32_e64 v28, 0, -1, s[30:31]
	v_ashrrev_i16_e32 v29, 15, v29
	v_bfe_i32 v34, v34, 0, 1
	v_lshlrev_b16_e32 v28, 8, v28
	v_lshlrev_b16_e32 v33, 8, v33
	v_or_b32_sdwa v35, v34, v28 dst_sel:WORD_1 dst_unused:UNUSED_PAD src0_sel:BYTE_0 src1_sel:DWORD
	v_or_b32_sdwa v41, v29, v33 dst_sel:DWORD dst_unused:UNUSED_PAD src0_sel:BYTE_0 src1_sel:DWORD
	v_or_b32_sdwa v35, v41, v35 dst_sel:DWORD dst_unused:UNUSED_PAD src0_sel:WORD_0 src1_sel:DWORD
	v_lshlrev_b16_e32 v29, 8, v29
	v_bfe_i32 v26, v26, 4, 1
	v_mov_b32_e32 v9, 0
	v_dot4c_i32_i8_e32 v9, v47, v5
	v_dot4c_i32_i8_e32 v9, v48, v6
	s_waitcnt vmcnt(0)
	v_xor_b32_e32 v10, v10, v35
	v_and_b32_e32 v35, 0xffffff00, v10
	v_sub_i16 v33, v35, v33 clamp
	v_lshlrev_b16_e32 v35, 8, v10
	v_and_b32_e32 v33, 0xffffff00, v33
	v_sub_i16 v29, v35, v29 clamp
	v_or_b32_sdwa v29, v29, v33 dst_sel:DWORD dst_unused:UNUSED_PAD src0_sel:BYTE_1 src1_sel:DWORD
	v_and_b32_sdwa v33, v10, s29 dst_sel:DWORD dst_unused:UNUSED_PAD src0_sel:WORD_1 src1_sel:DWORD
	v_sub_i16 v28, v33, v28 clamp
	v_lshlrev_b16_sdwa v10, v39, v10 dst_sel:DWORD dst_unused:UNUSED_PAD src0_sel:DWORD src1_sel:WORD_1
	v_lshlrev_b16_e32 v33, 8, v34
	v_and_b32_e32 v28, 0xffffff00, v28
	v_sub_i16 v10, v10, v33 clamp
	v_or_b32_sdwa v10, v10, v28 dst_sel:WORD_1 dst_unused:UNUSED_PAD src0_sel:BYTE_1 src1_sel:DWORD
	v_and_b32_e32 v28, 0x80000000, v27
	v_or_b32_sdwa v10, v29, v10 dst_sel:DWORD dst_unused:UNUSED_PAD src0_sel:WORD_0 src1_sel:DWORD
	v_lshrrev_b16_e32 v29, 5, v32
	v_cmp_ne_u16_sdwa s[30:31], v28, v15 src0_sel:BYTE_3 src1_sel:DWORD
	v_bfe_i32 v29, v29, 0, 1
	v_lshrrev_b32_e32 v27, 22, v27
	v_cndmask_b32_e64 v28, 0, -1, s[30:31]
	v_bfe_i32 v27, v27, 0, 1
	v_lshlrev_b16_e32 v28, 8, v28
	v_lshlrev_b16_e32 v29, 8, v29
	v_or_b32_sdwa v32, v27, v28 dst_sel:WORD_1 dst_unused:UNUSED_PAD src0_sel:BYTE_0 src1_sel:DWORD
	v_or_b32_sdwa v33, v26, v29 dst_sel:DWORD dst_unused:UNUSED_PAD src0_sel:BYTE_0 src1_sel:DWORD
	v_or_b32_sdwa v32, v33, v32 dst_sel:DWORD dst_unused:UNUSED_PAD src0_sel:WORD_0 src1_sel:DWORD
	v_xor_b32_e32 v11, v11, v32
	v_and_b32_e32 v32, 0xffffff00, v11
	v_sub_i16 v29, v32, v29 clamp
	v_lshlrev_b16_e32 v32, 8, v11
	v_lshlrev_b16_e32 v26, 8, v26
	v_and_b32_e32 v29, 0xffffff00, v29
	v_sub_i16 v26, v32, v26 clamp
	v_or_b32_sdwa v26, v26, v29 dst_sel:DWORD dst_unused:UNUSED_PAD src0_sel:BYTE_1 src1_sel:DWORD
	v_and_b32_sdwa v29, v11, s29 dst_sel:DWORD dst_unused:UNUSED_PAD src0_sel:WORD_1 src1_sel:DWORD
	v_sub_i16 v28, v29, v28 clamp
	v_lshlrev_b16_sdwa v11, v39, v11 dst_sel:DWORD dst_unused:UNUSED_PAD src0_sel:DWORD src1_sel:WORD_1
	v_lshlrev_b16_e32 v27, 8, v27
	v_and_b32_e32 v28, 0xffffff00, v28
	v_sub_i16 v11, v11, v27 clamp
	v_or_b32_sdwa v11, v11, v28 dst_sel:WORD_1 dst_unused:UNUSED_PAD src0_sel:BYTE_1 src1_sel:DWORD
	v_dot4c_i32_i8_e32 v9, v10, v7
	v_lshrrev_b32_e32 v10, 13, v44
	v_or_b32_sdwa v11, v26, v11 dst_sel:DWORD dst_unused:UNUSED_PAD src0_sel:WORD_0 src1_sel:DWORD
	v_and_b32_e32 v10, 0xff8, v10
	v_dot4c_i32_i8_e32 v9, v11, v0
	global_load_dwordx2 v[10:11], v10, s[20:21]
	v_lshrrev_b32_e32 v26, 25, v44
	v_bcnt_u32_b32 v27, v26, 0
	v_and_b32_e32 v27, 1, v27
	v_alignbit_b32 v27, v27, v44, 25
	v_mul_lo_u32 v27, v27, s28
	v_and_b32_e32 v28, 0x8000000, v27
	v_lshrrev_b32_e32 v32, 8, v27
	v_lshrrev_b16_e32 v33, 1, v32
	v_cmp_ne_u16_sdwa s[30:31], v28, v15 src0_sel:BYTE_3 src1_sel:DWORD
	v_lshlrev_b16_sdwa v29, v40, v44 dst_sel:DWORD dst_unused:UNUSED_PAD src0_sel:DWORD src1_sel:WORD_1
	v_bfe_i32 v33, v33, 0, 1
	v_lshrrev_b32_e32 v34, 18, v27
	v_cndmask_b32_e64 v28, 0, -1, s[30:31]
	v_ashrrev_i16_e32 v29, 15, v29
	v_bfe_i32 v34, v34, 0, 1
	v_lshlrev_b16_e32 v28, 8, v28
	v_lshlrev_b16_e32 v33, 8, v33
	v_or_b32_sdwa v35, v34, v28 dst_sel:WORD_1 dst_unused:UNUSED_PAD src0_sel:BYTE_0 src1_sel:DWORD
	v_or_b32_sdwa v41, v29, v33 dst_sel:DWORD dst_unused:UNUSED_PAD src0_sel:BYTE_0 src1_sel:DWORD
	v_or_b32_sdwa v35, v41, v35 dst_sel:DWORD dst_unused:UNUSED_PAD src0_sel:WORD_0 src1_sel:DWORD
	v_lshlrev_b16_e32 v29, 8, v29
	v_bfe_i32 v26, v26, 4, 1
	s_waitcnt vmcnt(0)
	v_xor_b32_e32 v10, v10, v35
	v_and_b32_e32 v35, 0xffffff00, v10
	v_sub_i16 v33, v35, v33 clamp
	v_lshlrev_b16_e32 v35, 8, v10
	v_and_b32_e32 v33, 0xffffff00, v33
	v_sub_i16 v29, v35, v29 clamp
	v_or_b32_sdwa v29, v29, v33 dst_sel:DWORD dst_unused:UNUSED_PAD src0_sel:BYTE_1 src1_sel:DWORD
	v_and_b32_sdwa v33, v10, s29 dst_sel:DWORD dst_unused:UNUSED_PAD src0_sel:WORD_1 src1_sel:DWORD
	v_sub_i16 v28, v33, v28 clamp
	v_lshlrev_b16_sdwa v10, v39, v10 dst_sel:DWORD dst_unused:UNUSED_PAD src0_sel:DWORD src1_sel:WORD_1
	v_lshlrev_b16_e32 v33, 8, v34
	v_and_b32_e32 v28, 0xffffff00, v28
	v_sub_i16 v10, v10, v33 clamp
	v_or_b32_sdwa v10, v10, v28 dst_sel:WORD_1 dst_unused:UNUSED_PAD src0_sel:BYTE_1 src1_sel:DWORD
	s_nop 0
	v_or_b32_sdwa v28, v29, v10 dst_sel:DWORD dst_unused:UNUSED_PAD src0_sel:WORD_0 src1_sel:DWORD
	v_and_b32_e32 v10, 0x80000000, v27
	v_lshrrev_b16_e32 v29, 5, v32
	v_cmp_ne_u16_sdwa s[30:31], v10, v15 src0_sel:BYTE_3 src1_sel:DWORD
	v_bfe_i32 v29, v29, 0, 1
	v_lshrrev_b32_e32 v27, 22, v27
	v_cndmask_b32_e64 v10, 0, -1, s[30:31]
	v_bfe_i32 v27, v27, 0, 1
	v_lshlrev_b16_e32 v10, 8, v10
	v_lshlrev_b16_e32 v29, 8, v29
	v_or_b32_sdwa v32, v27, v10 dst_sel:WORD_1 dst_unused:UNUSED_PAD src0_sel:BYTE_0 src1_sel:DWORD
	v_or_b32_sdwa v33, v26, v29 dst_sel:DWORD dst_unused:UNUSED_PAD src0_sel:BYTE_0 src1_sel:DWORD
	v_or_b32_sdwa v32, v33, v32 dst_sel:DWORD dst_unused:UNUSED_PAD src0_sel:WORD_0 src1_sel:DWORD
	v_xor_b32_e32 v11, v11, v32
	v_and_b32_e32 v32, 0xffffff00, v11
	v_sub_i16 v29, v32, v29 clamp
	v_lshlrev_b16_e32 v32, 8, v11
	v_lshlrev_b16_e32 v26, 8, v26
	v_and_b32_e32 v29, 0xffffff00, v29
	v_sub_i16 v26, v32, v26 clamp
	v_or_b32_sdwa v26, v26, v29 dst_sel:DWORD dst_unused:UNUSED_PAD src0_sel:BYTE_1 src1_sel:DWORD
	v_and_b32_sdwa v29, v11, s29 dst_sel:DWORD dst_unused:UNUSED_PAD src0_sel:WORD_1 src1_sel:DWORD
	v_sub_i16 v10, v29, v10 clamp
	v_lshlrev_b16_sdwa v11, v39, v11 dst_sel:DWORD dst_unused:UNUSED_PAD src0_sel:DWORD src1_sel:WORD_1
	v_lshlrev_b16_e32 v27, 8, v27
	v_and_b32_e32 v10, 0xffffff00, v10
	v_sub_i16 v11, v11, v27 clamp
	v_or_b32_sdwa v10, v11, v10 dst_sel:WORD_1 dst_unused:UNUSED_PAD src0_sel:BYTE_1 src1_sel:DWORD
	v_lshlrev_b16_sdwa v32, v40, v42 dst_sel:DWORD dst_unused:UNUSED_PAD src0_sel:DWORD src1_sel:WORD_1
	v_or_b32_sdwa v11, v26, v10 dst_sel:DWORD dst_unused:UNUSED_PAD src0_sel:WORD_0 src1_sel:DWORD
	v_mov_b32_e32 v10, 0
	v_dot4c_i32_i8_e32 v10, v28, v1
	v_dot4c_i32_i8_e32 v10, v11, v2
	v_lshrrev_b32_e32 v11, 13, v42
	v_and_b32_e32 v11, 0xff8, v11
	global_load_dwordx2 v[26:27], v11, s[20:21]
	v_lshrrev_b32_e32 v11, 25, v42
	v_bcnt_u32_b32 v28, v11, 0
	v_and_b32_e32 v28, 1, v28
	v_alignbit_b32 v28, v28, v42, 25
	v_mul_lo_u32 v28, v28, s28
	v_and_b32_e32 v29, 0x8000000, v28
	v_lshrrev_b32_e32 v33, 8, v28
	v_lshrrev_b16_e32 v34, 1, v33
	v_cmp_ne_u16_sdwa s[30:31], v29, v15 src0_sel:BYTE_3 src1_sel:DWORD
	v_bfe_i32 v34, v34, 0, 1
	v_lshrrev_b32_e32 v35, 18, v28
	v_cndmask_b32_e64 v29, 0, -1, s[30:31]
	v_ashrrev_i16_e32 v32, 15, v32
	v_bfe_i32 v35, v35, 0, 1
	v_lshlrev_b16_e32 v29, 8, v29
	v_lshlrev_b16_e32 v34, 8, v34
	v_or_b32_sdwa v41, v35, v29 dst_sel:WORD_1 dst_unused:UNUSED_PAD src0_sel:BYTE_0 src1_sel:DWORD
	v_or_b32_sdwa v43, v32, v34 dst_sel:DWORD dst_unused:UNUSED_PAD src0_sel:BYTE_0 src1_sel:DWORD
	v_or_b32_sdwa v41, v43, v41 dst_sel:DWORD dst_unused:UNUSED_PAD src0_sel:WORD_0 src1_sel:DWORD
	v_lshlrev_b16_e32 v32, 8, v32
	v_bfe_i32 v11, v11, 4, 1
	s_waitcnt vmcnt(0)
	v_xor_b32_e32 v26, v26, v41
	v_and_b32_e32 v41, 0xffffff00, v26
	v_sub_i16 v34, v41, v34 clamp
	v_lshlrev_b16_e32 v41, 8, v26
	v_and_b32_e32 v34, 0xffffff00, v34
	v_sub_i16 v32, v41, v32 clamp
	v_or_b32_sdwa v32, v32, v34 dst_sel:DWORD dst_unused:UNUSED_PAD src0_sel:BYTE_1 src1_sel:DWORD
	v_and_b32_sdwa v34, v26, s29 dst_sel:DWORD dst_unused:UNUSED_PAD src0_sel:WORD_1 src1_sel:DWORD
	v_sub_i16 v29, v34, v29 clamp
	v_lshlrev_b16_sdwa v26, v39, v26 dst_sel:DWORD dst_unused:UNUSED_PAD src0_sel:DWORD src1_sel:WORD_1
	v_lshlrev_b16_e32 v34, 8, v35
	v_and_b32_e32 v29, 0xffffff00, v29
	v_sub_i16 v26, v26, v34 clamp
	v_or_b32_sdwa v26, v26, v29 dst_sel:WORD_1 dst_unused:UNUSED_PAD src0_sel:BYTE_1 src1_sel:DWORD
	v_and_b32_e32 v29, 0x80000000, v28
	v_or_b32_sdwa v26, v32, v26 dst_sel:DWORD dst_unused:UNUSED_PAD src0_sel:WORD_0 src1_sel:DWORD
	v_lshrrev_b16_e32 v32, 5, v33
	v_cmp_ne_u16_sdwa s[30:31], v29, v15 src0_sel:BYTE_3 src1_sel:DWORD
	v_bfe_i32 v32, v32, 0, 1
	v_lshrrev_b32_e32 v28, 22, v28
	v_cndmask_b32_e64 v29, 0, -1, s[30:31]
	v_bfe_i32 v28, v28, 0, 1
	v_lshlrev_b16_e32 v29, 8, v29
	v_lshlrev_b16_e32 v32, 8, v32
	v_or_b32_sdwa v33, v28, v29 dst_sel:WORD_1 dst_unused:UNUSED_PAD src0_sel:BYTE_0 src1_sel:DWORD
	v_or_b32_sdwa v34, v11, v32 dst_sel:DWORD dst_unused:UNUSED_PAD src0_sel:BYTE_0 src1_sel:DWORD
	v_or_b32_sdwa v33, v34, v33 dst_sel:DWORD dst_unused:UNUSED_PAD src0_sel:WORD_0 src1_sel:DWORD
	v_xor_b32_e32 v27, v27, v33
	v_and_b32_e32 v33, 0xffffff00, v27
	v_sub_i16 v32, v33, v32 clamp
	v_lshlrev_b16_e32 v33, 8, v27
	v_lshlrev_b16_e32 v11, 8, v11
	v_and_b32_e32 v32, 0xffffff00, v32
	v_sub_i16 v11, v33, v11 clamp
	v_or_b32_sdwa v11, v11, v32 dst_sel:DWORD dst_unused:UNUSED_PAD src0_sel:BYTE_1 src1_sel:DWORD
	v_and_b32_sdwa v32, v27, s29 dst_sel:DWORD dst_unused:UNUSED_PAD src0_sel:WORD_1 src1_sel:DWORD
	v_sub_i16 v29, v32, v29 clamp
	v_lshlrev_b16_sdwa v27, v39, v27 dst_sel:DWORD dst_unused:UNUSED_PAD src0_sel:DWORD src1_sel:WORD_1
	v_lshlrev_b16_e32 v28, 8, v28
	v_and_b32_e32 v29, 0xffffff00, v29
	v_sub_i16 v27, v27, v28 clamp
	v_or_b32_sdwa v27, v27, v29 dst_sel:WORD_1 dst_unused:UNUSED_PAD src0_sel:BYTE_1 src1_sel:DWORD
	v_dot4c_i32_i8_e32 v10, v26, v3
	v_add_u32_e32 v26, s8, v36
	v_or_b32_sdwa v11, v11, v27 dst_sel:DWORD dst_unused:UNUSED_PAD src0_sel:WORD_0 src1_sel:DWORD
	v_mad_i64_i32 v[26:27], s[30:31], v26, s23, v[18:19]
	v_lshl_add_u64 v[32:33], v[26:27], 0, v[20:21]
	v_dot4c_i32_i8_e32 v10, v11, v8
	global_load_ushort v11, v[22:23], off
	global_load_ushort v49, v[32:33], off offset:2
	global_load_dword v45, v[32:33], off offset:2
	global_load_dword v43, v[32:33], off offset:4
	;; [unrolled: 1-line block ×3, first 2 shown]
	v_lshl_add_u64 v[28:29], v[26:27], 0, v[14:15]
	v_add_u32_e32 v36, 8, v36
	v_cmp_le_u32_e32 vcc, s5, v36
	s_or_b64 s[12:13], vcc, s[12:13]
	s_waitcnt vmcnt(3)
	v_and_b32_e32 v34, 0x1ff, v49
	v_lshlrev_b32_sdwa v34, v38, v34 dst_sel:DWORD dst_unused:UNUSED_PAD src0_sel:DWORD src1_sel:WORD_0
	global_load_dwordx2 v[34:35], v34, s[20:21]
	v_lshrrev_b16_e32 v50, 9, v49
	v_bcnt_u32_b32 v51, v50, 0
	v_and_b32_e32 v51, 1, v51
	v_lshl_or_b32 v51, v51, 7, v50
	v_mul_lo_u32 v51, v51, s28
	v_and_b32_e32 v52, 0x8000000, v51
	v_lshrrev_b32_e32 v53, 8, v51
	v_lshrrev_b16_e32 v54, 1, v53
	v_cmp_ne_u16_sdwa s[30:31], v52, v15 src0_sel:BYTE_3 src1_sel:DWORD
	v_lshlrev_b16_e32 v49, 6, v49
	v_bfe_i32 v54, v54, 0, 1
	v_lshrrev_b32_e32 v55, 18, v51
	v_cndmask_b32_e64 v52, 0, -1, s[30:31]
	v_ashrrev_i16_e32 v49, 15, v49
	v_bfe_i32 v55, v55, 0, 1
	v_lshlrev_b16_e32 v52, 8, v52
	v_lshlrev_b16_e32 v54, 8, v54
	v_or_b32_sdwa v56, v55, v52 dst_sel:WORD_1 dst_unused:UNUSED_PAD src0_sel:BYTE_0 src1_sel:DWORD
	v_or_b32_sdwa v57, v49, v54 dst_sel:DWORD dst_unused:UNUSED_PAD src0_sel:BYTE_0 src1_sel:DWORD
	v_or_b32_sdwa v56, v57, v56 dst_sel:DWORD dst_unused:UNUSED_PAD src0_sel:WORD_0 src1_sel:DWORD
	v_lshlrev_b16_e32 v49, 8, v49
	v_bfe_i32 v50, v50, 4, 1
	s_waitcnt vmcnt(0)
	v_xor_b32_e32 v34, v34, v56
	v_and_b32_e32 v56, 0xffffff00, v34
	v_sub_i16 v54, v56, v54 clamp
	v_lshlrev_b16_e32 v56, 8, v34
	v_and_b32_e32 v54, 0xffffff00, v54
	v_sub_i16 v49, v56, v49 clamp
	v_or_b32_sdwa v49, v49, v54 dst_sel:DWORD dst_unused:UNUSED_PAD src0_sel:BYTE_1 src1_sel:DWORD
	v_and_b32_sdwa v54, v34, s29 dst_sel:DWORD dst_unused:UNUSED_PAD src0_sel:WORD_1 src1_sel:DWORD
	v_sub_i16 v52, v54, v52 clamp
	v_lshlrev_b16_sdwa v34, v39, v34 dst_sel:DWORD dst_unused:UNUSED_PAD src0_sel:DWORD src1_sel:WORD_1
	v_lshlrev_b16_e32 v54, 8, v55
	v_and_b32_e32 v52, 0xffffff00, v52
	v_sub_i16 v34, v34, v54 clamp
	v_or_b32_sdwa v34, v34, v52 dst_sel:WORD_1 dst_unused:UNUSED_PAD src0_sel:BYTE_1 src1_sel:DWORD
	v_lshrrev_b16_e32 v52, 5, v53
	v_or_b32_sdwa v49, v49, v34 dst_sel:DWORD dst_unused:UNUSED_PAD src0_sel:WORD_0 src1_sel:DWORD
	v_and_b32_e32 v34, 0x80000000, v51
	v_cmp_ne_u16_sdwa s[30:31], v34, v15 src0_sel:BYTE_3 src1_sel:DWORD
	v_bfe_i32 v52, v52, 0, 1
	v_lshrrev_b32_e32 v51, 22, v51
	v_cndmask_b32_e64 v34, 0, -1, s[30:31]
	v_bfe_i32 v51, v51, 0, 1
	v_lshlrev_b16_e32 v34, 8, v34
	v_lshlrev_b16_e32 v52, 8, v52
	v_or_b32_sdwa v53, v51, v34 dst_sel:WORD_1 dst_unused:UNUSED_PAD src0_sel:BYTE_0 src1_sel:DWORD
	v_or_b32_sdwa v54, v50, v52 dst_sel:DWORD dst_unused:UNUSED_PAD src0_sel:BYTE_0 src1_sel:DWORD
	v_or_b32_sdwa v53, v54, v53 dst_sel:DWORD dst_unused:UNUSED_PAD src0_sel:WORD_0 src1_sel:DWORD
	v_xor_b32_e32 v35, v35, v53
	v_and_b32_e32 v53, 0xffffff00, v35
	v_sub_i16 v52, v53, v52 clamp
	v_lshlrev_b16_e32 v53, 8, v35
	v_lshlrev_b16_e32 v50, 8, v50
	v_and_b32_e32 v52, 0xffffff00, v52
	v_sub_i16 v50, v53, v50 clamp
	v_or_b32_sdwa v50, v50, v52 dst_sel:DWORD dst_unused:UNUSED_PAD src0_sel:BYTE_1 src1_sel:DWORD
	v_and_b32_sdwa v52, v35, s29 dst_sel:DWORD dst_unused:UNUSED_PAD src0_sel:WORD_1 src1_sel:DWORD
	v_sub_i16 v34, v52, v34 clamp
	v_lshlrev_b16_sdwa v35, v39, v35 dst_sel:DWORD dst_unused:UNUSED_PAD src0_sel:DWORD src1_sel:WORD_1
	v_lshlrev_b16_e32 v51, 8, v51
	v_mov_b32_e32 v55, 0
	v_and_b32_e32 v34, 0xffffff00, v34
	v_sub_i16 v35, v35, v51 clamp
	v_dot4c_i32_i8_e32 v55, v49, v5
	v_lshrrev_b32_e32 v5, 13, v45
	v_or_b32_sdwa v34, v35, v34 dst_sel:WORD_1 dst_unused:UNUSED_PAD src0_sel:BYTE_1 src1_sel:DWORD
	v_and_b32_e32 v5, 0xff8, v5
	v_or_b32_sdwa v50, v50, v34 dst_sel:DWORD dst_unused:UNUSED_PAD src0_sel:WORD_0 src1_sel:DWORD
	global_load_dwordx2 v[34:35], v5, s[20:21]
	v_lshrrev_b32_e32 v5, 25, v45
	v_dot4c_i32_i8_e32 v55, v50, v6
	v_bcnt_u32_b32 v6, v5, 0
	v_and_b32_e32 v6, 1, v6
	v_alignbit_b32 v6, v6, v45, 25
	v_mul_lo_u32 v6, v6, s28
	v_and_b32_e32 v51, 0x8000000, v6
	v_lshrrev_b32_e32 v53, 8, v6
	v_lshrrev_b16_e32 v54, 1, v53
	v_cmp_ne_u16_sdwa s[30:31], v51, v15 src0_sel:BYTE_3 src1_sel:DWORD
	v_lshlrev_b16_sdwa v52, v40, v45 dst_sel:DWORD dst_unused:UNUSED_PAD src0_sel:DWORD src1_sel:WORD_1
	v_bfe_i32 v54, v54, 0, 1
	v_lshrrev_b32_e32 v56, 18, v6
	v_cndmask_b32_e64 v51, 0, -1, s[30:31]
	v_ashrrev_i16_e32 v52, 15, v52
	v_bfe_i32 v56, v56, 0, 1
	v_lshlrev_b16_e32 v51, 8, v51
	v_lshlrev_b16_e32 v54, 8, v54
	v_or_b32_sdwa v57, v56, v51 dst_sel:WORD_1 dst_unused:UNUSED_PAD src0_sel:BYTE_0 src1_sel:DWORD
	v_or_b32_sdwa v58, v52, v54 dst_sel:DWORD dst_unused:UNUSED_PAD src0_sel:BYTE_0 src1_sel:DWORD
	v_or_b32_sdwa v57, v58, v57 dst_sel:DWORD dst_unused:UNUSED_PAD src0_sel:WORD_0 src1_sel:DWORD
	v_lshlrev_b16_e32 v52, 8, v52
	v_bfe_i32 v5, v5, 4, 1
	s_waitcnt vmcnt(0)
	v_xor_b32_e32 v34, v34, v57
	v_and_b32_e32 v57, 0xffffff00, v34
	v_sub_i16 v54, v57, v54 clamp
	v_lshlrev_b16_e32 v57, 8, v34
	v_and_b32_e32 v54, 0xffffff00, v54
	v_sub_i16 v52, v57, v52 clamp
	v_or_b32_sdwa v52, v52, v54 dst_sel:DWORD dst_unused:UNUSED_PAD src0_sel:BYTE_1 src1_sel:DWORD
	v_and_b32_sdwa v54, v34, s29 dst_sel:DWORD dst_unused:UNUSED_PAD src0_sel:WORD_1 src1_sel:DWORD
	v_sub_i16 v51, v54, v51 clamp
	v_lshlrev_b16_sdwa v34, v39, v34 dst_sel:DWORD dst_unused:UNUSED_PAD src0_sel:DWORD src1_sel:WORD_1
	v_lshlrev_b16_e32 v54, 8, v56
	v_and_b32_e32 v51, 0xffffff00, v51
	v_sub_i16 v34, v34, v54 clamp
	v_or_b32_sdwa v34, v34, v51 dst_sel:WORD_1 dst_unused:UNUSED_PAD src0_sel:BYTE_1 src1_sel:DWORD
	v_and_b32_e32 v51, 0x80000000, v6
	v_or_b32_sdwa v34, v52, v34 dst_sel:DWORD dst_unused:UNUSED_PAD src0_sel:WORD_0 src1_sel:DWORD
	v_lshrrev_b16_e32 v52, 5, v53
	v_cmp_ne_u16_sdwa s[30:31], v51, v15 src0_sel:BYTE_3 src1_sel:DWORD
	v_bfe_i32 v52, v52, 0, 1
	v_lshrrev_b32_e32 v6, 22, v6
	v_cndmask_b32_e64 v51, 0, -1, s[30:31]
	v_bfe_i32 v6, v6, 0, 1
	v_lshlrev_b16_e32 v51, 8, v51
	v_lshlrev_b16_e32 v52, 8, v52
	v_or_b32_sdwa v53, v6, v51 dst_sel:WORD_1 dst_unused:UNUSED_PAD src0_sel:BYTE_0 src1_sel:DWORD
	v_or_b32_sdwa v54, v5, v52 dst_sel:DWORD dst_unused:UNUSED_PAD src0_sel:BYTE_0 src1_sel:DWORD
	v_or_b32_sdwa v53, v54, v53 dst_sel:DWORD dst_unused:UNUSED_PAD src0_sel:WORD_0 src1_sel:DWORD
	v_xor_b32_e32 v35, v35, v53
	v_and_b32_e32 v53, 0xffffff00, v35
	v_sub_i16 v52, v53, v52 clamp
	v_lshlrev_b16_e32 v53, 8, v35
	v_lshlrev_b16_e32 v5, 8, v5
	v_and_b32_e32 v52, 0xffffff00, v52
	v_sub_i16 v5, v53, v5 clamp
	v_or_b32_sdwa v5, v5, v52 dst_sel:DWORD dst_unused:UNUSED_PAD src0_sel:BYTE_1 src1_sel:DWORD
	v_and_b32_sdwa v52, v35, s29 dst_sel:DWORD dst_unused:UNUSED_PAD src0_sel:WORD_1 src1_sel:DWORD
	v_sub_i16 v51, v52, v51 clamp
	v_lshlrev_b16_sdwa v35, v39, v35 dst_sel:DWORD dst_unused:UNUSED_PAD src0_sel:DWORD src1_sel:WORD_1
	v_lshlrev_b16_e32 v6, 8, v6
	v_and_b32_e32 v51, 0xffffff00, v51
	v_sub_i16 v6, v35, v6 clamp
	v_or_b32_sdwa v6, v6, v51 dst_sel:WORD_1 dst_unused:UNUSED_PAD src0_sel:BYTE_1 src1_sel:DWORD
	v_dot4c_i32_i8_e32 v55, v34, v7
	v_or_b32_sdwa v5, v5, v6 dst_sel:DWORD dst_unused:UNUSED_PAD src0_sel:WORD_0 src1_sel:DWORD
	v_dot4c_i32_i8_e32 v55, v5, v0
	v_lshrrev_b32_e32 v0, 13, v43
	v_and_b32_e32 v0, 0xff8, v0
	global_load_dwordx2 v[6:7], v0, s[20:21]
	v_lshrrev_b32_e32 v0, 25, v43
	v_bcnt_u32_b32 v5, v0, 0
	v_and_b32_e32 v5, 1, v5
	v_alignbit_b32 v5, v5, v43, 25
	v_mul_lo_u32 v5, v5, s28
	v_and_b32_e32 v34, 0x8000000, v5
	v_lshrrev_b32_e32 v51, 8, v5
	v_lshrrev_b16_e32 v52, 1, v51
	v_cmp_ne_u16_sdwa s[30:31], v34, v15 src0_sel:BYTE_3 src1_sel:DWORD
	v_lshlrev_b16_sdwa v35, v40, v43 dst_sel:DWORD dst_unused:UNUSED_PAD src0_sel:DWORD src1_sel:WORD_1
	v_bfe_i32 v52, v52, 0, 1
	v_lshrrev_b32_e32 v53, 18, v5
	v_cndmask_b32_e64 v34, 0, -1, s[30:31]
	v_ashrrev_i16_e32 v35, 15, v35
	v_bfe_i32 v53, v53, 0, 1
	v_lshlrev_b16_e32 v34, 8, v34
	v_lshlrev_b16_e32 v52, 8, v52
	v_or_b32_sdwa v54, v53, v34 dst_sel:WORD_1 dst_unused:UNUSED_PAD src0_sel:BYTE_0 src1_sel:DWORD
	v_or_b32_sdwa v56, v35, v52 dst_sel:DWORD dst_unused:UNUSED_PAD src0_sel:BYTE_0 src1_sel:DWORD
	v_or_b32_sdwa v54, v56, v54 dst_sel:DWORD dst_unused:UNUSED_PAD src0_sel:WORD_0 src1_sel:DWORD
	v_lshlrev_b16_e32 v35, 8, v35
	v_bfe_i32 v0, v0, 4, 1
	s_waitcnt vmcnt(0)
	v_xor_b32_e32 v6, v6, v54
	v_and_b32_e32 v54, 0xffffff00, v6
	v_sub_i16 v52, v54, v52 clamp
	v_lshlrev_b16_e32 v54, 8, v6
	v_and_b32_e32 v52, 0xffffff00, v52
	v_sub_i16 v35, v54, v35 clamp
	v_or_b32_sdwa v35, v35, v52 dst_sel:DWORD dst_unused:UNUSED_PAD src0_sel:BYTE_1 src1_sel:DWORD
	v_and_b32_sdwa v52, v6, s29 dst_sel:DWORD dst_unused:UNUSED_PAD src0_sel:WORD_1 src1_sel:DWORD
	v_sub_i16 v34, v52, v34 clamp
	v_lshlrev_b16_sdwa v6, v39, v6 dst_sel:DWORD dst_unused:UNUSED_PAD src0_sel:DWORD src1_sel:WORD_1
	v_lshlrev_b16_e32 v52, 8, v53
	v_and_b32_e32 v34, 0xffffff00, v34
	v_sub_i16 v6, v6, v52 clamp
	v_or_b32_sdwa v6, v6, v34 dst_sel:WORD_1 dst_unused:UNUSED_PAD src0_sel:BYTE_1 src1_sel:DWORD
	v_and_b32_e32 v34, 0x80000000, v5
	v_or_b32_sdwa v6, v35, v6 dst_sel:DWORD dst_unused:UNUSED_PAD src0_sel:WORD_0 src1_sel:DWORD
	v_lshrrev_b16_e32 v35, 5, v51
	v_cmp_ne_u16_sdwa s[30:31], v34, v15 src0_sel:BYTE_3 src1_sel:DWORD
	v_bfe_i32 v35, v35, 0, 1
	v_lshrrev_b32_e32 v5, 22, v5
	v_cndmask_b32_e64 v34, 0, -1, s[30:31]
	v_bfe_i32 v5, v5, 0, 1
	v_lshlrev_b16_e32 v34, 8, v34
	v_lshlrev_b16_e32 v35, 8, v35
	v_or_b32_sdwa v51, v5, v34 dst_sel:WORD_1 dst_unused:UNUSED_PAD src0_sel:BYTE_0 src1_sel:DWORD
	v_or_b32_sdwa v52, v0, v35 dst_sel:DWORD dst_unused:UNUSED_PAD src0_sel:BYTE_0 src1_sel:DWORD
	v_or_b32_sdwa v51, v52, v51 dst_sel:DWORD dst_unused:UNUSED_PAD src0_sel:WORD_0 src1_sel:DWORD
	v_xor_b32_e32 v7, v7, v51
	v_and_b32_e32 v51, 0xffffff00, v7
	v_sub_i16 v35, v51, v35 clamp
	v_lshlrev_b16_e32 v51, 8, v7
	v_lshlrev_b16_e32 v0, 8, v0
	v_and_b32_e32 v35, 0xffffff00, v35
	v_sub_i16 v0, v51, v0 clamp
	v_or_b32_sdwa v0, v0, v35 dst_sel:DWORD dst_unused:UNUSED_PAD src0_sel:BYTE_1 src1_sel:DWORD
	v_and_b32_sdwa v35, v7, s29 dst_sel:DWORD dst_unused:UNUSED_PAD src0_sel:WORD_1 src1_sel:DWORD
	v_sub_i16 v34, v35, v34 clamp
	v_lshlrev_b16_sdwa v7, v39, v7 dst_sel:DWORD dst_unused:UNUSED_PAD src0_sel:DWORD src1_sel:WORD_1
	v_lshlrev_b16_e32 v5, 8, v5
	v_and_b32_e32 v34, 0xffffff00, v34
	v_sub_i16 v5, v7, v5 clamp
	v_or_b32_sdwa v5, v5, v34 dst_sel:WORD_1 dst_unused:UNUSED_PAD src0_sel:BYTE_1 src1_sel:DWORD
	v_lshlrev_b16_sdwa v34, v40, v41 dst_sel:DWORD dst_unused:UNUSED_PAD src0_sel:DWORD src1_sel:WORD_1
	v_or_b32_sdwa v0, v0, v5 dst_sel:DWORD dst_unused:UNUSED_PAD src0_sel:WORD_0 src1_sel:DWORD
	v_mov_b32_e32 v5, 0
	v_dot4c_i32_i8_e32 v5, v6, v1
	v_dot4c_i32_i8_e32 v5, v0, v2
	v_lshrrev_b32_e32 v0, 13, v41
	v_and_b32_e32 v0, 0xff8, v0
	global_load_dwordx2 v[0:1], v0, s[20:21]
	v_lshrrev_b32_e32 v2, 25, v41
	v_bcnt_u32_b32 v6, v2, 0
	v_and_b32_e32 v6, 1, v6
	v_alignbit_b32 v6, v6, v41, 25
	v_mul_lo_u32 v6, v6, s28
	v_and_b32_e32 v7, 0x8000000, v6
	v_lshrrev_b32_e32 v35, 8, v6
	v_lshrrev_b16_e32 v51, 1, v35
	v_cmp_ne_u16_sdwa s[30:31], v7, v15 src0_sel:BYTE_3 src1_sel:DWORD
	v_bfe_i32 v51, v51, 0, 1
	v_lshrrev_b32_e32 v52, 18, v6
	v_cndmask_b32_e64 v7, 0, -1, s[30:31]
	v_ashrrev_i16_e32 v34, 15, v34
	v_bfe_i32 v52, v52, 0, 1
	v_lshlrev_b16_e32 v7, 8, v7
	v_lshlrev_b16_e32 v51, 8, v51
	v_or_b32_sdwa v53, v52, v7 dst_sel:WORD_1 dst_unused:UNUSED_PAD src0_sel:BYTE_0 src1_sel:DWORD
	v_or_b32_sdwa v54, v34, v51 dst_sel:DWORD dst_unused:UNUSED_PAD src0_sel:BYTE_0 src1_sel:DWORD
	v_or_b32_sdwa v53, v54, v53 dst_sel:DWORD dst_unused:UNUSED_PAD src0_sel:WORD_0 src1_sel:DWORD
	v_lshlrev_b16_e32 v34, 8, v34
	v_bfe_i32 v2, v2, 4, 1
	s_waitcnt vmcnt(0)
	v_xor_b32_e32 v0, v0, v53
	v_and_b32_e32 v53, 0xffffff00, v0
	v_sub_i16 v51, v53, v51 clamp
	v_lshlrev_b16_e32 v53, 8, v0
	v_and_b32_e32 v51, 0xffffff00, v51
	v_sub_i16 v34, v53, v34 clamp
	v_or_b32_sdwa v34, v34, v51 dst_sel:DWORD dst_unused:UNUSED_PAD src0_sel:BYTE_1 src1_sel:DWORD
	v_and_b32_sdwa v51, v0, s29 dst_sel:DWORD dst_unused:UNUSED_PAD src0_sel:WORD_1 src1_sel:DWORD
	v_sub_i16 v7, v51, v7 clamp
	v_lshlrev_b16_sdwa v0, v39, v0 dst_sel:DWORD dst_unused:UNUSED_PAD src0_sel:DWORD src1_sel:WORD_1
	v_lshlrev_b16_e32 v51, 8, v52
	v_and_b32_e32 v7, 0xffffff00, v7
	v_sub_i16 v0, v0, v51 clamp
	v_or_b32_sdwa v0, v0, v7 dst_sel:WORD_1 dst_unused:UNUSED_PAD src0_sel:BYTE_1 src1_sel:DWORD
	v_and_b32_e32 v7, 0x80000000, v6
	v_or_b32_sdwa v0, v34, v0 dst_sel:DWORD dst_unused:UNUSED_PAD src0_sel:WORD_0 src1_sel:DWORD
	v_lshrrev_b16_e32 v34, 5, v35
	v_cmp_ne_u16_sdwa s[30:31], v7, v15 src0_sel:BYTE_3 src1_sel:DWORD
	v_bfe_i32 v34, v34, 0, 1
	v_lshrrev_b32_e32 v6, 22, v6
	v_cndmask_b32_e64 v7, 0, -1, s[30:31]
	v_bfe_i32 v6, v6, 0, 1
	v_lshlrev_b16_e32 v7, 8, v7
	v_lshlrev_b16_e32 v34, 8, v34
	v_or_b32_sdwa v35, v6, v7 dst_sel:WORD_1 dst_unused:UNUSED_PAD src0_sel:BYTE_0 src1_sel:DWORD
	v_or_b32_sdwa v51, v2, v34 dst_sel:DWORD dst_unused:UNUSED_PAD src0_sel:BYTE_0 src1_sel:DWORD
	v_or_b32_sdwa v35, v51, v35 dst_sel:DWORD dst_unused:UNUSED_PAD src0_sel:WORD_0 src1_sel:DWORD
	v_xor_b32_e32 v1, v1, v35
	v_and_b32_e32 v35, 0xffffff00, v1
	v_sub_i16 v34, v35, v34 clamp
	v_lshlrev_b16_e32 v35, 8, v1
	v_lshlrev_b16_e32 v2, 8, v2
	v_and_b32_e32 v34, 0xffffff00, v34
	v_sub_i16 v2, v35, v2 clamp
	v_or_b32_sdwa v2, v2, v34 dst_sel:DWORD dst_unused:UNUSED_PAD src0_sel:BYTE_1 src1_sel:DWORD
	v_and_b32_sdwa v34, v1, s29 dst_sel:DWORD dst_unused:UNUSED_PAD src0_sel:WORD_1 src1_sel:DWORD
	v_sub_i16 v7, v34, v7 clamp
	v_lshlrev_b16_sdwa v1, v39, v1 dst_sel:DWORD dst_unused:UNUSED_PAD src0_sel:DWORD src1_sel:WORD_1
	v_lshlrev_b16_e32 v6, 8, v6
	v_and_b32_e32 v7, 0xffffff00, v7
	v_sub_i16 v1, v1, v6 clamp
	v_or_b32_sdwa v1, v1, v7 dst_sel:WORD_1 dst_unused:UNUSED_PAD src0_sel:BYTE_1 src1_sel:DWORD
	v_dot4c_i32_i8_e32 v5, v0, v3
	v_or_b32_sdwa v1, v2, v1 dst_sel:DWORD dst_unused:UNUSED_PAD src0_sel:WORD_0 src1_sel:DWORD
	v_dot4c_i32_i8_e32 v5, v1, v8
	global_load_ushort v0, v[26:27], off
	global_load_ubyte v1, v[24:25], off offset:66
	global_load_ubyte v2, v[28:29], off offset:66
	v_add_u32_e32 v7, v10, v9
	v_lshrrev_b32_e32 v8, 31, v7
	v_add_u32_e32 v7, v7, v8
	v_ashrrev_i32_e32 v7, 1, v7
	v_cvt_f32_f16_e32 v34, v11
	s_waitcnt vmcnt(2)
	v_cvt_f32_f16_e32 v35, v0
	s_waitcnt vmcnt(1)
	v_lshrrev_b32_e32 v52, 4, v1
	s_waitcnt vmcnt(0)
	v_lshrrev_b32_e32 v51, 4, v2
	v_and_b32_e32 v54, 15, v1
	v_mul_lo_u32 v6, v5, v51
	v_add_u32_e32 v5, v5, v55
	v_mul_lo_u32 v1, v9, v54
	v_mul_lo_u32 v3, v10, v52
	v_lshrrev_b32_e32 v8, 31, v5
	v_and_b32_e32 v53, 15, v2
	v_add_u32_e32 v5, v5, v8
	v_add3_u32 v1, v3, v1, v7
	v_mul_lo_u32 v2, v55, v53
	v_ashrrev_i32_e32 v5, 1, v5
	v_ashrrev_i32_e32 v3, 31, v1
	v_add3_u32 v2, v6, v2, v5
	v_lshrrev_b32_e32 v3, 30, v3
	v_add_u32_e32 v1, v1, v3
	v_ashrrev_i32_e32 v3, 31, v2
	v_lshrrev_b32_e32 v3, 30, v3
	v_add_u32_e32 v2, v2, v3
	v_ashrrev_i32_e32 v1, 2, v1
	v_ashrrev_i32_e32 v2, 2, v2
	v_cvt_f32_i32_e32 v7, v2
	v_cvt_f32_i32_e32 v6, v1
	scratch_load_dwordx4 v[0:3], off, off
	v_pk_mul_f32 v[4:5], v[4:5], v[34:35] op_sel_hi:[0,1]
	s_waitcnt vmcnt(0)
	v_pk_fma_f32 v[0:1], v[4:5], v[6:7], v[0:1]
	v_add_u32_e32 v4, s9, v37
	v_mad_u64_u32 v[4:5], s[30:31], v4, 36, s[24:25]
	v_mad_u64_u32 v[56:57], s[30:31], v14, 36, v[4:5]
	global_load_dword v55, v[56:57], off offset:32
	global_load_dwordx4 v[4:7], v[56:57], off offset:16
	global_load_dwordx4 v[8:11], v[56:57], off
	s_nop 0
	global_load_ushort v56, v[30:31], off offset:4
	global_load_ushort v60, v[30:31], off offset:6
	;; [unrolled: 1-line block ×3, first 2 shown]
	s_waitcnt vmcnt(3)
	v_dot4c_i32_i8_e32 v62, v47, v9
	s_waitcnt vmcnt(2)
	v_and_b32_e32 v47, 0x1ff, v56
	v_lshlrev_b32_sdwa v47, v38, v47 dst_sel:DWORD dst_unused:UNUSED_PAD src0_sel:DWORD src1_sel:WORD_0
	global_load_dwordx2 v[58:59], v47, s[20:21]
	v_lshrrev_b16_e32 v47, 9, v56
	v_dot4c_i32_i8_e32 v62, v48, v10
	v_bcnt_u32_b32 v48, v47, 0
	v_and_b32_e32 v48, 1, v48
	v_lshl_or_b32 v48, v48, 7, v47
	v_mul_lo_u32 v48, v48, s28
	v_and_b32_e32 v57, 0x8000000, v48
	v_lshrrev_b32_e32 v63, 8, v48
	v_lshrrev_b16_e32 v64, 1, v63
	v_cmp_ne_u16_sdwa s[30:31], v57, v15 src0_sel:BYTE_3 src1_sel:DWORD
	v_lshlrev_b16_e32 v56, 6, v56
	v_bfe_i32 v64, v64, 0, 1
	v_lshrrev_b32_e32 v65, 18, v48
	v_cndmask_b32_e64 v57, 0, -1, s[30:31]
	v_ashrrev_i16_e32 v56, 15, v56
	v_bfe_i32 v65, v65, 0, 1
	v_lshlrev_b16_e32 v57, 8, v57
	v_lshlrev_b16_e32 v64, 8, v64
	v_or_b32_sdwa v66, v65, v57 dst_sel:WORD_1 dst_unused:UNUSED_PAD src0_sel:BYTE_0 src1_sel:DWORD
	v_or_b32_sdwa v67, v56, v64 dst_sel:DWORD dst_unused:UNUSED_PAD src0_sel:BYTE_0 src1_sel:DWORD
	v_or_b32_sdwa v66, v67, v66 dst_sel:DWORD dst_unused:UNUSED_PAD src0_sel:WORD_0 src1_sel:DWORD
	v_lshlrev_b16_e32 v56, 8, v56
	v_bfe_i32 v47, v47, 4, 1
	v_cvt_f32_f16_e32 v8, v8
	s_waitcnt vmcnt(0)
	v_xor_b32_e32 v58, v58, v66
	v_and_b32_e32 v66, 0xffffff00, v58
	v_sub_i16 v64, v66, v64 clamp
	v_lshlrev_b16_e32 v66, 8, v58
	v_and_b32_e32 v64, 0xffffff00, v64
	v_sub_i16 v56, v66, v56 clamp
	v_or_b32_sdwa v56, v56, v64 dst_sel:DWORD dst_unused:UNUSED_PAD src0_sel:BYTE_1 src1_sel:DWORD
	v_and_b32_sdwa v64, v58, s29 dst_sel:DWORD dst_unused:UNUSED_PAD src0_sel:WORD_1 src1_sel:DWORD
	v_sub_i16 v57, v64, v57 clamp
	v_lshlrev_b16_sdwa v58, v39, v58 dst_sel:DWORD dst_unused:UNUSED_PAD src0_sel:DWORD src1_sel:WORD_1
	v_lshlrev_b16_e32 v64, 8, v65
	v_and_b32_e32 v57, 0xffffff00, v57
	v_sub_i16 v58, v58, v64 clamp
	v_or_b32_sdwa v57, v58, v57 dst_sel:WORD_1 dst_unused:UNUSED_PAD src0_sel:BYTE_1 src1_sel:DWORD
	v_lshrrev_b16_e32 v58, 5, v63
	v_or_b32_sdwa v56, v56, v57 dst_sel:DWORD dst_unused:UNUSED_PAD src0_sel:WORD_0 src1_sel:DWORD
	v_and_b32_e32 v57, 0x80000000, v48
	v_cmp_ne_u16_sdwa s[30:31], v57, v15 src0_sel:BYTE_3 src1_sel:DWORD
	v_bfe_i32 v58, v58, 0, 1
	v_lshrrev_b32_e32 v48, 22, v48
	v_cndmask_b32_e64 v57, 0, -1, s[30:31]
	v_bfe_i32 v48, v48, 0, 1
	v_lshlrev_b16_e32 v57, 8, v57
	v_lshlrev_b16_e32 v58, 8, v58
	v_or_b32_sdwa v63, v48, v57 dst_sel:WORD_1 dst_unused:UNUSED_PAD src0_sel:BYTE_0 src1_sel:DWORD
	v_or_b32_sdwa v64, v47, v58 dst_sel:DWORD dst_unused:UNUSED_PAD src0_sel:BYTE_0 src1_sel:DWORD
	v_or_b32_sdwa v63, v64, v63 dst_sel:DWORD dst_unused:UNUSED_PAD src0_sel:WORD_0 src1_sel:DWORD
	v_xor_b32_e32 v59, v59, v63
	v_and_b32_e32 v63, 0xffffff00, v59
	v_sub_i16 v58, v63, v58 clamp
	v_lshlrev_b16_e32 v63, 8, v59
	v_lshlrev_b16_e32 v47, 8, v47
	v_and_b32_e32 v58, 0xffffff00, v58
	v_sub_i16 v47, v63, v47 clamp
	v_or_b32_sdwa v47, v47, v58 dst_sel:DWORD dst_unused:UNUSED_PAD src0_sel:BYTE_1 src1_sel:DWORD
	v_and_b32_sdwa v58, v59, s29 dst_sel:DWORD dst_unused:UNUSED_PAD src0_sel:WORD_1 src1_sel:DWORD
	v_sub_i16 v57, v58, v57 clamp
	v_lshlrev_b16_sdwa v58, v39, v59 dst_sel:DWORD dst_unused:UNUSED_PAD src0_sel:DWORD src1_sel:WORD_1
	v_lshlrev_b16_e32 v48, 8, v48
	v_and_b32_e32 v57, 0xffffff00, v57
	v_sub_i16 v48, v58, v48 clamp
	v_or_b32_sdwa v48, v48, v57 dst_sel:WORD_1 dst_unused:UNUSED_PAD src0_sel:BYTE_1 src1_sel:DWORD
	v_dot4c_i32_i8_e32 v62, v56, v11
	v_or_b32_sdwa v47, v47, v48 dst_sel:DWORD dst_unused:UNUSED_PAD src0_sel:WORD_0 src1_sel:DWORD
	v_dot4c_i32_i8_e32 v62, v47, v4
	v_and_b32_e32 v47, 0x1ff, v60
	v_lshlrev_b32_sdwa v47, v38, v47 dst_sel:DWORD dst_unused:UNUSED_PAD src0_sel:DWORD src1_sel:WORD_0
	global_load_dwordx2 v[56:57], v47, s[20:21]
	v_lshrrev_b16_e32 v47, 9, v60
	v_bcnt_u32_b32 v48, v47, 0
	v_and_b32_e32 v48, 1, v48
	v_lshl_or_b32 v48, v48, 7, v47
	v_mul_lo_u32 v48, v48, s28
	v_and_b32_e32 v58, 0x8000000, v48
	v_lshlrev_b16_e32 v59, 6, v60
	v_lshrrev_b32_e32 v60, 8, v48
	v_lshrrev_b16_e32 v63, 1, v60
	v_cmp_ne_u16_sdwa s[30:31], v58, v15 src0_sel:BYTE_3 src1_sel:DWORD
	v_bfe_i32 v63, v63, 0, 1
	v_lshrrev_b32_e32 v64, 18, v48
	v_cndmask_b32_e64 v58, 0, -1, s[30:31]
	v_ashrrev_i16_e32 v59, 15, v59
	v_bfe_i32 v64, v64, 0, 1
	v_lshlrev_b16_e32 v58, 8, v58
	v_lshlrev_b16_e32 v63, 8, v63
	v_or_b32_sdwa v65, v64, v58 dst_sel:WORD_1 dst_unused:UNUSED_PAD src0_sel:BYTE_0 src1_sel:DWORD
	v_or_b32_sdwa v66, v59, v63 dst_sel:DWORD dst_unused:UNUSED_PAD src0_sel:BYTE_0 src1_sel:DWORD
	v_or_b32_sdwa v65, v66, v65 dst_sel:DWORD dst_unused:UNUSED_PAD src0_sel:WORD_0 src1_sel:DWORD
	v_lshlrev_b16_e32 v59, 8, v59
	v_bfe_i32 v47, v47, 4, 1
	s_waitcnt vmcnt(0)
	v_xor_b32_e32 v56, v56, v65
	v_and_b32_e32 v65, 0xffffff00, v56
	v_sub_i16 v63, v65, v63 clamp
	v_lshlrev_b16_e32 v65, 8, v56
	v_and_b32_e32 v63, 0xffffff00, v63
	v_sub_i16 v59, v65, v59 clamp
	v_or_b32_sdwa v59, v59, v63 dst_sel:DWORD dst_unused:UNUSED_PAD src0_sel:BYTE_1 src1_sel:DWORD
	v_and_b32_sdwa v63, v56, s29 dst_sel:DWORD dst_unused:UNUSED_PAD src0_sel:WORD_1 src1_sel:DWORD
	v_sub_i16 v58, v63, v58 clamp
	v_lshlrev_b16_sdwa v56, v39, v56 dst_sel:DWORD dst_unused:UNUSED_PAD src0_sel:DWORD src1_sel:WORD_1
	v_lshlrev_b16_e32 v63, 8, v64
	v_and_b32_e32 v58, 0xffffff00, v58
	v_sub_i16 v56, v56, v63 clamp
	v_or_b32_sdwa v56, v56, v58 dst_sel:WORD_1 dst_unused:UNUSED_PAD src0_sel:BYTE_1 src1_sel:DWORD
	v_and_b32_e32 v58, 0x80000000, v48
	v_or_b32_sdwa v56, v59, v56 dst_sel:DWORD dst_unused:UNUSED_PAD src0_sel:WORD_0 src1_sel:DWORD
	v_lshrrev_b16_e32 v59, 5, v60
	v_cmp_ne_u16_sdwa s[30:31], v58, v15 src0_sel:BYTE_3 src1_sel:DWORD
	v_bfe_i32 v59, v59, 0, 1
	v_lshrrev_b32_e32 v48, 22, v48
	v_cndmask_b32_e64 v58, 0, -1, s[30:31]
	v_bfe_i32 v48, v48, 0, 1
	v_lshlrev_b16_e32 v58, 8, v58
	v_lshlrev_b16_e32 v59, 8, v59
	v_or_b32_sdwa v60, v48, v58 dst_sel:WORD_1 dst_unused:UNUSED_PAD src0_sel:BYTE_0 src1_sel:DWORD
	v_or_b32_sdwa v63, v47, v59 dst_sel:DWORD dst_unused:UNUSED_PAD src0_sel:BYTE_0 src1_sel:DWORD
	v_or_b32_sdwa v60, v63, v60 dst_sel:DWORD dst_unused:UNUSED_PAD src0_sel:WORD_0 src1_sel:DWORD
	v_xor_b32_e32 v57, v57, v60
	v_and_b32_e32 v60, 0xffffff00, v57
	v_sub_i16 v59, v60, v59 clamp
	v_lshlrev_b16_e32 v60, 8, v57
	v_lshlrev_b16_e32 v47, 8, v47
	v_and_b32_e32 v59, 0xffffff00, v59
	v_sub_i16 v47, v60, v47 clamp
	v_or_b32_sdwa v47, v47, v59 dst_sel:DWORD dst_unused:UNUSED_PAD src0_sel:BYTE_1 src1_sel:DWORD
	v_and_b32_sdwa v59, v57, s29 dst_sel:DWORD dst_unused:UNUSED_PAD src0_sel:WORD_1 src1_sel:DWORD
	v_sub_i16 v58, v59, v58 clamp
	v_lshlrev_b16_sdwa v57, v39, v57 dst_sel:DWORD dst_unused:UNUSED_PAD src0_sel:DWORD src1_sel:WORD_1
	v_lshlrev_b16_e32 v48, 8, v48
	v_and_b32_e32 v58, 0xffffff00, v58
	v_sub_i16 v48, v57, v48 clamp
	v_or_b32_sdwa v48, v48, v58 dst_sel:WORD_1 dst_unused:UNUSED_PAD src0_sel:BYTE_1 src1_sel:DWORD
	v_mov_b32_e32 v58, 0
	v_or_b32_sdwa v47, v47, v48 dst_sel:DWORD dst_unused:UNUSED_PAD src0_sel:WORD_0 src1_sel:DWORD
	v_dot4c_i32_i8_e32 v58, v56, v5
	v_dot4c_i32_i8_e32 v58, v47, v6
	v_and_b32_e32 v47, 0x1ff, v61
	v_lshlrev_b32_sdwa v47, v38, v47 dst_sel:DWORD dst_unused:UNUSED_PAD src0_sel:DWORD src1_sel:WORD_0
	global_load_dwordx2 v[56:57], v47, s[20:21]
	v_lshrrev_b16_e32 v47, 9, v61
	v_bcnt_u32_b32 v48, v47, 0
	v_and_b32_e32 v48, 1, v48
	v_lshl_or_b32 v48, v48, 7, v47
	v_mul_lo_u32 v48, v48, s28
	v_and_b32_e32 v59, 0x8000000, v48
	v_lshlrev_b16_e32 v60, 6, v61
	v_lshrrev_b32_e32 v61, 8, v48
	v_lshrrev_b16_e32 v63, 1, v61
	v_cmp_ne_u16_sdwa s[30:31], v59, v15 src0_sel:BYTE_3 src1_sel:DWORD
	v_bfe_i32 v63, v63, 0, 1
	v_lshrrev_b32_e32 v64, 18, v48
	v_cndmask_b32_e64 v59, 0, -1, s[30:31]
	v_ashrrev_i16_e32 v60, 15, v60
	v_bfe_i32 v64, v64, 0, 1
	v_lshlrev_b16_e32 v59, 8, v59
	v_lshlrev_b16_e32 v63, 8, v63
	v_or_b32_sdwa v65, v64, v59 dst_sel:WORD_1 dst_unused:UNUSED_PAD src0_sel:BYTE_0 src1_sel:DWORD
	v_or_b32_sdwa v66, v60, v63 dst_sel:DWORD dst_unused:UNUSED_PAD src0_sel:BYTE_0 src1_sel:DWORD
	v_or_b32_sdwa v65, v66, v65 dst_sel:DWORD dst_unused:UNUSED_PAD src0_sel:WORD_0 src1_sel:DWORD
	v_lshlrev_b16_e32 v60, 8, v60
	v_bfe_i32 v47, v47, 4, 1
	s_waitcnt vmcnt(0)
	v_xor_b32_e32 v56, v56, v65
	v_and_b32_e32 v65, 0xffffff00, v56
	v_sub_i16 v63, v65, v63 clamp
	v_lshlrev_b16_e32 v65, 8, v56
	v_and_b32_e32 v63, 0xffffff00, v63
	v_sub_i16 v60, v65, v60 clamp
	v_or_b32_sdwa v60, v60, v63 dst_sel:DWORD dst_unused:UNUSED_PAD src0_sel:BYTE_1 src1_sel:DWORD
	v_and_b32_sdwa v63, v56, s29 dst_sel:DWORD dst_unused:UNUSED_PAD src0_sel:WORD_1 src1_sel:DWORD
	v_sub_i16 v59, v63, v59 clamp
	v_lshlrev_b16_sdwa v56, v39, v56 dst_sel:DWORD dst_unused:UNUSED_PAD src0_sel:DWORD src1_sel:WORD_1
	v_lshlrev_b16_e32 v63, 8, v64
	v_and_b32_e32 v59, 0xffffff00, v59
	v_sub_i16 v56, v56, v63 clamp
	v_or_b32_sdwa v56, v56, v59 dst_sel:WORD_1 dst_unused:UNUSED_PAD src0_sel:BYTE_1 src1_sel:DWORD
	v_and_b32_e32 v59, 0x80000000, v48
	v_or_b32_sdwa v56, v60, v56 dst_sel:DWORD dst_unused:UNUSED_PAD src0_sel:WORD_0 src1_sel:DWORD
	v_lshrrev_b16_e32 v60, 5, v61
	v_cmp_ne_u16_sdwa s[30:31], v59, v15 src0_sel:BYTE_3 src1_sel:DWORD
	v_bfe_i32 v60, v60, 0, 1
	v_lshrrev_b32_e32 v48, 22, v48
	v_cndmask_b32_e64 v59, 0, -1, s[30:31]
	v_bfe_i32 v48, v48, 0, 1
	v_lshlrev_b16_e32 v59, 8, v59
	v_lshlrev_b16_e32 v60, 8, v60
	v_or_b32_sdwa v61, v48, v59 dst_sel:WORD_1 dst_unused:UNUSED_PAD src0_sel:BYTE_0 src1_sel:DWORD
	v_or_b32_sdwa v63, v47, v60 dst_sel:DWORD dst_unused:UNUSED_PAD src0_sel:BYTE_0 src1_sel:DWORD
	v_or_b32_sdwa v61, v63, v61 dst_sel:DWORD dst_unused:UNUSED_PAD src0_sel:WORD_0 src1_sel:DWORD
	v_xor_b32_e32 v57, v57, v61
	v_and_b32_e32 v61, 0xffffff00, v57
	v_sub_i16 v60, v61, v60 clamp
	v_lshlrev_b16_e32 v61, 8, v57
	v_lshlrev_b16_e32 v47, 8, v47
	v_and_b32_e32 v60, 0xffffff00, v60
	v_sub_i16 v47, v61, v47 clamp
	v_or_b32_sdwa v47, v47, v60 dst_sel:DWORD dst_unused:UNUSED_PAD src0_sel:BYTE_1 src1_sel:DWORD
	v_and_b32_sdwa v60, v57, s29 dst_sel:DWORD dst_unused:UNUSED_PAD src0_sel:WORD_1 src1_sel:DWORD
	v_sub_i16 v59, v60, v59 clamp
	v_lshlrev_b16_sdwa v57, v39, v57 dst_sel:DWORD dst_unused:UNUSED_PAD src0_sel:DWORD src1_sel:WORD_1
	v_lshlrev_b16_e32 v48, 8, v48
	v_and_b32_e32 v59, 0xffffff00, v59
	v_sub_i16 v48, v57, v48 clamp
	v_or_b32_sdwa v48, v48, v59 dst_sel:WORD_1 dst_unused:UNUSED_PAD src0_sel:BYTE_1 src1_sel:DWORD
	v_dot4c_i32_i8_e32 v58, v56, v7
	v_or_b32_sdwa v47, v47, v48 dst_sel:DWORD dst_unused:UNUSED_PAD src0_sel:WORD_0 src1_sel:DWORD
	v_dot4c_i32_i8_e32 v58, v47, v55
	global_load_ushort v47, v[32:33], off offset:4
	global_load_ushort v56, v[32:33], off offset:6
	;; [unrolled: 1-line block ×3, first 2 shown]
	v_mov_b32_e32 v59, 0
	v_dot4c_i32_i8_e32 v59, v49, v9
	v_dot4c_i32_i8_e32 v59, v50, v10
	s_waitcnt vmcnt(2)
	v_and_b32_e32 v9, 0x1ff, v47
	v_lshlrev_b32_sdwa v9, v38, v9 dst_sel:DWORD dst_unused:UNUSED_PAD src0_sel:DWORD src1_sel:WORD_0
	global_load_dwordx2 v[48:49], v9, s[20:21]
	v_lshrrev_b16_e32 v9, 9, v47
	v_bcnt_u32_b32 v10, v9, 0
	v_and_b32_e32 v10, 1, v10
	v_lshl_or_b32 v10, v10, 7, v9
	v_mul_lo_u32 v10, v10, s28
	v_and_b32_e32 v50, 0x8000000, v10
	v_lshrrev_b32_e32 v60, 8, v10
	v_lshrrev_b16_e32 v61, 1, v60
	v_cmp_ne_u16_sdwa s[30:31], v50, v15 src0_sel:BYTE_3 src1_sel:DWORD
	v_lshlrev_b16_e32 v47, 6, v47
	v_bfe_i32 v61, v61, 0, 1
	v_lshrrev_b32_e32 v63, 18, v10
	v_cndmask_b32_e64 v50, 0, -1, s[30:31]
	v_ashrrev_i16_e32 v47, 15, v47
	v_bfe_i32 v63, v63, 0, 1
	v_lshlrev_b16_e32 v50, 8, v50
	v_lshlrev_b16_e32 v61, 8, v61
	v_or_b32_sdwa v64, v63, v50 dst_sel:WORD_1 dst_unused:UNUSED_PAD src0_sel:BYTE_0 src1_sel:DWORD
	v_or_b32_sdwa v65, v47, v61 dst_sel:DWORD dst_unused:UNUSED_PAD src0_sel:BYTE_0 src1_sel:DWORD
	v_or_b32_sdwa v64, v65, v64 dst_sel:DWORD dst_unused:UNUSED_PAD src0_sel:WORD_0 src1_sel:DWORD
	v_lshlrev_b16_e32 v47, 8, v47
	v_bfe_i32 v9, v9, 4, 1
	s_waitcnt vmcnt(0)
	v_xor_b32_e32 v48, v48, v64
	v_and_b32_e32 v64, 0xffffff00, v48
	v_sub_i16 v61, v64, v61 clamp
	v_lshlrev_b16_e32 v64, 8, v48
	v_and_b32_e32 v61, 0xffffff00, v61
	v_sub_i16 v47, v64, v47 clamp
	v_or_b32_sdwa v47, v47, v61 dst_sel:DWORD dst_unused:UNUSED_PAD src0_sel:BYTE_1 src1_sel:DWORD
	v_and_b32_sdwa v61, v48, s29 dst_sel:DWORD dst_unused:UNUSED_PAD src0_sel:WORD_1 src1_sel:DWORD
	v_sub_i16 v50, v61, v50 clamp
	v_lshlrev_b16_sdwa v48, v39, v48 dst_sel:DWORD dst_unused:UNUSED_PAD src0_sel:DWORD src1_sel:WORD_1
	v_lshlrev_b16_e32 v61, 8, v63
	v_and_b32_e32 v50, 0xffffff00, v50
	v_sub_i16 v48, v48, v61 clamp
	v_or_b32_sdwa v48, v48, v50 dst_sel:WORD_1 dst_unused:UNUSED_PAD src0_sel:BYTE_1 src1_sel:DWORD
	v_lshrrev_b16_e32 v50, 5, v60
	v_or_b32_sdwa v47, v47, v48 dst_sel:DWORD dst_unused:UNUSED_PAD src0_sel:WORD_0 src1_sel:DWORD
	v_and_b32_e32 v48, 0x80000000, v10
	v_cmp_ne_u16_sdwa s[30:31], v48, v15 src0_sel:BYTE_3 src1_sel:DWORD
	v_bfe_i32 v50, v50, 0, 1
	v_lshrrev_b32_e32 v10, 22, v10
	v_cndmask_b32_e64 v48, 0, -1, s[30:31]
	v_bfe_i32 v10, v10, 0, 1
	v_lshlrev_b16_e32 v48, 8, v48
	v_lshlrev_b16_e32 v50, 8, v50
	v_or_b32_sdwa v60, v10, v48 dst_sel:WORD_1 dst_unused:UNUSED_PAD src0_sel:BYTE_0 src1_sel:DWORD
	v_or_b32_sdwa v61, v9, v50 dst_sel:DWORD dst_unused:UNUSED_PAD src0_sel:BYTE_0 src1_sel:DWORD
	v_or_b32_sdwa v60, v61, v60 dst_sel:DWORD dst_unused:UNUSED_PAD src0_sel:WORD_0 src1_sel:DWORD
	v_xor_b32_e32 v49, v49, v60
	v_and_b32_e32 v60, 0xffffff00, v49
	v_sub_i16 v50, v60, v50 clamp
	v_lshlrev_b16_e32 v60, 8, v49
	v_lshlrev_b16_e32 v9, 8, v9
	v_and_b32_e32 v50, 0xffffff00, v50
	v_sub_i16 v9, v60, v9 clamp
	v_or_b32_sdwa v9, v9, v50 dst_sel:DWORD dst_unused:UNUSED_PAD src0_sel:BYTE_1 src1_sel:DWORD
	v_and_b32_sdwa v50, v49, s29 dst_sel:DWORD dst_unused:UNUSED_PAD src0_sel:WORD_1 src1_sel:DWORD
	v_sub_i16 v48, v50, v48 clamp
	v_lshlrev_b16_sdwa v49, v39, v49 dst_sel:DWORD dst_unused:UNUSED_PAD src0_sel:DWORD src1_sel:WORD_1
	v_lshlrev_b16_e32 v10, 8, v10
	v_and_b32_e32 v48, 0xffffff00, v48
	v_sub_i16 v10, v49, v10 clamp
	v_or_b32_sdwa v10, v10, v48 dst_sel:WORD_1 dst_unused:UNUSED_PAD src0_sel:BYTE_1 src1_sel:DWORD
	v_dot4c_i32_i8_e32 v59, v47, v11
	v_or_b32_sdwa v9, v9, v10 dst_sel:DWORD dst_unused:UNUSED_PAD src0_sel:WORD_0 src1_sel:DWORD
	v_dot4c_i32_i8_e32 v59, v9, v4
	v_and_b32_e32 v4, 0x1ff, v56
	v_lshlrev_b32_sdwa v4, v38, v4 dst_sel:DWORD dst_unused:UNUSED_PAD src0_sel:DWORD src1_sel:WORD_0
	global_load_dwordx2 v[10:11], v4, s[20:21]
	v_lshrrev_b16_e32 v4, 9, v56
	v_bcnt_u32_b32 v9, v4, 0
	v_and_b32_e32 v9, 1, v9
	v_lshl_or_b32 v9, v9, 7, v4
	v_mul_lo_u32 v9, v9, s28
	v_and_b32_e32 v47, 0x8000000, v9
	v_lshrrev_b32_e32 v49, 8, v9
	v_lshrrev_b16_e32 v50, 1, v49
	v_cmp_ne_u16_sdwa s[30:31], v47, v15 src0_sel:BYTE_3 src1_sel:DWORD
	v_lshlrev_b16_e32 v48, 6, v56
	v_bfe_i32 v50, v50, 0, 1
	v_lshrrev_b32_e32 v56, 18, v9
	v_cndmask_b32_e64 v47, 0, -1, s[30:31]
	v_ashrrev_i16_e32 v48, 15, v48
	v_bfe_i32 v56, v56, 0, 1
	v_lshlrev_b16_e32 v47, 8, v47
	v_lshlrev_b16_e32 v50, 8, v50
	v_or_b32_sdwa v60, v56, v47 dst_sel:WORD_1 dst_unused:UNUSED_PAD src0_sel:BYTE_0 src1_sel:DWORD
	v_or_b32_sdwa v61, v48, v50 dst_sel:DWORD dst_unused:UNUSED_PAD src0_sel:BYTE_0 src1_sel:DWORD
	v_or_b32_sdwa v60, v61, v60 dst_sel:DWORD dst_unused:UNUSED_PAD src0_sel:WORD_0 src1_sel:DWORD
	v_lshlrev_b16_e32 v48, 8, v48
	v_bfe_i32 v4, v4, 4, 1
	s_waitcnt vmcnt(0)
	v_xor_b32_e32 v10, v10, v60
	v_and_b32_e32 v60, 0xffffff00, v10
	v_sub_i16 v50, v60, v50 clamp
	v_lshlrev_b16_e32 v60, 8, v10
	v_and_b32_e32 v50, 0xffffff00, v50
	v_sub_i16 v48, v60, v48 clamp
	v_or_b32_sdwa v48, v48, v50 dst_sel:DWORD dst_unused:UNUSED_PAD src0_sel:BYTE_1 src1_sel:DWORD
	v_and_b32_sdwa v50, v10, s29 dst_sel:DWORD dst_unused:UNUSED_PAD src0_sel:WORD_1 src1_sel:DWORD
	v_sub_i16 v47, v50, v47 clamp
	v_lshlrev_b16_sdwa v10, v39, v10 dst_sel:DWORD dst_unused:UNUSED_PAD src0_sel:DWORD src1_sel:WORD_1
	v_lshlrev_b16_e32 v50, 8, v56
	v_and_b32_e32 v47, 0xffffff00, v47
	v_sub_i16 v10, v10, v50 clamp
	v_or_b32_sdwa v10, v10, v47 dst_sel:WORD_1 dst_unused:UNUSED_PAD src0_sel:BYTE_1 src1_sel:DWORD
	v_and_b32_e32 v47, 0x80000000, v9
	v_or_b32_sdwa v10, v48, v10 dst_sel:DWORD dst_unused:UNUSED_PAD src0_sel:WORD_0 src1_sel:DWORD
	v_lshrrev_b16_e32 v48, 5, v49
	v_cmp_ne_u16_sdwa s[30:31], v47, v15 src0_sel:BYTE_3 src1_sel:DWORD
	v_bfe_i32 v48, v48, 0, 1
	v_lshrrev_b32_e32 v9, 22, v9
	v_cndmask_b32_e64 v47, 0, -1, s[30:31]
	v_bfe_i32 v9, v9, 0, 1
	v_lshlrev_b16_e32 v47, 8, v47
	v_lshlrev_b16_e32 v48, 8, v48
	v_or_b32_sdwa v49, v9, v47 dst_sel:WORD_1 dst_unused:UNUSED_PAD src0_sel:BYTE_0 src1_sel:DWORD
	v_or_b32_sdwa v50, v4, v48 dst_sel:DWORD dst_unused:UNUSED_PAD src0_sel:BYTE_0 src1_sel:DWORD
	v_or_b32_sdwa v49, v50, v49 dst_sel:DWORD dst_unused:UNUSED_PAD src0_sel:WORD_0 src1_sel:DWORD
	v_xor_b32_e32 v11, v11, v49
	v_and_b32_e32 v49, 0xffffff00, v11
	v_sub_i16 v48, v49, v48 clamp
	v_lshlrev_b16_e32 v49, 8, v11
	v_lshlrev_b16_e32 v4, 8, v4
	v_and_b32_e32 v48, 0xffffff00, v48
	v_sub_i16 v4, v49, v4 clamp
	v_or_b32_sdwa v4, v4, v48 dst_sel:DWORD dst_unused:UNUSED_PAD src0_sel:BYTE_1 src1_sel:DWORD
	v_and_b32_sdwa v48, v11, s29 dst_sel:DWORD dst_unused:UNUSED_PAD src0_sel:WORD_1 src1_sel:DWORD
	v_sub_i16 v47, v48, v47 clamp
	v_lshlrev_b16_sdwa v11, v39, v11 dst_sel:DWORD dst_unused:UNUSED_PAD src0_sel:DWORD src1_sel:WORD_1
	v_lshlrev_b16_e32 v9, 8, v9
	v_and_b32_e32 v47, 0xffffff00, v47
	v_sub_i16 v9, v11, v9 clamp
	v_or_b32_sdwa v9, v9, v47 dst_sel:WORD_1 dst_unused:UNUSED_PAD src0_sel:BYTE_1 src1_sel:DWORD
	v_lshlrev_b16_e32 v47, 6, v57
	v_or_b32_sdwa v4, v4, v9 dst_sel:DWORD dst_unused:UNUSED_PAD src0_sel:WORD_0 src1_sel:DWORD
	v_mov_b32_e32 v9, 0
	v_dot4c_i32_i8_e32 v9, v10, v5
	v_dot4c_i32_i8_e32 v9, v4, v6
	v_and_b32_e32 v4, 0x1ff, v57
	v_lshlrev_b32_sdwa v4, v38, v4 dst_sel:DWORD dst_unused:UNUSED_PAD src0_sel:DWORD src1_sel:WORD_0
	global_load_dwordx2 v[4:5], v4, s[20:21]
	v_lshrrev_b16_e32 v6, 9, v57
	v_bcnt_u32_b32 v10, v6, 0
	v_and_b32_e32 v10, 1, v10
	v_lshl_or_b32 v10, v10, 7, v6
	v_mul_lo_u32 v10, v10, s28
	v_and_b32_e32 v11, 0x8000000, v10
	v_lshrrev_b32_e32 v48, 8, v10
	v_lshrrev_b16_e32 v49, 1, v48
	v_cmp_ne_u16_sdwa s[30:31], v11, v15 src0_sel:BYTE_3 src1_sel:DWORD
	v_bfe_i32 v49, v49, 0, 1
	v_lshrrev_b32_e32 v50, 18, v10
	v_cndmask_b32_e64 v11, 0, -1, s[30:31]
	v_ashrrev_i16_e32 v47, 15, v47
	v_bfe_i32 v50, v50, 0, 1
	v_lshlrev_b16_e32 v11, 8, v11
	v_lshlrev_b16_e32 v49, 8, v49
	v_or_b32_sdwa v56, v50, v11 dst_sel:WORD_1 dst_unused:UNUSED_PAD src0_sel:BYTE_0 src1_sel:DWORD
	v_or_b32_sdwa v57, v47, v49 dst_sel:DWORD dst_unused:UNUSED_PAD src0_sel:BYTE_0 src1_sel:DWORD
	v_or_b32_sdwa v56, v57, v56 dst_sel:DWORD dst_unused:UNUSED_PAD src0_sel:WORD_0 src1_sel:DWORD
	v_lshlrev_b16_e32 v47, 8, v47
	v_bfe_i32 v6, v6, 4, 1
	s_waitcnt vmcnt(0)
	v_xor_b32_e32 v4, v4, v56
	v_and_b32_e32 v56, 0xffffff00, v4
	v_sub_i16 v49, v56, v49 clamp
	v_lshlrev_b16_e32 v56, 8, v4
	v_and_b32_e32 v49, 0xffffff00, v49
	v_sub_i16 v47, v56, v47 clamp
	v_or_b32_sdwa v47, v47, v49 dst_sel:DWORD dst_unused:UNUSED_PAD src0_sel:BYTE_1 src1_sel:DWORD
	v_and_b32_sdwa v49, v4, s29 dst_sel:DWORD dst_unused:UNUSED_PAD src0_sel:WORD_1 src1_sel:DWORD
	v_sub_i16 v11, v49, v11 clamp
	v_lshlrev_b16_sdwa v4, v39, v4 dst_sel:DWORD dst_unused:UNUSED_PAD src0_sel:DWORD src1_sel:WORD_1
	v_lshlrev_b16_e32 v49, 8, v50
	v_and_b32_e32 v11, 0xffffff00, v11
	v_sub_i16 v4, v4, v49 clamp
	v_or_b32_sdwa v4, v4, v11 dst_sel:WORD_1 dst_unused:UNUSED_PAD src0_sel:BYTE_1 src1_sel:DWORD
	v_and_b32_e32 v11, 0x80000000, v10
	v_or_b32_sdwa v4, v47, v4 dst_sel:DWORD dst_unused:UNUSED_PAD src0_sel:WORD_0 src1_sel:DWORD
	v_lshrrev_b16_e32 v47, 5, v48
	v_cmp_ne_u16_sdwa s[30:31], v11, v15 src0_sel:BYTE_3 src1_sel:DWORD
	v_bfe_i32 v47, v47, 0, 1
	v_lshrrev_b32_e32 v10, 22, v10
	v_cndmask_b32_e64 v11, 0, -1, s[30:31]
	v_bfe_i32 v10, v10, 0, 1
	v_lshlrev_b16_e32 v11, 8, v11
	v_lshlrev_b16_e32 v47, 8, v47
	v_or_b32_sdwa v48, v10, v11 dst_sel:WORD_1 dst_unused:UNUSED_PAD src0_sel:BYTE_0 src1_sel:DWORD
	v_or_b32_sdwa v49, v6, v47 dst_sel:DWORD dst_unused:UNUSED_PAD src0_sel:BYTE_0 src1_sel:DWORD
	v_or_b32_sdwa v48, v49, v48 dst_sel:DWORD dst_unused:UNUSED_PAD src0_sel:WORD_0 src1_sel:DWORD
	v_xor_b32_e32 v5, v5, v48
	v_and_b32_e32 v48, 0xffffff00, v5
	v_sub_i16 v47, v48, v47 clamp
	v_lshlrev_b16_e32 v48, 8, v5
	v_lshlrev_b16_e32 v6, 8, v6
	v_and_b32_e32 v47, 0xffffff00, v47
	v_sub_i16 v6, v48, v6 clamp
	v_or_b32_sdwa v6, v6, v47 dst_sel:DWORD dst_unused:UNUSED_PAD src0_sel:BYTE_1 src1_sel:DWORD
	v_and_b32_sdwa v47, v5, s29 dst_sel:DWORD dst_unused:UNUSED_PAD src0_sel:WORD_1 src1_sel:DWORD
	v_sub_i16 v11, v47, v11 clamp
	v_lshlrev_b16_sdwa v5, v39, v5 dst_sel:DWORD dst_unused:UNUSED_PAD src0_sel:DWORD src1_sel:WORD_1
	v_lshlrev_b16_e32 v10, 8, v10
	v_and_b32_e32 v11, 0xffffff00, v11
	v_sub_i16 v5, v5, v10 clamp
	v_or_b32_sdwa v5, v5, v11 dst_sel:WORD_1 dst_unused:UNUSED_PAD src0_sel:BYTE_1 src1_sel:DWORD
	v_add_u32_e32 v10, v58, v62
	v_or_b32_sdwa v5, v6, v5 dst_sel:DWORD dst_unused:UNUSED_PAD src0_sel:WORD_0 src1_sel:DWORD
	v_dot4c_i32_i8_e32 v9, v4, v7
	v_lshrrev_b32_e32 v11, 31, v10
	v_dot4c_i32_i8_e32 v9, v5, v55
	v_add_u32_e32 v10, v10, v11
	v_mul_lo_u32 v4, v62, v54
	v_mul_lo_u32 v6, v58, v52
	v_mul_lo_u32 v7, v9, v51
	v_add_u32_e32 v9, v9, v59
	v_ashrrev_i32_e32 v10, 1, v10
	v_lshrrev_b32_e32 v11, 31, v9
	v_add3_u32 v4, v6, v4, v10
	v_add_u32_e32 v9, v9, v11
	v_ashrrev_i32_e32 v6, 31, v4
	v_mul_lo_u32 v5, v59, v53
	v_ashrrev_i32_e32 v9, 1, v9
	v_lshrrev_b32_e32 v6, 30, v6
	v_add3_u32 v5, v7, v5, v9
	v_add_u32_e32 v4, v4, v6
	v_ashrrev_i32_e32 v6, 2, v4
	v_ashrrev_i32_e32 v4, 31, v5
	v_lshrrev_b32_e32 v4, 30, v4
	v_add_u32_e32 v4, v5, v4
	v_ashrrev_i32_e32 v7, 2, v4
	v_cvt_f32_i32_e32 v7, v7
	v_cvt_f32_i32_e32 v6, v6
	v_pk_mul_f32 v[4:5], v[8:9], v[34:35] op_sel_hi:[0,1]
	v_pk_fma_f32 v[2:3], v[4:5], v[6:7], v[2:3]
	scratch_store_dwordx4 off, v[0:3], off
	s_nop 1
	v_add_u32_e32 v0, s22, v37
	v_mad_u64_u32 v[0:1], s[30:31], v0, 36, s[24:25]
	v_mad_u64_u32 v[10:11], s[30:31], v14, 36, v[0:1]
	global_load_dword v9, v[10:11], off offset:32
	global_load_dwordx4 v[0:3], v[10:11], off offset:16
	global_load_dwordx4 v[4:7], v[10:11], off
	global_load_ushort v8, v[30:31], off offset:2
	s_waitcnt vmcnt(1)
	v_cvt_f32_f16_e32 v4, v4
	s_waitcnt vmcnt(0)
	v_and_b32_e32 v10, 0x1ff, v8
	v_lshlrev_b32_sdwa v10, v38, v10 dst_sel:DWORD dst_unused:UNUSED_PAD src0_sel:DWORD src1_sel:WORD_0
	global_load_dwordx2 v[10:11], v10, s[20:21]
	v_lshrrev_b16_e32 v34, 9, v8
	v_bcnt_u32_b32 v35, v34, 0
	v_and_b32_e32 v35, 1, v35
	v_lshl_or_b32 v35, v35, 7, v34
	v_mul_lo_u32 v35, v35, s28
	v_and_b32_e32 v47, 0x8000000, v35
	v_lshrrev_b32_e32 v48, 8, v35
	v_lshrrev_b16_e32 v49, 1, v48
	v_cmp_ne_u16_sdwa s[30:31], v47, v15 src0_sel:BYTE_3 src1_sel:DWORD
	v_lshlrev_b16_e32 v8, 6, v8
	v_bfe_i32 v49, v49, 0, 1
	v_lshrrev_b32_e32 v50, 18, v35
	v_cndmask_b32_e64 v47, 0, -1, s[30:31]
	v_ashrrev_i16_e32 v8, 15, v8
	v_bfe_i32 v50, v50, 0, 1
	v_lshlrev_b16_e32 v47, 8, v47
	v_lshlrev_b16_e32 v49, 8, v49
	v_or_b32_sdwa v51, v50, v47 dst_sel:WORD_1 dst_unused:UNUSED_PAD src0_sel:BYTE_0 src1_sel:DWORD
	v_or_b32_sdwa v52, v8, v49 dst_sel:DWORD dst_unused:UNUSED_PAD src0_sel:BYTE_0 src1_sel:DWORD
	v_or_b32_sdwa v51, v52, v51 dst_sel:DWORD dst_unused:UNUSED_PAD src0_sel:WORD_0 src1_sel:DWORD
	v_lshlrev_b16_e32 v8, 8, v8
	v_lshrrev_b16_e32 v48, 5, v48
	v_bfe_i32 v48, v48, 0, 1
	v_bfe_i32 v34, v34, 4, 1
	v_lshlrev_b16_e32 v48, 8, v48
	s_waitcnt vmcnt(0)
	v_xor_b32_e32 v10, v10, v51
	v_and_b32_e32 v51, 0xffffff00, v10
	v_sub_i16 v49, v51, v49 clamp
	v_lshlrev_b16_e32 v51, 8, v10
	v_and_b32_e32 v49, 0xffffff00, v49
	v_sub_i16 v8, v51, v8 clamp
	v_or_b32_sdwa v8, v8, v49 dst_sel:DWORD dst_unused:UNUSED_PAD src0_sel:BYTE_1 src1_sel:DWORD
	v_and_b32_sdwa v49, v10, s29 dst_sel:DWORD dst_unused:UNUSED_PAD src0_sel:WORD_1 src1_sel:DWORD
	v_sub_i16 v47, v49, v47 clamp
	v_lshlrev_b16_sdwa v10, v39, v10 dst_sel:DWORD dst_unused:UNUSED_PAD src0_sel:DWORD src1_sel:WORD_1
	v_lshlrev_b16_e32 v49, 8, v50
	v_and_b32_e32 v47, 0xffffff00, v47
	v_sub_i16 v10, v10, v49 clamp
	v_or_b32_sdwa v10, v10, v47 dst_sel:WORD_1 dst_unused:UNUSED_PAD src0_sel:BYTE_1 src1_sel:DWORD
	v_and_b32_e32 v47, 0x80000000, v35
	v_cmp_ne_u16_sdwa s[30:31], v47, v15 src0_sel:BYTE_3 src1_sel:DWORD
	v_lshrrev_b32_e32 v35, 22, v35
	v_bfe_i32 v35, v35, 0, 1
	v_cndmask_b32_e64 v47, 0, -1, s[30:31]
	v_lshlrev_b16_e32 v47, 8, v47
	v_or_b32_sdwa v49, v35, v47 dst_sel:WORD_1 dst_unused:UNUSED_PAD src0_sel:BYTE_0 src1_sel:DWORD
	v_or_b32_sdwa v50, v34, v48 dst_sel:DWORD dst_unused:UNUSED_PAD src0_sel:BYTE_0 src1_sel:DWORD
	v_or_b32_sdwa v49, v50, v49 dst_sel:DWORD dst_unused:UNUSED_PAD src0_sel:WORD_0 src1_sel:DWORD
	v_xor_b32_e32 v11, v11, v49
	v_and_b32_e32 v49, 0xffffff00, v11
	v_sub_i16 v48, v49, v48 clamp
	v_lshlrev_b16_e32 v49, 8, v11
	v_lshlrev_b16_e32 v34, 8, v34
	v_and_b32_e32 v48, 0xffffff00, v48
	v_sub_i16 v34, v49, v34 clamp
	v_or_b32_sdwa v34, v34, v48 dst_sel:DWORD dst_unused:UNUSED_PAD src0_sel:BYTE_1 src1_sel:DWORD
	v_and_b32_sdwa v48, v11, s29 dst_sel:DWORD dst_unused:UNUSED_PAD src0_sel:WORD_1 src1_sel:DWORD
	v_sub_i16 v47, v48, v47 clamp
	v_lshlrev_b16_sdwa v11, v39, v11 dst_sel:DWORD dst_unused:UNUSED_PAD src0_sel:DWORD src1_sel:WORD_1
	v_lshlrev_b16_e32 v35, 8, v35
	v_and_b32_e32 v47, 0xffffff00, v47
	v_sub_i16 v11, v11, v35 clamp
	v_or_b32_sdwa v11, v11, v47 dst_sel:WORD_1 dst_unused:UNUSED_PAD src0_sel:BYTE_1 src1_sel:DWORD
	global_load_ushort v47, v[30:31], off offset:4
	v_or_b32_sdwa v11, v34, v11 dst_sel:DWORD dst_unused:UNUSED_PAD src0_sel:WORD_0 src1_sel:DWORD
	v_or_b32_sdwa v10, v8, v10 dst_sel:DWORD dst_unused:UNUSED_PAD src0_sel:WORD_0 src1_sel:DWORD
	v_mov_b32_e32 v8, 0
	v_dot4c_i32_i8_e32 v8, v10, v5
	v_dot4c_i32_i8_e32 v8, v11, v6
	s_waitcnt vmcnt(0)
	v_and_b32_e32 v34, 0x1ff, v47
	v_lshlrev_b32_sdwa v34, v38, v34 dst_sel:DWORD dst_unused:UNUSED_PAD src0_sel:DWORD src1_sel:WORD_0
	global_load_dwordx2 v[34:35], v34, s[20:21]
	v_lshrrev_b16_e32 v48, 9, v47
	v_bcnt_u32_b32 v49, v48, 0
	v_and_b32_e32 v49, 1, v49
	v_lshl_or_b32 v49, v49, 7, v48
	v_mul_lo_u32 v49, v49, s28
	v_and_b32_e32 v50, 0x8000000, v49
	v_lshrrev_b32_e32 v51, 8, v49
	v_lshrrev_b16_e32 v52, 1, v51
	v_cmp_ne_u16_sdwa s[30:31], v50, v15 src0_sel:BYTE_3 src1_sel:DWORD
	v_lshlrev_b16_e32 v47, 6, v47
	v_bfe_i32 v52, v52, 0, 1
	v_lshrrev_b32_e32 v53, 18, v49
	v_cndmask_b32_e64 v50, 0, -1, s[30:31]
	v_ashrrev_i16_e32 v47, 15, v47
	v_bfe_i32 v53, v53, 0, 1
	v_lshlrev_b16_e32 v50, 8, v50
	v_lshlrev_b16_e32 v52, 8, v52
	v_or_b32_sdwa v54, v53, v50 dst_sel:WORD_1 dst_unused:UNUSED_PAD src0_sel:BYTE_0 src1_sel:DWORD
	v_or_b32_sdwa v55, v47, v52 dst_sel:DWORD dst_unused:UNUSED_PAD src0_sel:BYTE_0 src1_sel:DWORD
	v_or_b32_sdwa v54, v55, v54 dst_sel:DWORD dst_unused:UNUSED_PAD src0_sel:WORD_0 src1_sel:DWORD
	v_lshlrev_b16_e32 v47, 8, v47
	v_bfe_i32 v48, v48, 4, 1
	s_waitcnt vmcnt(0)
	v_xor_b32_e32 v34, v34, v54
	v_and_b32_e32 v54, 0xffffff00, v34
	v_sub_i16 v52, v54, v52 clamp
	v_lshlrev_b16_e32 v54, 8, v34
	v_and_b32_e32 v52, 0xffffff00, v52
	v_sub_i16 v47, v54, v47 clamp
	v_or_b32_sdwa v47, v47, v52 dst_sel:DWORD dst_unused:UNUSED_PAD src0_sel:BYTE_1 src1_sel:DWORD
	v_and_b32_sdwa v52, v34, s29 dst_sel:DWORD dst_unused:UNUSED_PAD src0_sel:WORD_1 src1_sel:DWORD
	v_sub_i16 v50, v52, v50 clamp
	v_lshlrev_b16_sdwa v34, v39, v34 dst_sel:DWORD dst_unused:UNUSED_PAD src0_sel:DWORD src1_sel:WORD_1
	v_lshlrev_b16_e32 v52, 8, v53
	v_and_b32_e32 v50, 0xffffff00, v50
	v_sub_i16 v34, v34, v52 clamp
	v_or_b32_sdwa v34, v34, v50 dst_sel:WORD_1 dst_unused:UNUSED_PAD src0_sel:BYTE_1 src1_sel:DWORD
	v_lshrrev_b16_e32 v50, 5, v51
	v_or_b32_sdwa v47, v47, v34 dst_sel:DWORD dst_unused:UNUSED_PAD src0_sel:WORD_0 src1_sel:DWORD
	v_and_b32_e32 v34, 0x80000000, v49
	v_cmp_ne_u16_sdwa s[30:31], v34, v15 src0_sel:BYTE_3 src1_sel:DWORD
	v_bfe_i32 v50, v50, 0, 1
	v_lshrrev_b32_e32 v49, 22, v49
	v_cndmask_b32_e64 v34, 0, -1, s[30:31]
	v_bfe_i32 v49, v49, 0, 1
	v_lshlrev_b16_e32 v34, 8, v34
	v_lshlrev_b16_e32 v50, 8, v50
	v_or_b32_sdwa v51, v49, v34 dst_sel:WORD_1 dst_unused:UNUSED_PAD src0_sel:BYTE_0 src1_sel:DWORD
	v_or_b32_sdwa v52, v48, v50 dst_sel:DWORD dst_unused:UNUSED_PAD src0_sel:BYTE_0 src1_sel:DWORD
	v_or_b32_sdwa v51, v52, v51 dst_sel:DWORD dst_unused:UNUSED_PAD src0_sel:WORD_0 src1_sel:DWORD
	v_xor_b32_e32 v35, v35, v51
	v_and_b32_e32 v51, 0xffffff00, v35
	v_sub_i16 v50, v51, v50 clamp
	v_lshlrev_b16_e32 v51, 8, v35
	v_lshlrev_b16_e32 v48, 8, v48
	v_and_b32_e32 v50, 0xffffff00, v50
	v_sub_i16 v48, v51, v48 clamp
	v_or_b32_sdwa v48, v48, v50 dst_sel:DWORD dst_unused:UNUSED_PAD src0_sel:BYTE_1 src1_sel:DWORD
	v_and_b32_sdwa v50, v35, s29 dst_sel:DWORD dst_unused:UNUSED_PAD src0_sel:WORD_1 src1_sel:DWORD
	v_lshlrev_b16_sdwa v35, v39, v35 dst_sel:DWORD dst_unused:UNUSED_PAD src0_sel:DWORD src1_sel:WORD_1
	v_lshlrev_b16_e32 v49, 8, v49
	v_sub_i16 v35, v35, v49 clamp
	global_load_ushort v49, v[30:31], off offset:6
	v_sub_i16 v34, v50, v34 clamp
	v_and_b32_e32 v34, 0xffffff00, v34
	v_or_b32_sdwa v34, v35, v34 dst_sel:WORD_1 dst_unused:UNUSED_PAD src0_sel:BYTE_1 src1_sel:DWORD
	v_dot4c_i32_i8_e32 v8, v47, v7
	v_or_b32_sdwa v48, v48, v34 dst_sel:DWORD dst_unused:UNUSED_PAD src0_sel:WORD_0 src1_sel:DWORD
	v_dot4c_i32_i8_e32 v8, v48, v0
	s_waitcnt vmcnt(0)
	v_and_b32_e32 v34, 0x1ff, v49
	v_lshlrev_b32_sdwa v34, v38, v34 dst_sel:DWORD dst_unused:UNUSED_PAD src0_sel:DWORD src1_sel:WORD_0
	global_load_dwordx2 v[34:35], v34, s[20:21]
	v_lshrrev_b16_e32 v50, 9, v49
	v_bcnt_u32_b32 v51, v50, 0
	v_and_b32_e32 v51, 1, v51
	v_lshl_or_b32 v51, v51, 7, v50
	v_mul_lo_u32 v51, v51, s28
	v_and_b32_e32 v52, 0x8000000, v51
	v_lshrrev_b32_e32 v53, 8, v51
	v_lshrrev_b16_e32 v54, 1, v53
	v_cmp_ne_u16_sdwa s[30:31], v52, v15 src0_sel:BYTE_3 src1_sel:DWORD
	v_lshlrev_b16_e32 v49, 6, v49
	v_bfe_i32 v54, v54, 0, 1
	v_lshrrev_b32_e32 v55, 18, v51
	v_cndmask_b32_e64 v52, 0, -1, s[30:31]
	v_ashrrev_i16_e32 v49, 15, v49
	v_bfe_i32 v55, v55, 0, 1
	v_lshlrev_b16_e32 v52, 8, v52
	v_lshlrev_b16_e32 v54, 8, v54
	v_or_b32_sdwa v56, v55, v52 dst_sel:WORD_1 dst_unused:UNUSED_PAD src0_sel:BYTE_0 src1_sel:DWORD
	v_or_b32_sdwa v57, v49, v54 dst_sel:DWORD dst_unused:UNUSED_PAD src0_sel:BYTE_0 src1_sel:DWORD
	v_or_b32_sdwa v56, v57, v56 dst_sel:DWORD dst_unused:UNUSED_PAD src0_sel:WORD_0 src1_sel:DWORD
	v_lshlrev_b16_e32 v49, 8, v49
	v_bfe_i32 v50, v50, 4, 1
	s_waitcnt vmcnt(0)
	v_xor_b32_e32 v34, v34, v56
	v_and_b32_e32 v56, 0xffffff00, v34
	v_sub_i16 v54, v56, v54 clamp
	v_lshlrev_b16_e32 v56, 8, v34
	v_and_b32_e32 v54, 0xffffff00, v54
	v_sub_i16 v49, v56, v49 clamp
	v_or_b32_sdwa v49, v49, v54 dst_sel:DWORD dst_unused:UNUSED_PAD src0_sel:BYTE_1 src1_sel:DWORD
	v_and_b32_sdwa v54, v34, s29 dst_sel:DWORD dst_unused:UNUSED_PAD src0_sel:WORD_1 src1_sel:DWORD
	v_sub_i16 v52, v54, v52 clamp
	v_lshlrev_b16_sdwa v34, v39, v34 dst_sel:DWORD dst_unused:UNUSED_PAD src0_sel:DWORD src1_sel:WORD_1
	v_lshlrev_b16_e32 v54, 8, v55
	v_and_b32_e32 v52, 0xffffff00, v52
	v_sub_i16 v34, v34, v54 clamp
	v_or_b32_sdwa v34, v34, v52 dst_sel:WORD_1 dst_unused:UNUSED_PAD src0_sel:BYTE_1 src1_sel:DWORD
	v_lshrrev_b16_e32 v52, 5, v53
	v_or_b32_sdwa v49, v49, v34 dst_sel:DWORD dst_unused:UNUSED_PAD src0_sel:WORD_0 src1_sel:DWORD
	v_and_b32_e32 v34, 0x80000000, v51
	v_cmp_ne_u16_sdwa s[30:31], v34, v15 src0_sel:BYTE_3 src1_sel:DWORD
	v_bfe_i32 v52, v52, 0, 1
	v_lshrrev_b32_e32 v51, 22, v51
	v_cndmask_b32_e64 v34, 0, -1, s[30:31]
	v_bfe_i32 v51, v51, 0, 1
	v_lshlrev_b16_e32 v34, 8, v34
	v_lshlrev_b16_e32 v52, 8, v52
	v_or_b32_sdwa v53, v51, v34 dst_sel:WORD_1 dst_unused:UNUSED_PAD src0_sel:BYTE_0 src1_sel:DWORD
	v_or_b32_sdwa v55, v50, v52 dst_sel:DWORD dst_unused:UNUSED_PAD src0_sel:BYTE_0 src1_sel:DWORD
	v_or_b32_sdwa v53, v55, v53 dst_sel:DWORD dst_unused:UNUSED_PAD src0_sel:WORD_0 src1_sel:DWORD
	v_xor_b32_e32 v35, v35, v53
	v_and_b32_e32 v53, 0xffffff00, v35
	v_sub_i16 v52, v53, v52 clamp
	v_lshlrev_b16_e32 v53, 8, v35
	v_lshlrev_b16_e32 v50, 8, v50
	v_and_b32_e32 v52, 0xffffff00, v52
	v_sub_i16 v50, v53, v50 clamp
	v_or_b32_sdwa v50, v50, v52 dst_sel:DWORD dst_unused:UNUSED_PAD src0_sel:BYTE_1 src1_sel:DWORD
	v_and_b32_sdwa v52, v35, s29 dst_sel:DWORD dst_unused:UNUSED_PAD src0_sel:WORD_1 src1_sel:DWORD
	v_sub_i16 v34, v52, v34 clamp
	v_lshlrev_b16_sdwa v35, v39, v35 dst_sel:DWORD dst_unused:UNUSED_PAD src0_sel:DWORD src1_sel:WORD_1
	v_lshlrev_b16_e32 v51, 8, v51
	v_and_b32_e32 v34, 0xffffff00, v34
	v_sub_i16 v35, v35, v51 clamp
	v_or_b32_sdwa v34, v35, v34 dst_sel:WORD_1 dst_unused:UNUSED_PAD src0_sel:BYTE_1 src1_sel:DWORD
	v_mov_b32_e32 v54, 0
	v_or_b32_sdwa v50, v50, v34 dst_sel:DWORD dst_unused:UNUSED_PAD src0_sel:WORD_0 src1_sel:DWORD
	global_load_ushort v34, v[30:31], off offset:8
	v_dot4c_i32_i8_e32 v54, v49, v1
	v_dot4c_i32_i8_e32 v54, v50, v2
	s_waitcnt vmcnt(0)
	v_and_b32_e32 v30, 0x1ff, v34
	v_lshlrev_b32_sdwa v30, v38, v30 dst_sel:DWORD dst_unused:UNUSED_PAD src0_sel:DWORD src1_sel:WORD_0
	global_load_dwordx2 v[30:31], v30, s[20:21]
	v_lshrrev_b16_e32 v35, 9, v34
	v_bcnt_u32_b32 v51, v35, 0
	v_and_b32_e32 v51, 1, v51
	v_lshl_or_b32 v51, v51, 7, v35
	v_mul_lo_u32 v51, v51, s28
	v_and_b32_e32 v52, 0x8000000, v51
	v_lshrrev_b32_e32 v53, 8, v51
	v_lshrrev_b16_e32 v55, 1, v53
	v_cmp_ne_u16_sdwa s[30:31], v52, v15 src0_sel:BYTE_3 src1_sel:DWORD
	v_lshlrev_b16_e32 v34, 6, v34
	v_bfe_i32 v55, v55, 0, 1
	v_lshrrev_b32_e32 v56, 18, v51
	v_cndmask_b32_e64 v52, 0, -1, s[30:31]
	v_ashrrev_i16_e32 v34, 15, v34
	v_bfe_i32 v56, v56, 0, 1
	v_lshlrev_b16_e32 v52, 8, v52
	v_lshlrev_b16_e32 v55, 8, v55
	v_or_b32_sdwa v57, v56, v52 dst_sel:WORD_1 dst_unused:UNUSED_PAD src0_sel:BYTE_0 src1_sel:DWORD
	v_or_b32_sdwa v58, v34, v55 dst_sel:DWORD dst_unused:UNUSED_PAD src0_sel:BYTE_0 src1_sel:DWORD
	v_or_b32_sdwa v57, v58, v57 dst_sel:DWORD dst_unused:UNUSED_PAD src0_sel:WORD_0 src1_sel:DWORD
	v_lshlrev_b16_e32 v34, 8, v34
	v_bfe_i32 v35, v35, 4, 1
	s_waitcnt vmcnt(0)
	v_xor_b32_e32 v30, v30, v57
	v_and_b32_e32 v57, 0xffffff00, v30
	v_sub_i16 v55, v57, v55 clamp
	v_lshlrev_b16_e32 v57, 8, v30
	v_and_b32_e32 v55, 0xffffff00, v55
	v_sub_i16 v34, v57, v34 clamp
	v_or_b32_sdwa v34, v34, v55 dst_sel:DWORD dst_unused:UNUSED_PAD src0_sel:BYTE_1 src1_sel:DWORD
	v_and_b32_sdwa v55, v30, s29 dst_sel:DWORD dst_unused:UNUSED_PAD src0_sel:WORD_1 src1_sel:DWORD
	v_sub_i16 v52, v55, v52 clamp
	v_lshlrev_b16_sdwa v30, v39, v30 dst_sel:DWORD dst_unused:UNUSED_PAD src0_sel:DWORD src1_sel:WORD_1
	v_lshlrev_b16_e32 v55, 8, v56
	v_and_b32_e32 v52, 0xffffff00, v52
	v_sub_i16 v30, v30, v55 clamp
	v_or_b32_sdwa v30, v30, v52 dst_sel:WORD_1 dst_unused:UNUSED_PAD src0_sel:BYTE_1 src1_sel:DWORD
	v_lshrrev_b16_e32 v52, 5, v53
	v_or_b32_sdwa v34, v34, v30 dst_sel:DWORD dst_unused:UNUSED_PAD src0_sel:WORD_0 src1_sel:DWORD
	v_and_b32_e32 v30, 0x80000000, v51
	v_cmp_ne_u16_sdwa s[30:31], v30, v15 src0_sel:BYTE_3 src1_sel:DWORD
	v_bfe_i32 v52, v52, 0, 1
	v_lshrrev_b32_e32 v51, 22, v51
	v_cndmask_b32_e64 v30, 0, -1, s[30:31]
	v_bfe_i32 v51, v51, 0, 1
	v_lshlrev_b16_e32 v30, 8, v30
	v_lshlrev_b16_e32 v52, 8, v52
	v_or_b32_sdwa v53, v51, v30 dst_sel:WORD_1 dst_unused:UNUSED_PAD src0_sel:BYTE_0 src1_sel:DWORD
	v_or_b32_sdwa v55, v35, v52 dst_sel:DWORD dst_unused:UNUSED_PAD src0_sel:BYTE_0 src1_sel:DWORD
	v_or_b32_sdwa v53, v55, v53 dst_sel:DWORD dst_unused:UNUSED_PAD src0_sel:WORD_0 src1_sel:DWORD
	v_xor_b32_e32 v31, v31, v53
	v_and_b32_e32 v53, 0xffffff00, v31
	v_sub_i16 v52, v53, v52 clamp
	v_lshlrev_b16_e32 v53, 8, v31
	v_lshlrev_b16_e32 v35, 8, v35
	v_and_b32_e32 v52, 0xffffff00, v52
	v_sub_i16 v35, v53, v35 clamp
	v_or_b32_sdwa v35, v35, v52 dst_sel:DWORD dst_unused:UNUSED_PAD src0_sel:BYTE_1 src1_sel:DWORD
	v_and_b32_sdwa v52, v31, s29 dst_sel:DWORD dst_unused:UNUSED_PAD src0_sel:WORD_1 src1_sel:DWORD
	v_lshlrev_b16_sdwa v31, v39, v31 dst_sel:DWORD dst_unused:UNUSED_PAD src0_sel:DWORD src1_sel:WORD_1
	v_lshlrev_b16_e32 v51, 8, v51
	v_sub_i16 v31, v31, v51 clamp
	global_load_ushort v51, v[32:33], off offset:2
	v_sub_i16 v30, v52, v30 clamp
	v_and_b32_e32 v30, 0xffffff00, v30
	v_or_b32_sdwa v30, v31, v30 dst_sel:WORD_1 dst_unused:UNUSED_PAD src0_sel:BYTE_1 src1_sel:DWORD
	v_dot4c_i32_i8_e32 v54, v34, v3
	v_or_b32_sdwa v35, v35, v30 dst_sel:DWORD dst_unused:UNUSED_PAD src0_sel:WORD_0 src1_sel:DWORD
	v_dot4c_i32_i8_e32 v54, v35, v9
	s_waitcnt vmcnt(0)
	v_and_b32_e32 v30, 0x1ff, v51
	v_lshlrev_b32_sdwa v30, v38, v30 dst_sel:DWORD dst_unused:UNUSED_PAD src0_sel:DWORD src1_sel:WORD_0
	global_load_dwordx2 v[30:31], v30, s[20:21]
	v_lshrrev_b16_e32 v52, 9, v51
	v_bcnt_u32_b32 v53, v52, 0
	v_and_b32_e32 v53, 1, v53
	v_lshl_or_b32 v53, v53, 7, v52
	v_mul_lo_u32 v53, v53, s28
	v_and_b32_e32 v55, 0x8000000, v53
	v_lshrrev_b32_e32 v56, 8, v53
	v_lshrrev_b16_e32 v57, 1, v56
	v_cmp_ne_u16_sdwa s[30:31], v55, v15 src0_sel:BYTE_3 src1_sel:DWORD
	v_lshlrev_b16_e32 v51, 6, v51
	v_bfe_i32 v57, v57, 0, 1
	v_lshrrev_b32_e32 v58, 18, v53
	v_cndmask_b32_e64 v55, 0, -1, s[30:31]
	v_ashrrev_i16_e32 v51, 15, v51
	v_bfe_i32 v58, v58, 0, 1
	v_lshlrev_b16_e32 v55, 8, v55
	v_lshlrev_b16_e32 v57, 8, v57
	v_or_b32_sdwa v59, v58, v55 dst_sel:WORD_1 dst_unused:UNUSED_PAD src0_sel:BYTE_0 src1_sel:DWORD
	v_or_b32_sdwa v60, v51, v57 dst_sel:DWORD dst_unused:UNUSED_PAD src0_sel:BYTE_0 src1_sel:DWORD
	v_or_b32_sdwa v59, v60, v59 dst_sel:DWORD dst_unused:UNUSED_PAD src0_sel:WORD_0 src1_sel:DWORD
	v_lshlrev_b16_e32 v51, 8, v51
	s_waitcnt vmcnt(0)
	v_xor_b32_e32 v30, v30, v59
	v_and_b32_e32 v59, 0xffffff00, v30
	v_sub_i16 v57, v59, v57 clamp
	v_lshlrev_b16_e32 v59, 8, v30
	v_and_b32_e32 v57, 0xffffff00, v57
	v_sub_i16 v51, v59, v51 clamp
	v_or_b32_sdwa v51, v51, v57 dst_sel:DWORD dst_unused:UNUSED_PAD src0_sel:BYTE_1 src1_sel:DWORD
	v_and_b32_sdwa v57, v30, s29 dst_sel:DWORD dst_unused:UNUSED_PAD src0_sel:WORD_1 src1_sel:DWORD
	v_sub_i16 v55, v57, v55 clamp
	v_lshlrev_b16_sdwa v30, v39, v30 dst_sel:DWORD dst_unused:UNUSED_PAD src0_sel:DWORD src1_sel:WORD_1
	v_lshlrev_b16_e32 v57, 8, v58
	v_and_b32_e32 v55, 0xffffff00, v55
	v_sub_i16 v30, v30, v57 clamp
	v_or_b32_sdwa v30, v30, v55 dst_sel:WORD_1 dst_unused:UNUSED_PAD src0_sel:BYTE_1 src1_sel:DWORD
	v_mov_b32_e32 v55, 0
	v_or_b32_sdwa v51, v51, v30 dst_sel:DWORD dst_unused:UNUSED_PAD src0_sel:WORD_0 src1_sel:DWORD
	v_dot4c_i32_i8_e32 v55, v51, v5
	v_and_b32_e32 v5, 0x80000000, v53
	v_bfe_i32 v30, v52, 4, 1
	v_lshrrev_b16_e32 v52, 5, v56
	v_cmp_ne_u16_sdwa s[30:31], v5, v15 src0_sel:BYTE_3 src1_sel:DWORD
	v_bfe_i32 v52, v52, 0, 1
	v_lshrrev_b32_e32 v53, 22, v53
	v_cndmask_b32_e64 v5, 0, -1, s[30:31]
	v_bfe_i32 v53, v53, 0, 1
	v_lshlrev_b16_e32 v5, 8, v5
	v_lshlrev_b16_e32 v52, 8, v52
	v_or_b32_sdwa v56, v53, v5 dst_sel:WORD_1 dst_unused:UNUSED_PAD src0_sel:BYTE_0 src1_sel:DWORD
	v_or_b32_sdwa v57, v30, v52 dst_sel:DWORD dst_unused:UNUSED_PAD src0_sel:BYTE_0 src1_sel:DWORD
	v_or_b32_sdwa v56, v57, v56 dst_sel:DWORD dst_unused:UNUSED_PAD src0_sel:WORD_0 src1_sel:DWORD
	v_xor_b32_e32 v31, v31, v56
	v_and_b32_e32 v56, 0xffffff00, v31
	v_sub_i16 v52, v56, v52 clamp
	v_lshlrev_b16_e32 v56, 8, v31
	v_lshlrev_b16_e32 v30, 8, v30
	v_and_b32_e32 v52, 0xffffff00, v52
	v_sub_i16 v30, v56, v30 clamp
	v_or_b32_sdwa v30, v30, v52 dst_sel:DWORD dst_unused:UNUSED_PAD src0_sel:BYTE_1 src1_sel:DWORD
	v_and_b32_sdwa v52, v31, s29 dst_sel:DWORD dst_unused:UNUSED_PAD src0_sel:WORD_1 src1_sel:DWORD
	v_sub_i16 v5, v52, v5 clamp
	v_lshlrev_b16_sdwa v31, v39, v31 dst_sel:DWORD dst_unused:UNUSED_PAD src0_sel:DWORD src1_sel:WORD_1
	v_lshlrev_b16_e32 v52, 8, v53
	v_and_b32_e32 v5, 0xffffff00, v5
	v_sub_i16 v31, v31, v52 clamp
	v_or_b32_sdwa v5, v31, v5 dst_sel:WORD_1 dst_unused:UNUSED_PAD src0_sel:BYTE_1 src1_sel:DWORD
	s_nop 0
	v_or_b32_sdwa v5, v30, v5 dst_sel:DWORD dst_unused:UNUSED_PAD src0_sel:WORD_0 src1_sel:DWORD
	v_dot4c_i32_i8_e32 v55, v5, v6
	global_load_ushort v6, v[32:33], off offset:4
	s_waitcnt vmcnt(0)
	v_and_b32_e32 v30, 0x1ff, v6
	v_lshlrev_b32_sdwa v30, v38, v30 dst_sel:DWORD dst_unused:UNUSED_PAD src0_sel:DWORD src1_sel:WORD_0
	global_load_dwordx2 v[30:31], v30, s[20:21]
	v_lshrrev_b16_e32 v52, 9, v6
	v_bcnt_u32_b32 v53, v52, 0
	v_and_b32_e32 v53, 1, v53
	v_lshl_or_b32 v53, v53, 7, v52
	v_mul_lo_u32 v53, v53, s28
	v_and_b32_e32 v56, 0x8000000, v53
	v_lshrrev_b32_e32 v57, 8, v53
	v_lshrrev_b16_e32 v58, 1, v57
	v_cmp_ne_u16_sdwa s[30:31], v56, v15 src0_sel:BYTE_3 src1_sel:DWORD
	v_lshlrev_b16_e32 v6, 6, v6
	v_bfe_i32 v58, v58, 0, 1
	v_lshrrev_b32_e32 v59, 18, v53
	v_cndmask_b32_e64 v56, 0, -1, s[30:31]
	v_ashrrev_i16_e32 v6, 15, v6
	v_bfe_i32 v59, v59, 0, 1
	v_lshlrev_b16_e32 v56, 8, v56
	v_lshlrev_b16_e32 v58, 8, v58
	v_or_b32_sdwa v60, v59, v56 dst_sel:WORD_1 dst_unused:UNUSED_PAD src0_sel:BYTE_0 src1_sel:DWORD
	v_or_b32_sdwa v61, v6, v58 dst_sel:DWORD dst_unused:UNUSED_PAD src0_sel:BYTE_0 src1_sel:DWORD
	v_or_b32_sdwa v60, v61, v60 dst_sel:DWORD dst_unused:UNUSED_PAD src0_sel:WORD_0 src1_sel:DWORD
	v_lshlrev_b16_e32 v6, 8, v6
	s_waitcnt vmcnt(0)
	v_xor_b32_e32 v30, v30, v60
	v_and_b32_e32 v60, 0xffffff00, v30
	v_sub_i16 v58, v60, v58 clamp
	v_lshlrev_b16_e32 v60, 8, v30
	v_and_b32_e32 v58, 0xffffff00, v58
	v_sub_i16 v6, v60, v6 clamp
	v_or_b32_sdwa v6, v6, v58 dst_sel:DWORD dst_unused:UNUSED_PAD src0_sel:BYTE_1 src1_sel:DWORD
	v_and_b32_sdwa v58, v30, s29 dst_sel:DWORD dst_unused:UNUSED_PAD src0_sel:WORD_1 src1_sel:DWORD
	v_sub_i16 v56, v58, v56 clamp
	v_lshlrev_b16_sdwa v30, v39, v30 dst_sel:DWORD dst_unused:UNUSED_PAD src0_sel:DWORD src1_sel:WORD_1
	v_lshlrev_b16_e32 v58, 8, v59
	v_and_b32_e32 v56, 0xffffff00, v56
	v_sub_i16 v30, v30, v58 clamp
	v_or_b32_sdwa v30, v30, v56 dst_sel:WORD_1 dst_unused:UNUSED_PAD src0_sel:BYTE_1 src1_sel:DWORD
	s_nop 0
	v_or_b32_sdwa v6, v6, v30 dst_sel:DWORD dst_unused:UNUSED_PAD src0_sel:WORD_0 src1_sel:DWORD
	v_dot4c_i32_i8_e32 v55, v6, v7
	v_and_b32_e32 v7, 0x80000000, v53
	v_bfe_i32 v30, v52, 4, 1
	v_lshrrev_b16_e32 v52, 5, v57
	v_cmp_ne_u16_sdwa s[30:31], v7, v15 src0_sel:BYTE_3 src1_sel:DWORD
	v_bfe_i32 v52, v52, 0, 1
	v_lshrrev_b32_e32 v53, 22, v53
	v_cndmask_b32_e64 v7, 0, -1, s[30:31]
	v_bfe_i32 v53, v53, 0, 1
	v_lshlrev_b16_e32 v7, 8, v7
	v_lshlrev_b16_e32 v52, 8, v52
	v_or_b32_sdwa v56, v53, v7 dst_sel:WORD_1 dst_unused:UNUSED_PAD src0_sel:BYTE_0 src1_sel:DWORD
	v_or_b32_sdwa v57, v30, v52 dst_sel:DWORD dst_unused:UNUSED_PAD src0_sel:BYTE_0 src1_sel:DWORD
	v_or_b32_sdwa v56, v57, v56 dst_sel:DWORD dst_unused:UNUSED_PAD src0_sel:WORD_0 src1_sel:DWORD
	v_xor_b32_e32 v31, v31, v56
	v_and_b32_e32 v56, 0xffffff00, v31
	v_sub_i16 v52, v56, v52 clamp
	v_lshlrev_b16_e32 v56, 8, v31
	v_lshlrev_b16_e32 v30, 8, v30
	v_and_b32_e32 v52, 0xffffff00, v52
	v_sub_i16 v30, v56, v30 clamp
	v_or_b32_sdwa v30, v30, v52 dst_sel:DWORD dst_unused:UNUSED_PAD src0_sel:BYTE_1 src1_sel:DWORD
	v_and_b32_sdwa v52, v31, s29 dst_sel:DWORD dst_unused:UNUSED_PAD src0_sel:WORD_1 src1_sel:DWORD
	v_sub_i16 v7, v52, v7 clamp
	v_lshlrev_b16_sdwa v31, v39, v31 dst_sel:DWORD dst_unused:UNUSED_PAD src0_sel:DWORD src1_sel:WORD_1
	v_lshlrev_b16_e32 v52, 8, v53
	v_and_b32_e32 v7, 0xffffff00, v7
	v_sub_i16 v31, v31, v52 clamp
	v_or_b32_sdwa v7, v31, v7 dst_sel:WORD_1 dst_unused:UNUSED_PAD src0_sel:BYTE_1 src1_sel:DWORD
	s_nop 0
	v_or_b32_sdwa v7, v30, v7 dst_sel:DWORD dst_unused:UNUSED_PAD src0_sel:WORD_0 src1_sel:DWORD
	v_dot4c_i32_i8_e32 v55, v7, v0
	global_load_ushort v0, v[32:33], off offset:6
	s_waitcnt vmcnt(0)
	v_and_b32_e32 v30, 0x1ff, v0
	v_lshlrev_b32_sdwa v30, v38, v30 dst_sel:DWORD dst_unused:UNUSED_PAD src0_sel:DWORD src1_sel:WORD_0
	global_load_dwordx2 v[30:31], v30, s[20:21]
	v_lshrrev_b16_e32 v53, 9, v0
	v_bcnt_u32_b32 v52, v53, 0
	v_and_b32_e32 v52, 1, v52
	v_lshl_or_b32 v52, v52, 7, v53
	v_mul_lo_u32 v56, v52, s28
	v_and_b32_e32 v52, 0x8000000, v56
	v_lshrrev_b32_e32 v57, 8, v56
	v_lshrrev_b16_e32 v58, 1, v57
	v_cmp_ne_u16_sdwa s[30:31], v52, v15 src0_sel:BYTE_3 src1_sel:DWORD
	v_lshlrev_b16_e32 v0, 6, v0
	v_bfe_i32 v58, v58, 0, 1
	v_lshrrev_b32_e32 v59, 18, v56
	v_cndmask_b32_e64 v52, 0, -1, s[30:31]
	v_ashrrev_i16_e32 v0, 15, v0
	v_bfe_i32 v59, v59, 0, 1
	v_lshlrev_b16_e32 v52, 8, v52
	v_lshlrev_b16_e32 v58, 8, v58
	v_or_b32_sdwa v60, v59, v52 dst_sel:WORD_1 dst_unused:UNUSED_PAD src0_sel:BYTE_0 src1_sel:DWORD
	v_or_b32_sdwa v61, v0, v58 dst_sel:DWORD dst_unused:UNUSED_PAD src0_sel:BYTE_0 src1_sel:DWORD
	v_or_b32_sdwa v60, v61, v60 dst_sel:DWORD dst_unused:UNUSED_PAD src0_sel:WORD_0 src1_sel:DWORD
	v_lshlrev_b16_e32 v0, 8, v0
	s_waitcnt vmcnt(0)
	v_xor_b32_e32 v30, v30, v60
	v_and_b32_e32 v60, 0xffffff00, v30
	v_sub_i16 v58, v60, v58 clamp
	v_lshlrev_b16_e32 v60, 8, v30
	v_and_b32_e32 v58, 0xffffff00, v58
	v_sub_i16 v0, v60, v0 clamp
	v_or_b32_sdwa v0, v0, v58 dst_sel:DWORD dst_unused:UNUSED_PAD src0_sel:BYTE_1 src1_sel:DWORD
	v_and_b32_sdwa v58, v30, s29 dst_sel:DWORD dst_unused:UNUSED_PAD src0_sel:WORD_1 src1_sel:DWORD
	v_sub_i16 v52, v58, v52 clamp
	v_lshlrev_b16_sdwa v30, v39, v30 dst_sel:DWORD dst_unused:UNUSED_PAD src0_sel:DWORD src1_sel:WORD_1
	v_lshlrev_b16_e32 v58, 8, v59
	v_and_b32_e32 v52, 0xffffff00, v52
	v_sub_i16 v30, v30, v58 clamp
	v_or_b32_sdwa v30, v30, v52 dst_sel:WORD_1 dst_unused:UNUSED_PAD src0_sel:BYTE_1 src1_sel:DWORD
	s_nop 0
	v_or_b32_sdwa v52, v0, v30 dst_sel:DWORD dst_unused:UNUSED_PAD src0_sel:WORD_0 src1_sel:DWORD
	v_mov_b32_e32 v0, 0
	v_dot4c_i32_i8_e32 v0, v52, v1
	v_and_b32_e32 v1, 0x80000000, v56
	v_bfe_i32 v30, v53, 4, 1
	v_lshrrev_b16_e32 v53, 5, v57
	v_cmp_ne_u16_sdwa s[30:31], v1, v15 src0_sel:BYTE_3 src1_sel:DWORD
	v_bfe_i32 v53, v53, 0, 1
	v_lshrrev_b32_e32 v56, 22, v56
	v_cndmask_b32_e64 v1, 0, -1, s[30:31]
	v_bfe_i32 v56, v56, 0, 1
	v_lshlrev_b16_e32 v1, 8, v1
	v_lshlrev_b16_e32 v53, 8, v53
	v_or_b32_sdwa v57, v56, v1 dst_sel:WORD_1 dst_unused:UNUSED_PAD src0_sel:BYTE_0 src1_sel:DWORD
	v_or_b32_sdwa v58, v30, v53 dst_sel:DWORD dst_unused:UNUSED_PAD src0_sel:BYTE_0 src1_sel:DWORD
	v_or_b32_sdwa v57, v58, v57 dst_sel:DWORD dst_unused:UNUSED_PAD src0_sel:WORD_0 src1_sel:DWORD
	v_xor_b32_e32 v31, v31, v57
	v_and_b32_e32 v57, 0xffffff00, v31
	v_sub_i16 v53, v57, v53 clamp
	v_lshlrev_b16_e32 v57, 8, v31
	v_lshlrev_b16_e32 v30, 8, v30
	v_and_b32_e32 v53, 0xffffff00, v53
	v_sub_i16 v30, v57, v30 clamp
	v_or_b32_sdwa v30, v30, v53 dst_sel:DWORD dst_unused:UNUSED_PAD src0_sel:BYTE_1 src1_sel:DWORD
	v_and_b32_sdwa v53, v31, s29 dst_sel:DWORD dst_unused:UNUSED_PAD src0_sel:WORD_1 src1_sel:DWORD
	v_sub_i16 v1, v53, v1 clamp
	v_lshlrev_b16_sdwa v31, v39, v31 dst_sel:DWORD dst_unused:UNUSED_PAD src0_sel:DWORD src1_sel:WORD_1
	v_lshlrev_b16_e32 v53, 8, v56
	v_and_b32_e32 v1, 0xffffff00, v1
	v_sub_i16 v31, v31, v53 clamp
	v_or_b32_sdwa v1, v31, v1 dst_sel:WORD_1 dst_unused:UNUSED_PAD src0_sel:BYTE_1 src1_sel:DWORD
	s_nop 0
	v_or_b32_sdwa v53, v30, v1 dst_sel:DWORD dst_unused:UNUSED_PAD src0_sel:WORD_0 src1_sel:DWORD
	global_load_ushort v1, v[32:33], off offset:8
	v_dot4c_i32_i8_e32 v0, v53, v2
	s_waitcnt vmcnt(0)
	v_and_b32_e32 v2, 0x1ff, v1
	v_lshlrev_b32_sdwa v2, v38, v2 dst_sel:DWORD dst_unused:UNUSED_PAD src0_sel:DWORD src1_sel:WORD_0
	global_load_dwordx2 v[30:31], v2, s[20:21]
	v_lshrrev_b16_e32 v2, 9, v1
	v_bcnt_u32_b32 v32, v2, 0
	v_and_b32_e32 v32, 1, v32
	v_lshl_or_b32 v32, v32, 7, v2
	v_mul_lo_u32 v32, v32, s28
	v_and_b32_e32 v33, 0x8000000, v32
	v_lshrrev_b32_e32 v56, 8, v32
	v_lshrrev_b16_e32 v57, 1, v56
	v_cmp_ne_u16_sdwa s[30:31], v33, v15 src0_sel:BYTE_3 src1_sel:DWORD
	v_lshlrev_b16_e32 v1, 6, v1
	v_bfe_i32 v57, v57, 0, 1
	v_lshrrev_b32_e32 v58, 18, v32
	v_cndmask_b32_e64 v33, 0, -1, s[30:31]
	v_ashrrev_i16_e32 v1, 15, v1
	v_bfe_i32 v58, v58, 0, 1
	v_lshlrev_b16_e32 v33, 8, v33
	v_lshlrev_b16_e32 v57, 8, v57
	v_or_b32_sdwa v59, v58, v33 dst_sel:WORD_1 dst_unused:UNUSED_PAD src0_sel:BYTE_0 src1_sel:DWORD
	v_or_b32_sdwa v60, v1, v57 dst_sel:DWORD dst_unused:UNUSED_PAD src0_sel:BYTE_0 src1_sel:DWORD
	v_or_b32_sdwa v59, v60, v59 dst_sel:DWORD dst_unused:UNUSED_PAD src0_sel:WORD_0 src1_sel:DWORD
	v_lshlrev_b16_e32 v1, 8, v1
	v_bfe_i32 v2, v2, 4, 1
	s_waitcnt vmcnt(0)
	v_xor_b32_e32 v30, v30, v59
	v_and_b32_e32 v59, 0xffffff00, v30
	v_sub_i16 v57, v59, v57 clamp
	v_lshlrev_b16_e32 v59, 8, v30
	v_and_b32_e32 v57, 0xffffff00, v57
	v_sub_i16 v1, v59, v1 clamp
	v_or_b32_sdwa v1, v1, v57 dst_sel:DWORD dst_unused:UNUSED_PAD src0_sel:BYTE_1 src1_sel:DWORD
	v_and_b32_sdwa v57, v30, s29 dst_sel:DWORD dst_unused:UNUSED_PAD src0_sel:WORD_1 src1_sel:DWORD
	v_sub_i16 v33, v57, v33 clamp
	v_lshlrev_b16_sdwa v30, v39, v30 dst_sel:DWORD dst_unused:UNUSED_PAD src0_sel:DWORD src1_sel:WORD_1
	v_lshlrev_b16_e32 v57, 8, v58
	v_and_b32_e32 v33, 0xffffff00, v33
	v_sub_i16 v30, v30, v57 clamp
	v_or_b32_sdwa v30, v30, v33 dst_sel:WORD_1 dst_unused:UNUSED_PAD src0_sel:BYTE_1 src1_sel:DWORD
	s_nop 0
	v_or_b32_sdwa v30, v1, v30 dst_sel:DWORD dst_unused:UNUSED_PAD src0_sel:WORD_0 src1_sel:DWORD
	v_and_b32_e32 v1, 0x80000000, v32
	v_dot4c_i32_i8_e32 v0, v30, v3
	v_lshrrev_b16_e32 v3, 5, v56
	v_cmp_ne_u16_sdwa s[30:31], v1, v15 src0_sel:BYTE_3 src1_sel:DWORD
	v_bfe_i32 v3, v3, 0, 1
	v_lshrrev_b32_e32 v32, 22, v32
	v_cndmask_b32_e64 v1, 0, -1, s[30:31]
	v_bfe_i32 v32, v32, 0, 1
	v_lshlrev_b16_e32 v1, 8, v1
	v_lshlrev_b16_e32 v3, 8, v3
	v_or_b32_sdwa v33, v32, v1 dst_sel:WORD_1 dst_unused:UNUSED_PAD src0_sel:BYTE_0 src1_sel:DWORD
	v_or_b32_sdwa v56, v2, v3 dst_sel:DWORD dst_unused:UNUSED_PAD src0_sel:BYTE_0 src1_sel:DWORD
	v_or_b32_sdwa v33, v56, v33 dst_sel:DWORD dst_unused:UNUSED_PAD src0_sel:WORD_0 src1_sel:DWORD
	v_xor_b32_e32 v31, v31, v33
	v_and_b32_e32 v33, 0xffffff00, v31
	v_sub_i16 v3, v33, v3 clamp
	v_lshlrev_b16_e32 v33, 8, v31
	v_lshlrev_b16_e32 v2, 8, v2
	v_and_b32_e32 v3, 0xffffff00, v3
	v_sub_i16 v2, v33, v2 clamp
	v_or_b32_sdwa v2, v2, v3 dst_sel:DWORD dst_unused:UNUSED_PAD src0_sel:BYTE_1 src1_sel:DWORD
	v_and_b32_sdwa v3, v31, s29 dst_sel:DWORD dst_unused:UNUSED_PAD src0_sel:WORD_1 src1_sel:DWORD
	v_sub_i16 v1, v3, v1 clamp
	v_lshlrev_b16_sdwa v3, v39, v31 dst_sel:DWORD dst_unused:UNUSED_PAD src0_sel:DWORD src1_sel:WORD_1
	v_lshlrev_b16_e32 v31, 8, v32
	v_and_b32_e32 v1, 0xffffff00, v1
	v_sub_i16 v3, v3, v31 clamp
	v_or_b32_sdwa v1, v3, v1 dst_sel:WORD_1 dst_unused:UNUSED_PAD src0_sel:BYTE_1 src1_sel:DWORD
	global_load_ubyte v3, v[28:29], off offset:66
	v_or_b32_sdwa v31, v2, v1 dst_sel:DWORD dst_unused:UNUSED_PAD src0_sel:WORD_0 src1_sel:DWORD
	global_load_ubyte v1, v[24:25], off offset:66
	v_dot4c_i32_i8_e32 v0, v31, v9
	s_waitcnt vmcnt(1)
	v_lshrrev_b32_e32 v29, 4, v3
	v_and_b32_e32 v25, 15, v3
	s_waitcnt vmcnt(0)
	v_and_b32_e32 v24, 15, v1
	v_mul_lo_u32 v2, v8, v24
	v_add_u32_e32 v8, v54, v8
	v_lshrrev_b32_e32 v32, 31, v8
	v_lshrrev_b32_e32 v28, 4, v1
	v_mul_lo_u32 v3, v0, v29
	v_add_u32_e32 v0, v0, v55
	v_add_u32_e32 v8, v8, v32
	v_mul_lo_u32 v1, v54, v28
	v_ashrrev_i32_e32 v8, 1, v8
	v_lshrrev_b32_e32 v32, 31, v0
	v_add_u32_e32 v0, v0, v32
	v_add3_u32 v1, v1, v2, v8
	v_mul_lo_u32 v9, v55, v25
	v_ashrrev_i32_e32 v0, 1, v0
	v_ashrrev_i32_e32 v2, 31, v1
	v_add3_u32 v0, v3, v9, v0
	v_lshrrev_b32_e32 v2, 30, v2
	v_add_u32_e32 v1, v1, v2
	v_ashrrev_i32_e32 v2, 31, v0
	v_lshrrev_b32_e32 v2, 30, v2
	v_add_u32_e32 v0, v0, v2
	global_load_ushort v2, v[22:23], off
	global_load_ushort v3, v[26:27], off
	v_ashrrev_i32_e32 v1, 2, v1
	v_ashrrev_i32_e32 v0, 2, v0
	v_cvt_f32_i32_e32 v27, v0
	v_cvt_f32_i32_e32 v26, v1
	v_mov_b32_e32 v32, 0
	s_waitcnt vmcnt(1)
	v_cvt_f32_f16_e32 v8, v2
	s_waitcnt vmcnt(0)
	v_cvt_f32_f16_e32 v9, v3
	scratch_load_dwordx4 v[0:3], off, off offset:16
	v_pk_mul_f32 v[22:23], v[4:5], v[8:9] op_sel_hi:[0,1]
	v_add_u32_e32 v4, s27, v37
	s_waitcnt vmcnt(0)
	v_pk_fma_f32 v[0:1], v[22:23], v[26:27], v[0:1]
	v_mad_u64_u32 v[22:23], s[30:31], v4, 36, s[24:25]
	v_mad_u64_u32 v[22:23], s[30:31], v14, 36, v[22:23]
	global_load_dword v26, v[22:23], off offset:32
	global_load_dwordx4 v[54:57], v[22:23], off offset:16
	global_load_dwordx4 v[58:61], v[22:23], off
	v_mov_b32_e32 v22, 0
	v_mov_b32_e32 v23, 0
	;; [unrolled: 1-line block ×3, first 2 shown]
	s_waitcnt vmcnt(1)
	v_dot4c_i32_i8_e32 v23, v49, v55
	s_waitcnt vmcnt(0)
	v_dot4c_i32_i8_e32 v22, v10, v59
	v_dot4c_i32_i8_e32 v22, v11, v60
	;; [unrolled: 1-line block ×14, first 2 shown]
	v_mul_lo_u32 v26, v22, v24
	v_add_u32_e32 v22, v23, v22
	v_dot4c_i32_i8_e32 v27, v7, v54
	v_mul_lo_u32 v54, v23, v28
	v_lshrrev_b32_e32 v23, 31, v22
	v_add_u32_e32 v22, v22, v23
	v_mul_lo_u32 v33, v27, v25
	v_add_u32_e32 v27, v32, v27
	v_ashrrev_i32_e32 v22, 1, v22
	v_lshrrev_b32_e32 v23, 31, v27
	v_add3_u32 v22, v54, v26, v22
	v_add_u32_e32 v23, v27, v23
	v_ashrrev_i32_e32 v26, 31, v22
	v_mul_lo_u32 v55, v32, v29
	v_ashrrev_i32_e32 v23, 1, v23
	v_lshrrev_b32_e32 v26, 30, v26
	v_add3_u32 v23, v55, v33, v23
	v_add_u32_e32 v22, v22, v26
	v_ashrrev_i32_e32 v26, 2, v22
	v_ashrrev_i32_e32 v22, 31, v23
	v_lshrrev_b32_e32 v22, 30, v22
	v_add_u32_e32 v22, v23, v22
	v_cvt_f32_f16_e32 v4, v58
	v_ashrrev_i32_e32 v27, 2, v22
	v_cvt_f32_i32_e32 v27, v27
	v_cvt_f32_i32_e32 v26, v26
	v_pk_mul_f32 v[22:23], v[4:5], v[8:9] op_sel_hi:[0,1]
	v_lshlrev_b16_e32 v32, 6, v46
	v_ashrrev_i16_e32 v32, 15, v32
	v_pk_fma_f32 v[2:3], v[22:23], v[26:27], v[2:3]
	scratch_store_dwordx4 off, v[0:3], off offset:16
	v_mov_b32_e32 v27, 0
	s_nop 0
	v_add_u32_e32 v0, s26, v37
	v_mad_u64_u32 v[0:1], s[30:31], v0, 36, s[24:25]
	v_mad_u64_u32 v[22:23], s[30:31], v14, 36, v[0:1]
	global_load_dword v26, v[22:23], off offset:32
	global_load_dwordx4 v[0:3], v[22:23], off offset:16
	global_load_dwordx4 v[54:57], v[22:23], off
	v_mov_b32_e32 v22, 0
	v_mov_b32_e32 v23, 0
	s_waitcnt vmcnt(1)
	v_dot4c_i32_i8_e32 v23, v49, v1
	s_waitcnt vmcnt(0)
	v_dot4c_i32_i8_e32 v22, v10, v55
	v_dot4c_i32_i8_e32 v27, v51, v55
	;; [unrolled: 1-line block ×8, first 2 shown]
	v_mov_b32_e32 v0, 0
	v_dot4c_i32_i8_e32 v23, v50, v2
	v_dot4c_i32_i8_e32 v0, v52, v1
	;; [unrolled: 1-line block ×7, first 2 shown]
	v_mul_lo_u32 v1, v22, v24
	v_add_u32_e32 v22, v23, v22
	v_mul_lo_u32 v3, v23, v28
	v_mul_lo_u32 v26, v0, v29
	v_add_u32_e32 v0, v0, v27
	v_lshrrev_b32_e32 v23, 31, v22
	v_add_u32_e32 v22, v22, v23
	v_lshrrev_b32_e32 v23, 31, v0
	v_ashrrev_i32_e32 v22, 1, v22
	v_add_u32_e32 v0, v0, v23
	v_mul_lo_u32 v2, v27, v25
	v_ashrrev_i32_e32 v0, 1, v0
	v_add3_u32 v1, v3, v1, v22
	v_add3_u32 v0, v26, v2, v0
	v_ashrrev_i32_e32 v2, 31, v1
	v_lshrrev_b32_e32 v2, 30, v2
	v_add_u32_e32 v1, v1, v2
	v_ashrrev_i32_e32 v2, 31, v0
	v_lshrrev_b32_e32 v2, 30, v2
	v_add_u32_e32 v0, v0, v2
	v_ashrrev_i32_e32 v1, 2, v1
	v_ashrrev_i32_e32 v0, 2, v0
	v_cvt_f32_i32_e32 v27, v0
	v_cvt_f32_i32_e32 v26, v1
	scratch_load_dwordx4 v[0:3], off, off offset:32
	v_cvt_f32_f16_e32 v4, v54
	v_pk_mul_f32 v[22:23], v[4:5], v[8:9] op_sel_hi:[0,1]
	v_add_u32_e32 v4, s19, v37
	s_waitcnt vmcnt(0)
	v_pk_fma_f32 v[0:1], v[22:23], v[26:27], v[0:1]
	v_mad_u64_u32 v[22:23], s[30:31], v4, 36, s[24:25]
	v_mad_u64_u32 v[22:23], s[30:31], v14, 36, v[22:23]
	global_load_dword v26, v[22:23], off offset:32
	global_load_dwordx4 v[54:57], v[22:23], off offset:16
	global_load_dwordx4 v[58:61], v[22:23], off
	v_mov_b32_e32 v22, 0
	s_waitcnt vmcnt(0)
	v_dot4c_i32_i8_e32 v22, v10, v59
	v_dot4c_i32_i8_e32 v22, v11, v60
	v_mov_b32_e32 v11, 0
	v_mov_b32_e32 v10, 0
	v_dot4c_i32_i8_e32 v11, v51, v59
	v_dot4c_i32_i8_e32 v10, v49, v55
	;; [unrolled: 1-line block ×3, first 2 shown]
	v_mov_b32_e32 v5, 0
	v_dot4c_i32_i8_e32 v10, v50, v56
	v_dot4c_i32_i8_e32 v5, v52, v55
	;; [unrolled: 1-line block ×11, first 2 shown]
	v_mul_lo_u32 v23, v10, v28
	v_add_u32_e32 v10, v10, v22
	v_mul_lo_u32 v7, v11, v25
	v_mul_lo_u32 v26, v5, v29
	v_add_u32_e32 v5, v5, v11
	v_lshrrev_b32_e32 v11, 31, v10
	v_add_u32_e32 v10, v10, v11
	v_lshrrev_b32_e32 v11, 31, v5
	v_mul_lo_u32 v6, v22, v24
	v_ashrrev_i32_e32 v10, 1, v10
	v_add_u32_e32 v5, v5, v11
	v_ashrrev_i32_e32 v5, 1, v5
	v_add3_u32 v6, v23, v6, v10
	v_add3_u32 v5, v26, v7, v5
	v_ashrrev_i32_e32 v7, 31, v6
	v_lshrrev_b32_e32 v7, 30, v7
	v_add_u32_e32 v6, v6, v7
	v_ashrrev_i32_e32 v7, 31, v5
	v_lshrrev_b32_e32 v7, 30, v7
	v_add_u32_e32 v5, v5, v7
	v_cvt_f32_f16_e32 v4, v58
	v_ashrrev_i32_e32 v6, 2, v6
	v_ashrrev_i32_e32 v7, 2, v5
	v_cvt_f32_i32_e32 v7, v7
	v_cvt_f32_i32_e32 v6, v6
	v_pk_mul_f32 v[4:5], v[4:5], v[8:9] op_sel_hi:[0,1]
	v_lshrrev_b16_e32 v23, 9, v46
	v_bcnt_u32_b32 v26, v23, 0
	v_pk_fma_f32 v[2:3], v[4:5], v[6:7], v[2:3]
	scratch_store_dwordx4 off, v[0:3], off offset:32
	v_and_b32_e32 v26, 1, v26
	v_lshl_or_b32 v26, v26, 7, v23
	v_add_u32_e32 v0, s15, v37
	v_mad_u64_u32 v[0:1], s[30:31], v0, 36, s[24:25]
	v_mad_u64_u32 v[10:11], s[30:31], v14, 36, v[0:1]
	global_load_dword v22, v[10:11], off offset:32
	global_load_dwordx4 v[0:3], v[10:11], off offset:16
	global_load_dwordx4 v[4:7], v[10:11], off
	v_and_b32_e32 v10, 0x1ff, v46
	v_lshlrev_b32_e32 v10, 3, v10
	global_load_dwordx2 v[10:11], v10, s[20:21]
	v_mul_lo_u32 v26, v26, s28
	v_and_b32_e32 v27, 0x8000000, v26
	v_lshrrev_b32_e32 v33, 8, v26
	v_lshrrev_b16_e32 v46, 1, v33
	v_cmp_ne_u16_sdwa s[30:31], v27, v15 src0_sel:BYTE_3 src1_sel:DWORD
	v_bfe_i32 v46, v46, 0, 1
	v_lshrrev_b32_e32 v47, 18, v26
	v_cndmask_b32_e64 v27, 0, -1, s[30:31]
	v_bfe_i32 v47, v47, 0, 1
	v_lshlrev_b16_e32 v27, 8, v27
	v_lshlrev_b16_e32 v46, 8, v46
	v_or_b32_sdwa v48, v47, v27 dst_sel:WORD_1 dst_unused:UNUSED_PAD src0_sel:BYTE_0 src1_sel:DWORD
	v_or_b32_sdwa v49, v32, v46 dst_sel:DWORD dst_unused:UNUSED_PAD src0_sel:BYTE_0 src1_sel:DWORD
	v_or_b32_sdwa v48, v49, v48 dst_sel:DWORD dst_unused:UNUSED_PAD src0_sel:WORD_0 src1_sel:DWORD
	v_lshlrev_b16_e32 v32, 8, v32
	v_bfe_i32 v23, v23, 4, 1
	v_add_u32_e32 v37, 64, v37
	s_waitcnt vmcnt(1)
	v_cvt_f32_f16_e32 v4, v4
	s_waitcnt vmcnt(0)
	v_xor_b32_e32 v10, v10, v48
	v_and_b32_e32 v48, 0xffffff00, v10
	v_sub_i16 v46, v48, v46 clamp
	v_lshlrev_b16_e32 v48, 8, v10
	v_and_b32_e32 v46, 0xffffff00, v46
	v_sub_i16 v32, v48, v32 clamp
	v_or_b32_sdwa v32, v32, v46 dst_sel:DWORD dst_unused:UNUSED_PAD src0_sel:BYTE_1 src1_sel:DWORD
	v_and_b32_sdwa v46, v10, s29 dst_sel:DWORD dst_unused:UNUSED_PAD src0_sel:WORD_1 src1_sel:DWORD
	v_sub_i16 v27, v46, v27 clamp
	v_lshlrev_b16_sdwa v10, v39, v10 dst_sel:DWORD dst_unused:UNUSED_PAD src0_sel:DWORD src1_sel:WORD_1
	v_lshlrev_b16_e32 v46, 8, v47
	v_and_b32_e32 v27, 0xffffff00, v27
	v_sub_i16 v10, v10, v46 clamp
	v_or_b32_sdwa v10, v10, v27 dst_sel:WORD_1 dst_unused:UNUSED_PAD src0_sel:BYTE_1 src1_sel:DWORD
	v_and_b32_e32 v27, 0x80000000, v26
	v_or_b32_sdwa v10, v32, v10 dst_sel:DWORD dst_unused:UNUSED_PAD src0_sel:WORD_0 src1_sel:DWORD
	v_lshrrev_b16_e32 v32, 5, v33
	v_cmp_ne_u16_sdwa s[30:31], v27, v15 src0_sel:BYTE_3 src1_sel:DWORD
	v_bfe_i32 v32, v32, 0, 1
	v_lshrrev_b32_e32 v26, 22, v26
	v_cndmask_b32_e64 v27, 0, -1, s[30:31]
	v_bfe_i32 v26, v26, 0, 1
	v_lshlrev_b16_e32 v27, 8, v27
	v_lshlrev_b16_e32 v32, 8, v32
	v_or_b32_sdwa v33, v26, v27 dst_sel:WORD_1 dst_unused:UNUSED_PAD src0_sel:BYTE_0 src1_sel:DWORD
	v_or_b32_sdwa v46, v23, v32 dst_sel:DWORD dst_unused:UNUSED_PAD src0_sel:BYTE_0 src1_sel:DWORD
	v_or_b32_sdwa v33, v46, v33 dst_sel:DWORD dst_unused:UNUSED_PAD src0_sel:WORD_0 src1_sel:DWORD
	v_xor_b32_e32 v11, v11, v33
	v_and_b32_e32 v33, 0xffffff00, v11
	v_sub_i16 v32, v33, v32 clamp
	v_lshlrev_b16_e32 v33, 8, v11
	v_lshlrev_b16_e32 v23, 8, v23
	v_and_b32_e32 v32, 0xffffff00, v32
	v_sub_i16 v23, v33, v23 clamp
	v_or_b32_sdwa v23, v23, v32 dst_sel:DWORD dst_unused:UNUSED_PAD src0_sel:BYTE_1 src1_sel:DWORD
	v_and_b32_sdwa v32, v11, s29 dst_sel:DWORD dst_unused:UNUSED_PAD src0_sel:WORD_1 src1_sel:DWORD
	v_sub_i16 v27, v32, v27 clamp
	v_lshlrev_b16_sdwa v11, v39, v11 dst_sel:DWORD dst_unused:UNUSED_PAD src0_sel:DWORD src1_sel:WORD_1
	v_lshlrev_b16_e32 v26, 8, v26
	v_and_b32_e32 v27, 0xffffff00, v27
	v_sub_i16 v11, v11, v26 clamp
	v_or_b32_sdwa v11, v11, v27 dst_sel:WORD_1 dst_unused:UNUSED_PAD src0_sel:BYTE_1 src1_sel:DWORD
	v_lshrrev_b16_e32 v26, 9, v44
	v_or_b32_sdwa v11, v23, v11 dst_sel:DWORD dst_unused:UNUSED_PAD src0_sel:WORD_0 src1_sel:DWORD
	v_mov_b32_e32 v23, 0
	v_dot4c_i32_i8_e32 v23, v10, v5
	v_and_b32_e32 v10, 0x1ff, v44
	v_lshlrev_b32_e32 v10, 3, v10
	v_dot4c_i32_i8_e32 v23, v11, v6
	global_load_dwordx2 v[10:11], v10, s[20:21]
	v_bcnt_u32_b32 v27, v26, 0
	v_and_b32_e32 v27, 1, v27
	v_lshl_or_b32 v27, v27, 7, v26
	v_mul_lo_u32 v27, v27, s28
	v_and_b32_e32 v32, 0x8000000, v27
	v_lshlrev_b16_e32 v33, 6, v44
	v_lshrrev_b32_e32 v44, 8, v27
	v_lshrrev_b16_e32 v46, 1, v44
	v_cmp_ne_u16_sdwa s[30:31], v32, v15 src0_sel:BYTE_3 src1_sel:DWORD
	v_bfe_i32 v46, v46, 0, 1
	v_lshrrev_b32_e32 v47, 18, v27
	v_cndmask_b32_e64 v32, 0, -1, s[30:31]
	v_ashrrev_i16_e32 v33, 15, v33
	v_bfe_i32 v47, v47, 0, 1
	v_lshlrev_b16_e32 v32, 8, v32
	v_lshlrev_b16_e32 v46, 8, v46
	v_or_b32_sdwa v48, v47, v32 dst_sel:WORD_1 dst_unused:UNUSED_PAD src0_sel:BYTE_0 src1_sel:DWORD
	v_or_b32_sdwa v49, v33, v46 dst_sel:DWORD dst_unused:UNUSED_PAD src0_sel:BYTE_0 src1_sel:DWORD
	v_or_b32_sdwa v48, v49, v48 dst_sel:DWORD dst_unused:UNUSED_PAD src0_sel:WORD_0 src1_sel:DWORD
	v_lshlrev_b16_e32 v33, 8, v33
	v_bfe_i32 v26, v26, 4, 1
	s_waitcnt vmcnt(0)
	v_xor_b32_e32 v10, v10, v48
	v_and_b32_e32 v48, 0xffffff00, v10
	v_sub_i16 v46, v48, v46 clamp
	v_lshlrev_b16_e32 v48, 8, v10
	v_and_b32_e32 v46, 0xffffff00, v46
	v_sub_i16 v33, v48, v33 clamp
	v_or_b32_sdwa v33, v33, v46 dst_sel:DWORD dst_unused:UNUSED_PAD src0_sel:BYTE_1 src1_sel:DWORD
	v_and_b32_sdwa v46, v10, s29 dst_sel:DWORD dst_unused:UNUSED_PAD src0_sel:WORD_1 src1_sel:DWORD
	v_sub_i16 v32, v46, v32 clamp
	v_lshlrev_b16_sdwa v10, v39, v10 dst_sel:DWORD dst_unused:UNUSED_PAD src0_sel:DWORD src1_sel:WORD_1
	v_lshlrev_b16_e32 v46, 8, v47
	v_and_b32_e32 v32, 0xffffff00, v32
	v_sub_i16 v10, v10, v46 clamp
	v_or_b32_sdwa v10, v10, v32 dst_sel:WORD_1 dst_unused:UNUSED_PAD src0_sel:BYTE_1 src1_sel:DWORD
	v_and_b32_e32 v32, 0x80000000, v27
	v_or_b32_sdwa v10, v33, v10 dst_sel:DWORD dst_unused:UNUSED_PAD src0_sel:WORD_0 src1_sel:DWORD
	v_lshrrev_b16_e32 v33, 5, v44
	v_cmp_ne_u16_sdwa s[30:31], v32, v15 src0_sel:BYTE_3 src1_sel:DWORD
	v_bfe_i32 v33, v33, 0, 1
	v_lshrrev_b32_e32 v27, 22, v27
	v_cndmask_b32_e64 v32, 0, -1, s[30:31]
	v_bfe_i32 v27, v27, 0, 1
	v_lshlrev_b16_e32 v32, 8, v32
	v_lshlrev_b16_e32 v33, 8, v33
	v_or_b32_sdwa v44, v27, v32 dst_sel:WORD_1 dst_unused:UNUSED_PAD src0_sel:BYTE_0 src1_sel:DWORD
	v_or_b32_sdwa v46, v26, v33 dst_sel:DWORD dst_unused:UNUSED_PAD src0_sel:BYTE_0 src1_sel:DWORD
	v_or_b32_sdwa v44, v46, v44 dst_sel:DWORD dst_unused:UNUSED_PAD src0_sel:WORD_0 src1_sel:DWORD
	v_xor_b32_e32 v11, v11, v44
	v_and_b32_e32 v44, 0xffffff00, v11
	v_sub_i16 v33, v44, v33 clamp
	v_lshlrev_b16_e32 v44, 8, v11
	v_lshlrev_b16_e32 v26, 8, v26
	v_and_b32_e32 v33, 0xffffff00, v33
	v_sub_i16 v26, v44, v26 clamp
	v_or_b32_sdwa v26, v26, v33 dst_sel:DWORD dst_unused:UNUSED_PAD src0_sel:BYTE_1 src1_sel:DWORD
	v_and_b32_sdwa v33, v11, s29 dst_sel:DWORD dst_unused:UNUSED_PAD src0_sel:WORD_1 src1_sel:DWORD
	v_sub_i16 v32, v33, v32 clamp
	v_lshlrev_b16_sdwa v11, v39, v11 dst_sel:DWORD dst_unused:UNUSED_PAD src0_sel:DWORD src1_sel:WORD_1
	v_lshlrev_b16_e32 v27, 8, v27
	v_and_b32_e32 v32, 0xffffff00, v32
	v_sub_i16 v11, v11, v27 clamp
	v_or_b32_sdwa v11, v11, v32 dst_sel:WORD_1 dst_unused:UNUSED_PAD src0_sel:BYTE_1 src1_sel:DWORD
	v_dot4c_i32_i8_e32 v23, v10, v7
	v_and_b32_e32 v10, 0x1ff, v42
	v_or_b32_sdwa v11, v26, v11 dst_sel:DWORD dst_unused:UNUSED_PAD src0_sel:WORD_0 src1_sel:DWORD
	v_lshlrev_b32_e32 v10, 3, v10
	v_dot4c_i32_i8_e32 v23, v11, v0
	global_load_dwordx2 v[10:11], v10, s[20:21]
	v_lshrrev_b16_e32 v26, 9, v42
	v_bcnt_u32_b32 v27, v26, 0
	v_and_b32_e32 v27, 1, v27
	v_lshl_or_b32 v27, v27, 7, v26
	v_mul_lo_u32 v27, v27, s28
	v_and_b32_e32 v32, 0x8000000, v27
	v_lshlrev_b16_e32 v33, 6, v42
	v_lshrrev_b32_e32 v42, 8, v27
	v_lshrrev_b16_e32 v44, 1, v42
	v_cmp_ne_u16_sdwa s[30:31], v32, v15 src0_sel:BYTE_3 src1_sel:DWORD
	v_bfe_i32 v44, v44, 0, 1
	v_lshrrev_b32_e32 v46, 18, v27
	v_cndmask_b32_e64 v32, 0, -1, s[30:31]
	v_ashrrev_i16_e32 v33, 15, v33
	v_bfe_i32 v46, v46, 0, 1
	v_lshlrev_b16_e32 v32, 8, v32
	v_lshlrev_b16_e32 v44, 8, v44
	v_or_b32_sdwa v47, v46, v32 dst_sel:WORD_1 dst_unused:UNUSED_PAD src0_sel:BYTE_0 src1_sel:DWORD
	v_or_b32_sdwa v48, v33, v44 dst_sel:DWORD dst_unused:UNUSED_PAD src0_sel:BYTE_0 src1_sel:DWORD
	v_or_b32_sdwa v47, v48, v47 dst_sel:DWORD dst_unused:UNUSED_PAD src0_sel:WORD_0 src1_sel:DWORD
	v_lshlrev_b16_e32 v33, 8, v33
	v_bfe_i32 v26, v26, 4, 1
	s_waitcnt vmcnt(0)
	v_xor_b32_e32 v10, v10, v47
	v_and_b32_e32 v47, 0xffffff00, v10
	v_sub_i16 v44, v47, v44 clamp
	v_lshlrev_b16_e32 v47, 8, v10
	v_and_b32_e32 v44, 0xffffff00, v44
	v_sub_i16 v33, v47, v33 clamp
	v_or_b32_sdwa v33, v33, v44 dst_sel:DWORD dst_unused:UNUSED_PAD src0_sel:BYTE_1 src1_sel:DWORD
	v_and_b32_sdwa v44, v10, s29 dst_sel:DWORD dst_unused:UNUSED_PAD src0_sel:WORD_1 src1_sel:DWORD
	v_sub_i16 v32, v44, v32 clamp
	v_lshlrev_b16_sdwa v10, v39, v10 dst_sel:DWORD dst_unused:UNUSED_PAD src0_sel:DWORD src1_sel:WORD_1
	v_lshlrev_b16_e32 v44, 8, v46
	v_and_b32_e32 v32, 0xffffff00, v32
	v_sub_i16 v10, v10, v44 clamp
	v_or_b32_sdwa v10, v10, v32 dst_sel:WORD_1 dst_unused:UNUSED_PAD src0_sel:BYTE_1 src1_sel:DWORD
	v_and_b32_e32 v32, 0x80000000, v27
	v_or_b32_sdwa v10, v33, v10 dst_sel:DWORD dst_unused:UNUSED_PAD src0_sel:WORD_0 src1_sel:DWORD
	v_lshrrev_b16_e32 v33, 5, v42
	v_cmp_ne_u16_sdwa s[30:31], v32, v15 src0_sel:BYTE_3 src1_sel:DWORD
	v_bfe_i32 v33, v33, 0, 1
	v_lshrrev_b32_e32 v27, 22, v27
	v_cndmask_b32_e64 v32, 0, -1, s[30:31]
	v_bfe_i32 v27, v27, 0, 1
	v_lshlrev_b16_e32 v32, 8, v32
	v_lshlrev_b16_e32 v33, 8, v33
	v_or_b32_sdwa v42, v27, v32 dst_sel:WORD_1 dst_unused:UNUSED_PAD src0_sel:BYTE_0 src1_sel:DWORD
	v_or_b32_sdwa v44, v26, v33 dst_sel:DWORD dst_unused:UNUSED_PAD src0_sel:BYTE_0 src1_sel:DWORD
	v_or_b32_sdwa v42, v44, v42 dst_sel:DWORD dst_unused:UNUSED_PAD src0_sel:WORD_0 src1_sel:DWORD
	v_xor_b32_e32 v11, v11, v42
	v_and_b32_e32 v42, 0xffffff00, v11
	v_sub_i16 v33, v42, v33 clamp
	v_lshlrev_b16_e32 v42, 8, v11
	v_lshlrev_b16_e32 v26, 8, v26
	v_and_b32_e32 v33, 0xffffff00, v33
	v_sub_i16 v26, v42, v26 clamp
	v_or_b32_sdwa v26, v26, v33 dst_sel:DWORD dst_unused:UNUSED_PAD src0_sel:BYTE_1 src1_sel:DWORD
	v_and_b32_sdwa v33, v11, s29 dst_sel:DWORD dst_unused:UNUSED_PAD src0_sel:WORD_1 src1_sel:DWORD
	v_sub_i16 v32, v33, v32 clamp
	v_lshlrev_b16_sdwa v11, v39, v11 dst_sel:DWORD dst_unused:UNUSED_PAD src0_sel:DWORD src1_sel:WORD_1
	v_lshlrev_b16_e32 v27, 8, v27
	v_and_b32_e32 v32, 0xffffff00, v32
	v_sub_i16 v11, v11, v27 clamp
	v_or_b32_sdwa v11, v11, v32 dst_sel:WORD_1 dst_unused:UNUSED_PAD src0_sel:BYTE_1 src1_sel:DWORD
	v_lshrrev_b16_e32 v27, 9, v45
	v_or_b32_sdwa v11, v26, v11 dst_sel:DWORD dst_unused:UNUSED_PAD src0_sel:WORD_0 src1_sel:DWORD
	v_mov_b32_e32 v26, 0
	v_dot4c_i32_i8_e32 v26, v10, v1
	v_and_b32_e32 v10, 0x1ff, v45
	v_lshlrev_b32_e32 v10, 3, v10
	v_dot4c_i32_i8_e32 v26, v11, v2
	global_load_dwordx2 v[10:11], v10, s[20:21]
	v_bcnt_u32_b32 v32, v27, 0
	v_and_b32_e32 v32, 1, v32
	v_lshl_or_b32 v32, v32, 7, v27
	v_dot4c_i32_i8_e32 v26, v34, v3
	v_mul_lo_u32 v32, v32, s28
	v_dot4c_i32_i8_e32 v26, v35, v22
	v_and_b32_e32 v33, 0x8000000, v32
	v_lshrrev_b32_e32 v35, 8, v32
	v_lshrrev_b16_e32 v42, 1, v35
	v_cmp_ne_u16_sdwa s[30:31], v33, v15 src0_sel:BYTE_3 src1_sel:DWORD
	v_lshlrev_b16_e32 v34, 6, v45
	v_bfe_i32 v42, v42, 0, 1
	v_lshrrev_b32_e32 v44, 18, v32
	v_cndmask_b32_e64 v33, 0, -1, s[30:31]
	v_ashrrev_i16_e32 v34, 15, v34
	v_bfe_i32 v44, v44, 0, 1
	v_lshlrev_b16_e32 v33, 8, v33
	v_lshlrev_b16_e32 v42, 8, v42
	v_or_b32_sdwa v45, v44, v33 dst_sel:WORD_1 dst_unused:UNUSED_PAD src0_sel:BYTE_0 src1_sel:DWORD
	v_or_b32_sdwa v46, v34, v42 dst_sel:DWORD dst_unused:UNUSED_PAD src0_sel:BYTE_0 src1_sel:DWORD
	v_or_b32_sdwa v45, v46, v45 dst_sel:DWORD dst_unused:UNUSED_PAD src0_sel:WORD_0 src1_sel:DWORD
	v_lshlrev_b16_e32 v34, 8, v34
	v_bfe_i32 v27, v27, 4, 1
	s_waitcnt vmcnt(0)
	v_xor_b32_e32 v10, v10, v45
	v_and_b32_e32 v45, 0xffffff00, v10
	v_sub_i16 v42, v45, v42 clamp
	v_lshlrev_b16_e32 v45, 8, v10
	v_and_b32_e32 v42, 0xffffff00, v42
	v_sub_i16 v34, v45, v34 clamp
	v_or_b32_sdwa v34, v34, v42 dst_sel:DWORD dst_unused:UNUSED_PAD src0_sel:BYTE_1 src1_sel:DWORD
	v_and_b32_sdwa v42, v10, s29 dst_sel:DWORD dst_unused:UNUSED_PAD src0_sel:WORD_1 src1_sel:DWORD
	v_sub_i16 v33, v42, v33 clamp
	v_lshlrev_b16_sdwa v10, v39, v10 dst_sel:DWORD dst_unused:UNUSED_PAD src0_sel:DWORD src1_sel:WORD_1
	v_lshlrev_b16_e32 v42, 8, v44
	v_and_b32_e32 v33, 0xffffff00, v33
	v_sub_i16 v10, v10, v42 clamp
	v_or_b32_sdwa v10, v10, v33 dst_sel:WORD_1 dst_unused:UNUSED_PAD src0_sel:BYTE_1 src1_sel:DWORD
	v_and_b32_e32 v33, 0x80000000, v32
	v_or_b32_sdwa v10, v34, v10 dst_sel:DWORD dst_unused:UNUSED_PAD src0_sel:WORD_0 src1_sel:DWORD
	v_lshrrev_b16_e32 v34, 5, v35
	v_cmp_ne_u16_sdwa s[30:31], v33, v15 src0_sel:BYTE_3 src1_sel:DWORD
	v_bfe_i32 v34, v34, 0, 1
	v_lshrrev_b32_e32 v32, 22, v32
	v_cndmask_b32_e64 v33, 0, -1, s[30:31]
	v_bfe_i32 v32, v32, 0, 1
	v_lshlrev_b16_e32 v33, 8, v33
	v_lshlrev_b16_e32 v34, 8, v34
	v_or_b32_sdwa v35, v32, v33 dst_sel:WORD_1 dst_unused:UNUSED_PAD src0_sel:BYTE_0 src1_sel:DWORD
	v_or_b32_sdwa v42, v27, v34 dst_sel:DWORD dst_unused:UNUSED_PAD src0_sel:BYTE_0 src1_sel:DWORD
	v_or_b32_sdwa v35, v42, v35 dst_sel:DWORD dst_unused:UNUSED_PAD src0_sel:WORD_0 src1_sel:DWORD
	v_xor_b32_e32 v11, v11, v35
	v_and_b32_e32 v35, 0xffffff00, v11
	v_sub_i16 v34, v35, v34 clamp
	v_lshlrev_b16_e32 v35, 8, v11
	v_lshlrev_b16_e32 v27, 8, v27
	v_and_b32_e32 v34, 0xffffff00, v34
	v_sub_i16 v27, v35, v27 clamp
	v_or_b32_sdwa v27, v27, v34 dst_sel:DWORD dst_unused:UNUSED_PAD src0_sel:BYTE_1 src1_sel:DWORD
	v_and_b32_sdwa v34, v11, s29 dst_sel:DWORD dst_unused:UNUSED_PAD src0_sel:WORD_1 src1_sel:DWORD
	v_sub_i16 v33, v34, v33 clamp
	v_lshlrev_b16_sdwa v11, v39, v11 dst_sel:DWORD dst_unused:UNUSED_PAD src0_sel:DWORD src1_sel:WORD_1
	v_lshlrev_b16_e32 v32, 8, v32
	v_and_b32_e32 v33, 0xffffff00, v33
	v_sub_i16 v11, v11, v32 clamp
	v_or_b32_sdwa v11, v11, v33 dst_sel:WORD_1 dst_unused:UNUSED_PAD src0_sel:BYTE_1 src1_sel:DWORD
	v_lshlrev_b16_e32 v33, 6, v43
	v_or_b32_sdwa v11, v27, v11 dst_sel:DWORD dst_unused:UNUSED_PAD src0_sel:WORD_0 src1_sel:DWORD
	v_mov_b32_e32 v27, 0
	v_dot4c_i32_i8_e32 v27, v10, v5
	v_and_b32_e32 v5, 0x1ff, v43
	v_lshlrev_b32_e32 v5, 3, v5
	v_dot4c_i32_i8_e32 v27, v11, v6
	global_load_dwordx2 v[10:11], v5, s[20:21]
	v_lshrrev_b16_e32 v5, 9, v43
	v_bcnt_u32_b32 v6, v5, 0
	v_and_b32_e32 v6, 1, v6
	v_lshl_or_b32 v6, v6, 7, v5
	v_mul_lo_u32 v6, v6, s28
	v_and_b32_e32 v32, 0x8000000, v6
	v_lshrrev_b32_e32 v34, 8, v6
	v_lshrrev_b16_e32 v35, 1, v34
	v_cmp_ne_u16_sdwa s[30:31], v32, v15 src0_sel:BYTE_3 src1_sel:DWORD
	v_bfe_i32 v35, v35, 0, 1
	v_lshrrev_b32_e32 v42, 18, v6
	v_cndmask_b32_e64 v32, 0, -1, s[30:31]
	v_ashrrev_i16_e32 v33, 15, v33
	v_bfe_i32 v42, v42, 0, 1
	v_lshlrev_b16_e32 v32, 8, v32
	v_lshlrev_b16_e32 v35, 8, v35
	v_or_b32_sdwa v43, v42, v32 dst_sel:WORD_1 dst_unused:UNUSED_PAD src0_sel:BYTE_0 src1_sel:DWORD
	v_or_b32_sdwa v44, v33, v35 dst_sel:DWORD dst_unused:UNUSED_PAD src0_sel:BYTE_0 src1_sel:DWORD
	v_or_b32_sdwa v43, v44, v43 dst_sel:DWORD dst_unused:UNUSED_PAD src0_sel:WORD_0 src1_sel:DWORD
	v_lshlrev_b16_e32 v33, 8, v33
	v_bfe_i32 v5, v5, 4, 1
	s_waitcnt vmcnt(0)
	v_xor_b32_e32 v10, v10, v43
	v_and_b32_e32 v43, 0xffffff00, v10
	v_sub_i16 v35, v43, v35 clamp
	v_lshlrev_b16_e32 v43, 8, v10
	v_and_b32_e32 v35, 0xffffff00, v35
	v_sub_i16 v33, v43, v33 clamp
	v_or_b32_sdwa v33, v33, v35 dst_sel:DWORD dst_unused:UNUSED_PAD src0_sel:BYTE_1 src1_sel:DWORD
	v_and_b32_sdwa v35, v10, s29 dst_sel:DWORD dst_unused:UNUSED_PAD src0_sel:WORD_1 src1_sel:DWORD
	v_sub_i16 v32, v35, v32 clamp
	v_lshlrev_b16_sdwa v10, v39, v10 dst_sel:DWORD dst_unused:UNUSED_PAD src0_sel:DWORD src1_sel:WORD_1
	v_lshlrev_b16_e32 v35, 8, v42
	v_and_b32_e32 v32, 0xffffff00, v32
	v_sub_i16 v10, v10, v35 clamp
	v_or_b32_sdwa v10, v10, v32 dst_sel:WORD_1 dst_unused:UNUSED_PAD src0_sel:BYTE_1 src1_sel:DWORD
	v_and_b32_e32 v32, 0x80000000, v6
	v_or_b32_sdwa v10, v33, v10 dst_sel:DWORD dst_unused:UNUSED_PAD src0_sel:WORD_0 src1_sel:DWORD
	v_lshrrev_b16_e32 v33, 5, v34
	v_cmp_ne_u16_sdwa s[30:31], v32, v15 src0_sel:BYTE_3 src1_sel:DWORD
	v_bfe_i32 v33, v33, 0, 1
	v_lshrrev_b32_e32 v6, 22, v6
	v_cndmask_b32_e64 v32, 0, -1, s[30:31]
	v_bfe_i32 v6, v6, 0, 1
	v_lshlrev_b16_e32 v32, 8, v32
	v_lshlrev_b16_e32 v33, 8, v33
	v_or_b32_sdwa v34, v6, v32 dst_sel:WORD_1 dst_unused:UNUSED_PAD src0_sel:BYTE_0 src1_sel:DWORD
	v_or_b32_sdwa v35, v5, v33 dst_sel:DWORD dst_unused:UNUSED_PAD src0_sel:BYTE_0 src1_sel:DWORD
	v_or_b32_sdwa v34, v35, v34 dst_sel:DWORD dst_unused:UNUSED_PAD src0_sel:WORD_0 src1_sel:DWORD
	v_xor_b32_e32 v11, v11, v34
	v_and_b32_e32 v34, 0xffffff00, v11
	v_sub_i16 v33, v34, v33 clamp
	v_lshlrev_b16_e32 v34, 8, v11
	v_lshlrev_b16_e32 v5, 8, v5
	v_and_b32_e32 v33, 0xffffff00, v33
	v_sub_i16 v5, v34, v5 clamp
	v_or_b32_sdwa v5, v5, v33 dst_sel:DWORD dst_unused:UNUSED_PAD src0_sel:BYTE_1 src1_sel:DWORD
	v_and_b32_sdwa v33, v11, s29 dst_sel:DWORD dst_unused:UNUSED_PAD src0_sel:WORD_1 src1_sel:DWORD
	v_sub_i16 v32, v33, v32 clamp
	v_lshlrev_b16_sdwa v11, v39, v11 dst_sel:DWORD dst_unused:UNUSED_PAD src0_sel:DWORD src1_sel:WORD_1
	v_lshlrev_b16_e32 v6, 8, v6
	v_and_b32_e32 v32, 0xffffff00, v32
	v_sub_i16 v6, v11, v6 clamp
	v_or_b32_sdwa v6, v6, v32 dst_sel:WORD_1 dst_unused:UNUSED_PAD src0_sel:BYTE_1 src1_sel:DWORD
	v_dot4c_i32_i8_e32 v27, v10, v7
	v_or_b32_sdwa v5, v5, v6 dst_sel:DWORD dst_unused:UNUSED_PAD src0_sel:WORD_0 src1_sel:DWORD
	v_dot4c_i32_i8_e32 v27, v5, v0
	v_and_b32_e32 v0, 0x1ff, v41
	v_lshlrev_b32_e32 v0, 3, v0
	global_load_dwordx2 v[6:7], v0, s[20:21]
	v_lshrrev_b16_e32 v5, 9, v41
	v_bcnt_u32_b32 v0, v5, 0
	v_and_b32_e32 v0, 1, v0
	v_lshl_or_b32 v0, v0, 7, v5
	v_mul_lo_u32 v10, v0, s28
	v_and_b32_e32 v0, 0x8000000, v10
	v_lshrrev_b32_e32 v32, 8, v10
	v_lshrrev_b16_e32 v33, 1, v32
	v_cmp_ne_u16_sdwa s[20:21], v0, v15 src0_sel:BYTE_3 src1_sel:DWORD
	v_lshlrev_b16_e32 v11, 6, v41
	v_bfe_i32 v33, v33, 0, 1
	v_lshrrev_b32_e32 v34, 18, v10
	v_cndmask_b32_e64 v0, 0, -1, s[20:21]
	v_ashrrev_i16_e32 v11, 15, v11
	v_bfe_i32 v34, v34, 0, 1
	v_lshlrev_b16_e32 v0, 8, v0
	v_lshlrev_b16_e32 v33, 8, v33
	v_or_b32_sdwa v35, v34, v0 dst_sel:WORD_1 dst_unused:UNUSED_PAD src0_sel:BYTE_0 src1_sel:DWORD
	v_or_b32_sdwa v41, v11, v33 dst_sel:DWORD dst_unused:UNUSED_PAD src0_sel:BYTE_0 src1_sel:DWORD
	v_or_b32_sdwa v35, v41, v35 dst_sel:DWORD dst_unused:UNUSED_PAD src0_sel:WORD_0 src1_sel:DWORD
	v_lshlrev_b16_e32 v11, 8, v11
	v_bfe_i32 v5, v5, 4, 1
	s_waitcnt vmcnt(0)
	v_xor_b32_e32 v6, v6, v35
	v_and_b32_e32 v35, 0xffffff00, v6
	v_sub_i16 v33, v35, v33 clamp
	v_lshlrev_b16_e32 v35, 8, v6
	v_and_b32_e32 v33, 0xffffff00, v33
	v_sub_i16 v11, v35, v11 clamp
	v_or_b32_sdwa v11, v11, v33 dst_sel:DWORD dst_unused:UNUSED_PAD src0_sel:BYTE_1 src1_sel:DWORD
	v_and_b32_sdwa v33, v6, s29 dst_sel:DWORD dst_unused:UNUSED_PAD src0_sel:WORD_1 src1_sel:DWORD
	v_sub_i16 v0, v33, v0 clamp
	v_lshlrev_b16_sdwa v6, v39, v6 dst_sel:DWORD dst_unused:UNUSED_PAD src0_sel:DWORD src1_sel:WORD_1
	v_lshlrev_b16_e32 v33, 8, v34
	v_and_b32_e32 v0, 0xffffff00, v0
	v_sub_i16 v6, v6, v33 clamp
	v_or_b32_sdwa v0, v6, v0 dst_sel:WORD_1 dst_unused:UNUSED_PAD src0_sel:BYTE_1 src1_sel:DWORD
	v_and_b32_e32 v6, 0x80000000, v10
	v_or_b32_sdwa v0, v11, v0 dst_sel:DWORD dst_unused:UNUSED_PAD src0_sel:WORD_0 src1_sel:DWORD
	v_lshrrev_b16_e32 v11, 5, v32
	v_cmp_ne_u16_sdwa s[20:21], v6, v15 src0_sel:BYTE_3 src1_sel:DWORD
	v_bfe_i32 v11, v11, 0, 1
	v_lshrrev_b32_e32 v10, 22, v10
	v_cndmask_b32_e64 v6, 0, -1, s[20:21]
	v_bfe_i32 v10, v10, 0, 1
	v_lshlrev_b16_e32 v6, 8, v6
	v_lshlrev_b16_e32 v11, 8, v11
	v_or_b32_sdwa v32, v10, v6 dst_sel:WORD_1 dst_unused:UNUSED_PAD src0_sel:BYTE_0 src1_sel:DWORD
	v_or_b32_sdwa v33, v5, v11 dst_sel:DWORD dst_unused:UNUSED_PAD src0_sel:BYTE_0 src1_sel:DWORD
	v_or_b32_sdwa v32, v33, v32 dst_sel:DWORD dst_unused:UNUSED_PAD src0_sel:WORD_0 src1_sel:DWORD
	v_xor_b32_e32 v7, v7, v32
	v_and_b32_e32 v32, 0xffffff00, v7
	v_sub_i16 v11, v32, v11 clamp
	v_lshlrev_b16_e32 v32, 8, v7
	v_lshlrev_b16_e32 v5, 8, v5
	v_and_b32_e32 v11, 0xffffff00, v11
	v_sub_i16 v5, v32, v5 clamp
	v_or_b32_sdwa v5, v5, v11 dst_sel:DWORD dst_unused:UNUSED_PAD src0_sel:BYTE_1 src1_sel:DWORD
	v_and_b32_sdwa v11, v7, s29 dst_sel:DWORD dst_unused:UNUSED_PAD src0_sel:WORD_1 src1_sel:DWORD
	v_sub_i16 v6, v11, v6 clamp
	v_lshlrev_b16_sdwa v7, v39, v7 dst_sel:DWORD dst_unused:UNUSED_PAD src0_sel:DWORD src1_sel:WORD_1
	v_lshlrev_b16_e32 v10, 8, v10
	v_and_b32_e32 v6, 0xffffff00, v6
	v_sub_i16 v7, v7, v10 clamp
	v_or_b32_sdwa v6, v7, v6 dst_sel:WORD_1 dst_unused:UNUSED_PAD src0_sel:BYTE_1 src1_sel:DWORD
	s_nop 0
	v_or_b32_sdwa v5, v5, v6 dst_sel:DWORD dst_unused:UNUSED_PAD src0_sel:WORD_0 src1_sel:DWORD
	v_mov_b32_e32 v6, 0
	v_dot4c_i32_i8_e32 v6, v0, v1
	v_dot4c_i32_i8_e32 v6, v5, v2
	v_dot4c_i32_i8_e32 v6, v30, v3
	v_dot4c_i32_i8_e32 v6, v31, v22
	v_mul_lo_u32 v0, v23, v24
	v_mul_lo_u32 v2, v26, v28
	;; [unrolled: 1-line block ×4, first 2 shown]
	v_add_u32_e32 v5, v6, v27
	v_add_u32_e32 v6, v26, v23
	v_lshrrev_b32_e32 v7, 31, v6
	v_add_u32_e32 v6, v6, v7
	v_ashrrev_i32_e32 v6, 1, v6
	v_lshrrev_b32_e32 v7, 31, v5
	v_add3_u32 v0, v2, v0, v6
	v_add_u32_e32 v5, v5, v7
	v_ashrrev_i32_e32 v2, 31, v0
	v_ashrrev_i32_e32 v5, 1, v5
	v_lshrrev_b32_e32 v2, 30, v2
	v_add3_u32 v1, v3, v1, v5
	v_add_u32_e32 v0, v0, v2
	v_ashrrev_i32_e32 v2, 2, v0
	v_ashrrev_i32_e32 v0, 31, v1
	v_lshrrev_b32_e32 v0, 30, v0
	v_add_u32_e32 v0, v1, v0
	v_ashrrev_i32_e32 v3, 2, v0
	v_pk_mul_f32 v[0:1], v[4:5], v[8:9] op_sel_hi:[0,1]
	scratch_load_dwordx2 v[4:5], off, off offset:48
	v_cvt_f32_i32_e32 v3, v3
	v_cvt_f32_i32_e32 v2, v2
	s_waitcnt vmcnt(0)
	v_pk_fma_f32 v[0:1], v[0:1], v[2:3], v[4:5]
	scratch_store_dwordx2 off, v[0:1], off offset:48
	s_andn2_b64 exec, exec, s[12:13]
	s_cbranch_execnz .LBB178_2
.LBB178_3:
	s_or_b64 exec, exec, s[6:7]
	s_mov_b32 s5, 0
	v_cmp_eq_u32_e32 vcc, 0, v13
	s_waitcnt lgkmcnt(0)
	; wave barrier
	s_and_saveexec_b64 s[6:7], vcc
	s_cbranch_execz .LBB178_18
; %bb.4:
	scratch_load_dwordx2 v[2:3], off, off
	v_mbcnt_lo_u32_b32 v0, -1, 0
	v_mbcnt_hi_u32_b32 v13, -1, v0
	s_load_dwordx2 s[6:7], s[0:1], 0x38
	s_mul_i32 s0, s3, s14
	v_or_b32_e32 v1, s2, v12
	v_and_b32_e32 v0, 64, v13
	s_mul_i32 s4, s4, s18
	s_add_i32 s2, s0, s2
	v_cmp_gt_u32_e64 s[0:1], s10, v1
	v_xor_b32_e32 v1, 32, v13
	v_add_u32_e32 v14, 64, v0
	s_add_i32 s4, s2, s4
	v_cmp_lt_i32_e64 s[2:3], v1, v14
	v_cmp_gt_u32_e32 vcc, 2, v12
	s_nop 0
	v_cndmask_b32_e64 v0, v13, v1, s[2:3]
	v_lshlrev_b32_e32 v0, 2, v0
	v_xor_b32_e32 v1, 16, v13
	v_cmp_lt_i32_e64 s[2:3], v1, v14
	s_waitcnt vmcnt(0)
	ds_bpermute_b32 v4, v0, v2
	ds_bpermute_b32 v5, v0, v3
	v_cndmask_b32_e64 v1, v13, v1, s[2:3]
	v_lshlrev_b32_e32 v1, 2, v1
	s_waitcnt lgkmcnt(0)
	v_pk_add_f32 v[4:5], v[2:3], v[4:5]
	ds_bpermute_b32 v6, v1, v4
	ds_bpermute_b32 v7, v1, v5
	v_xor_b32_e32 v2, 8, v13
	v_cmp_lt_i32_e64 s[2:3], v2, v14
	v_xor_b32_e32 v3, 4, v13
	s_waitcnt lgkmcnt(0)
	v_pk_add_f32 v[4:5], v[4:5], v[6:7]
	v_cndmask_b32_e64 v2, v13, v2, s[2:3]
	v_lshlrev_b32_e32 v2, 2, v2
	ds_bpermute_b32 v6, v2, v4
	ds_bpermute_b32 v7, v2, v5
	v_cmp_lt_i32_e64 s[2:3], v3, v14
	s_waitcnt lgkmcnt(0)
	v_pk_add_f32 v[6:7], v[4:5], v[6:7]
	v_cndmask_b32_e64 v3, v13, v3, s[2:3]
	v_lshlrev_b32_e32 v3, 2, v3
	ds_bpermute_b32 v8, v3, v6
	ds_bpermute_b32 v9, v3, v7
	v_xor_b32_e32 v4, 2, v13
	v_cmp_lt_i32_e64 s[2:3], v4, v14
	v_xor_b32_e32 v5, 1, v13
	s_waitcnt lgkmcnt(0)
	v_pk_add_f32 v[8:9], v[6:7], v[8:9]
	v_cndmask_b32_e64 v4, v13, v4, s[2:3]
	v_lshlrev_b32_e32 v4, 2, v4
	ds_bpermute_b32 v10, v4, v8
	ds_bpermute_b32 v11, v4, v9
	v_cmp_lt_i32_e64 s[2:3], v5, v14
	s_waitcnt lgkmcnt(0)
	v_pk_add_f32 v[8:9], v[8:9], v[10:11]
	v_cndmask_b32_e64 v5, v13, v5, s[2:3]
	v_lshlrev_b32_e32 v6, 2, v5
	ds_bpermute_b32 v10, v6, v8
	ds_bpermute_b32 v11, v6, v9
	s_lshl_b64 s[2:3], s[4:5], 2
	s_add_u32 s2, s6, s2
	s_addc_u32 s3, s7, s3
	s_and_b64 s[0:1], vcc, s[0:1]
	s_waitcnt lgkmcnt(0)
	v_pk_add_f32 v[8:9], v[8:9], v[10:11]
	v_lshlrev_b32_e32 v5, 2, v12
	scratch_store_dwordx2 off, v[8:9], off
	s_and_saveexec_b64 s[4:5], s[0:1]
	s_cbranch_execz .LBB178_6
; %bb.5:
	scratch_load_dword v7, v5, off
	s_waitcnt vmcnt(0)
	global_store_dword v5, v7, s[2:3]
.LBB178_6:
	s_or_b64 exec, exec, s[4:5]
	scratch_load_dwordx2 v[8:9], off, off offset:8
	s_waitcnt vmcnt(0)
	ds_bpermute_b32 v10, v0, v8
	ds_bpermute_b32 v11, v0, v9
	s_waitcnt lgkmcnt(0)
	v_pk_add_f32 v[8:9], v[8:9], v[10:11]
	ds_bpermute_b32 v10, v1, v8
	ds_bpermute_b32 v11, v1, v9
	s_waitcnt lgkmcnt(0)
	v_pk_add_f32 v[8:9], v[8:9], v[10:11]
	;; [unrolled: 4-line block ×6, first 2 shown]
	scratch_store_dwordx2 off, v[8:9], off offset:8
	s_and_saveexec_b64 s[4:5], s[0:1]
	s_cbranch_execz .LBB178_8
; %bb.7:
	scratch_load_dword v7, v5, off offset:8
	v_add_u32_e32 v8, s10, v12
	v_mov_b32_e32 v9, 0
	v_lshl_add_u64 v[8:9], v[8:9], 2, s[2:3]
	s_waitcnt vmcnt(0)
	global_store_dword v[8:9], v7, off
.LBB178_8:
	s_or_b64 exec, exec, s[4:5]
	scratch_load_dwordx2 v[8:9], off, off offset:16
	s_waitcnt vmcnt(0)
	ds_bpermute_b32 v10, v0, v8
	ds_bpermute_b32 v11, v0, v9
	s_waitcnt lgkmcnt(0)
	v_pk_add_f32 v[8:9], v[8:9], v[10:11]
	ds_bpermute_b32 v10, v1, v8
	ds_bpermute_b32 v11, v1, v9
	s_waitcnt lgkmcnt(0)
	v_pk_add_f32 v[8:9], v[8:9], v[10:11]
	;; [unrolled: 4-line block ×6, first 2 shown]
	scratch_store_dwordx2 off, v[8:9], off offset:16
	s_and_saveexec_b64 s[4:5], s[0:1]
	s_cbranch_execz .LBB178_10
; %bb.9:
	scratch_load_dword v7, v5, off offset:16
	v_lshl_or_b32 v8, s10, 1, v12
	v_mov_b32_e32 v9, 0
	v_lshl_add_u64 v[8:9], v[8:9], 2, s[2:3]
	s_waitcnt vmcnt(0)
	global_store_dword v[8:9], v7, off
.LBB178_10:
	s_or_b64 exec, exec, s[4:5]
	scratch_load_dwordx2 v[8:9], off, off offset:24
	s_waitcnt vmcnt(0)
	ds_bpermute_b32 v10, v0, v8
	ds_bpermute_b32 v11, v0, v9
	s_waitcnt lgkmcnt(0)
	v_pk_add_f32 v[8:9], v[8:9], v[10:11]
	ds_bpermute_b32 v10, v1, v8
	ds_bpermute_b32 v11, v1, v9
	s_waitcnt lgkmcnt(0)
	v_pk_add_f32 v[8:9], v[8:9], v[10:11]
	;; [unrolled: 4-line block ×6, first 2 shown]
	scratch_store_dwordx2 off, v[8:9], off offset:24
	s_and_saveexec_b64 s[4:5], s[0:1]
	s_cbranch_execz .LBB178_12
; %bb.11:
	scratch_load_dword v7, v5, off offset:24
	v_mad_u64_u32 v[8:9], s[6:7], s10, 3, v[12:13]
	v_mov_b32_e32 v9, 0
	v_lshl_add_u64 v[8:9], v[8:9], 2, s[2:3]
	s_waitcnt vmcnt(0)
	global_store_dword v[8:9], v7, off
.LBB178_12:
	s_or_b64 exec, exec, s[4:5]
	scratch_load_dwordx2 v[8:9], off, off offset:32
	s_waitcnt vmcnt(0)
	ds_bpermute_b32 v10, v0, v8
	ds_bpermute_b32 v11, v0, v9
	s_waitcnt lgkmcnt(0)
	v_pk_add_f32 v[8:9], v[8:9], v[10:11]
	ds_bpermute_b32 v10, v1, v8
	ds_bpermute_b32 v11, v1, v9
	s_waitcnt lgkmcnt(0)
	v_pk_add_f32 v[8:9], v[8:9], v[10:11]
	;; [unrolled: 4-line block ×6, first 2 shown]
	scratch_store_dwordx2 off, v[8:9], off offset:32
	s_and_saveexec_b64 s[4:5], s[0:1]
	s_cbranch_execz .LBB178_14
; %bb.13:
	scratch_load_dword v7, v5, off offset:32
	v_lshl_or_b32 v8, s10, 2, v12
	v_mov_b32_e32 v9, 0
	v_lshl_add_u64 v[8:9], v[8:9], 2, s[2:3]
	s_waitcnt vmcnt(0)
	global_store_dword v[8:9], v7, off
.LBB178_14:
	s_or_b64 exec, exec, s[4:5]
	scratch_load_dwordx2 v[8:9], off, off offset:40
	s_waitcnt vmcnt(0)
	ds_bpermute_b32 v10, v0, v8
	ds_bpermute_b32 v11, v0, v9
	s_waitcnt lgkmcnt(0)
	v_pk_add_f32 v[8:9], v[8:9], v[10:11]
	ds_bpermute_b32 v10, v1, v8
	ds_bpermute_b32 v11, v1, v9
	s_waitcnt lgkmcnt(0)
	v_pk_add_f32 v[8:9], v[8:9], v[10:11]
	ds_bpermute_b32 v10, v2, v8
	ds_bpermute_b32 v11, v2, v9
	s_waitcnt lgkmcnt(0)
	v_pk_add_f32 v[8:9], v[8:9], v[10:11]
	ds_bpermute_b32 v10, v3, v8
	ds_bpermute_b32 v11, v3, v9
	s_waitcnt lgkmcnt(0)
	v_pk_add_f32 v[8:9], v[8:9], v[10:11]
	ds_bpermute_b32 v10, v4, v8
	ds_bpermute_b32 v11, v4, v9
	s_waitcnt lgkmcnt(0)
	v_pk_add_f32 v[8:9], v[8:9], v[10:11]
	ds_bpermute_b32 v10, v6, v8
	ds_bpermute_b32 v11, v6, v9
	s_waitcnt lgkmcnt(0)
	v_pk_add_f32 v[8:9], v[8:9], v[10:11]
	scratch_store_dwordx2 off, v[8:9], off offset:40
	s_and_saveexec_b64 s[4:5], s[0:1]
	s_cbranch_execz .LBB178_16
; %bb.15:
	scratch_load_dword v7, v5, off offset:40
	v_mad_u64_u32 v[8:9], s[6:7], s10, 5, v[12:13]
	v_mov_b32_e32 v9, 0
	v_lshl_add_u64 v[8:9], v[8:9], 2, s[2:3]
	s_waitcnt vmcnt(0)
	global_store_dword v[8:9], v7, off
.LBB178_16:
	s_or_b64 exec, exec, s[4:5]
	scratch_load_dwordx2 v[8:9], off, off offset:48
	s_waitcnt vmcnt(0)
	ds_bpermute_b32 v10, v0, v8
	ds_bpermute_b32 v11, v0, v9
	s_waitcnt lgkmcnt(0)
	v_pk_add_f32 v[8:9], v[8:9], v[10:11]
	ds_bpermute_b32 v0, v1, v8
	ds_bpermute_b32 v1, v1, v9
	s_waitcnt lgkmcnt(0)
	v_pk_add_f32 v[0:1], v[8:9], v[0:1]
	;; [unrolled: 4-line block ×6, first 2 shown]
	scratch_store_dwordx2 off, v[0:1], off offset:48
	s_and_b64 exec, exec, s[0:1]
	s_cbranch_execz .LBB178_18
; %bb.17:
	scratch_load_dword v2, v5, off offset:48
	s_mul_i32 s0, s10, 6
	v_or_b32_e32 v0, s0, v12
	v_mov_b32_e32 v1, 0
	v_lshl_add_u64 v[0:1], v[0:1], 2, s[2:3]
	s_waitcnt vmcnt(0)
	global_store_dword v[0:1], v2, off
.LBB178_18:
	s_endpgm
	.section	.rodata,"a",@progbits
	.p2align	6, 0x0
	.amdhsa_kernel _ZL13mul_mat_vec_qIL9ggml_type17ELi7ELb0ELb0EEvPKvS2_PKi31ggml_cuda_mm_fusion_args_devicePfj15HIP_vector_typeIjLj3EEjjjS8_jjjS8_jjjj
		.amdhsa_group_segment_fixed_size 0
		.amdhsa_private_segment_fixed_size 64
		.amdhsa_kernarg_size 144
		.amdhsa_user_sgpr_count 2
		.amdhsa_user_sgpr_dispatch_ptr 0
		.amdhsa_user_sgpr_queue_ptr 0
		.amdhsa_user_sgpr_kernarg_segment_ptr 1
		.amdhsa_user_sgpr_dispatch_id 0
		.amdhsa_user_sgpr_kernarg_preload_length 0
		.amdhsa_user_sgpr_kernarg_preload_offset 0
		.amdhsa_user_sgpr_private_segment_size 0
		.amdhsa_uses_dynamic_stack 0
		.amdhsa_enable_private_segment 1
		.amdhsa_system_sgpr_workgroup_id_x 1
		.amdhsa_system_sgpr_workgroup_id_y 1
		.amdhsa_system_sgpr_workgroup_id_z 1
		.amdhsa_system_sgpr_workgroup_info 0
		.amdhsa_system_vgpr_workitem_id 1
		.amdhsa_next_free_vgpr 68
		.amdhsa_next_free_sgpr 32
		.amdhsa_accum_offset 68
		.amdhsa_reserve_vcc 1
		.amdhsa_float_round_mode_32 0
		.amdhsa_float_round_mode_16_64 0
		.amdhsa_float_denorm_mode_32 3
		.amdhsa_float_denorm_mode_16_64 3
		.amdhsa_dx10_clamp 1
		.amdhsa_ieee_mode 1
		.amdhsa_fp16_overflow 0
		.amdhsa_tg_split 0
		.amdhsa_exception_fp_ieee_invalid_op 0
		.amdhsa_exception_fp_denorm_src 0
		.amdhsa_exception_fp_ieee_div_zero 0
		.amdhsa_exception_fp_ieee_overflow 0
		.amdhsa_exception_fp_ieee_underflow 0
		.amdhsa_exception_fp_ieee_inexact 0
		.amdhsa_exception_int_div_zero 0
	.end_amdhsa_kernel
	.section	.text._ZL13mul_mat_vec_qIL9ggml_type17ELi7ELb0ELb0EEvPKvS2_PKi31ggml_cuda_mm_fusion_args_devicePfj15HIP_vector_typeIjLj3EEjjjS8_jjjS8_jjjj,"axG",@progbits,_ZL13mul_mat_vec_qIL9ggml_type17ELi7ELb0ELb0EEvPKvS2_PKi31ggml_cuda_mm_fusion_args_devicePfj15HIP_vector_typeIjLj3EEjjjS8_jjjS8_jjjj,comdat
.Lfunc_end178:
	.size	_ZL13mul_mat_vec_qIL9ggml_type17ELi7ELb0ELb0EEvPKvS2_PKi31ggml_cuda_mm_fusion_args_devicePfj15HIP_vector_typeIjLj3EEjjjS8_jjjS8_jjjj, .Lfunc_end178-_ZL13mul_mat_vec_qIL9ggml_type17ELi7ELb0ELb0EEvPKvS2_PKi31ggml_cuda_mm_fusion_args_devicePfj15HIP_vector_typeIjLj3EEjjjS8_jjjS8_jjjj
                                        ; -- End function
	.section	.AMDGPU.csdata,"",@progbits
; Kernel info:
; codeLenInByte = 17764
; NumSgprs: 38
; NumVgprs: 68
; NumAgprs: 0
; TotalNumVgprs: 68
; ScratchSize: 64
; MemoryBound: 0
; FloatMode: 240
; IeeeMode: 1
; LDSByteSize: 0 bytes/workgroup (compile time only)
; SGPRBlocks: 4
; VGPRBlocks: 8
; NumSGPRsForWavesPerEU: 38
; NumVGPRsForWavesPerEU: 68
; AccumOffset: 68
; Occupancy: 7
; WaveLimiterHint : 0
; COMPUTE_PGM_RSRC2:SCRATCH_EN: 1
; COMPUTE_PGM_RSRC2:USER_SGPR: 2
; COMPUTE_PGM_RSRC2:TRAP_HANDLER: 0
; COMPUTE_PGM_RSRC2:TGID_X_EN: 1
; COMPUTE_PGM_RSRC2:TGID_Y_EN: 1
; COMPUTE_PGM_RSRC2:TGID_Z_EN: 1
; COMPUTE_PGM_RSRC2:TIDIG_COMP_CNT: 1
; COMPUTE_PGM_RSRC3_GFX90A:ACCUM_OFFSET: 16
; COMPUTE_PGM_RSRC3_GFX90A:TG_SPLIT: 0
	.section	.text._ZL13mul_mat_vec_qIL9ggml_type17ELi8ELb0ELb0EEvPKvS2_PKi31ggml_cuda_mm_fusion_args_devicePfj15HIP_vector_typeIjLj3EEjjjS8_jjjS8_jjjj,"axG",@progbits,_ZL13mul_mat_vec_qIL9ggml_type17ELi8ELb0ELb0EEvPKvS2_PKi31ggml_cuda_mm_fusion_args_devicePfj15HIP_vector_typeIjLj3EEjjjS8_jjjS8_jjjj,comdat
	.globl	_ZL13mul_mat_vec_qIL9ggml_type17ELi8ELb0ELb0EEvPKvS2_PKi31ggml_cuda_mm_fusion_args_devicePfj15HIP_vector_typeIjLj3EEjjjS8_jjjS8_jjjj ; -- Begin function _ZL13mul_mat_vec_qIL9ggml_type17ELi8ELb0ELb0EEvPKvS2_PKi31ggml_cuda_mm_fusion_args_devicePfj15HIP_vector_typeIjLj3EEjjjS8_jjjS8_jjjj
	.p2align	8
	.type	_ZL13mul_mat_vec_qIL9ggml_type17ELi8ELb0ELb0EEvPKvS2_PKi31ggml_cuda_mm_fusion_args_devicePfj15HIP_vector_typeIjLj3EEjjjS8_jjjS8_jjjj,@function
_ZL13mul_mat_vec_qIL9ggml_type17ELi8ELb0ELb0EEvPKvS2_PKi31ggml_cuda_mm_fusion_args_devicePfj15HIP_vector_typeIjLj3EEjjjS8_jjjS8_jjjj: ; @_ZL13mul_mat_vec_qIL9ggml_type17ELi8ELb0ELb0EEvPKvS2_PKi31ggml_cuda_mm_fusion_args_devicePfj15HIP_vector_typeIjLj3EEjjjS8_jjjS8_jjjj
; %bb.0:
	v_bfe_u32 v13, v0, 10, 10
	v_and_b32_e32 v12, 0x3ff, v0
	s_mov_b32 s20, 0
	s_load_dword s5, s[0:1], 0x40
	s_load_dwordx4 s[8:11], s[0:1], 0x50
	s_load_dword s27, s[0:1], 0x60
	s_load_dwordx4 s[12:15], s[0:1], 0x68
	s_load_dword s26, s[0:1], 0x78
	s_load_dwordx4 s[16:19], s[0:1], 0x80
	v_lshl_or_b32 v4, v13, 6, v12
	s_mov_b32 s21, s20
	s_waitcnt lgkmcnt(0)
	s_lshr_b32 s5, s5, 8
	s_mov_b32 s22, s20
	s_mov_b32 s23, s20
	v_mov_b64_e32 v[0:1], s[20:21]
	v_lshrrev_b32_e32 v36, 3, v4
	s_lshl_b32 s2, s2, 1
	v_mov_b64_e32 v[2:3], s[22:23]
	v_cmp_gt_u32_e32 vcc, s5, v36
	scratch_store_dwordx4 off, v[0:3], off offset:48
	scratch_store_dwordx4 off, v[0:3], off offset:32
	;; [unrolled: 1-line block ×3, first 2 shown]
	scratch_store_dwordx4 off, v[0:3], off
	s_and_saveexec_b64 s[6:7], vcc
	s_cbranch_execz .LBB179_3
; %bb.1:
	s_load_dwordx4 s[20:23], s[0:1], 0x0
	s_mul_i32 s17, s4, s17
	s_mul_i32 s24, s17, 36
	;; [unrolled: 1-line block ×3, first 2 shown]
	s_mul_hi_u32 s19, s17, 36
	s_waitcnt lgkmcnt(0)
	s_add_u32 s24, s22, s24
	s_addc_u32 s19, s23, s19
	s_mul_i32 s28, s13, 36
	s_mul_hi_u32 s29, s13, 36
	s_add_u32 s24, s24, s28
	s_mul_hi_u32 s11, s11, s3
	s_addc_u32 s25, s19, s29
	s_add_i32 s11, s3, s11
	s_lshr_b32 s11, s11, s27
	s_mul_i32 s11, s11, s12
	s_mul_hi_u32 s12, s15, s4
	s_add_i32 s12, s4, s12
	s_lshr_b32 s12, s12, s26
	s_mul_i32 s12, s12, s16
	s_mul_i32 s13, s2, s8
	s_add_i32 s12, s12, s11
	s_add_i32 s11, s12, s13
	;; [unrolled: 1-line block ×3, first 2 shown]
	s_mul_i32 s8, s8, s13
	v_lshl_add_u32 v1, v13, 6, v12
	s_add_i32 s8, s12, s8
	v_lshrrev_b32_e32 v1, 3, v1
	s_movk_i32 s12, 0x120
	v_mov_b64_e32 v[2:3], s[28:29]
	v_mad_u64_u32 v[2:3], s[12:13], v1, s12, v[2:3]
	v_lshlrev_b32_e32 v0, 1, v12
	v_and_b32_e32 v14, 7, v12
	v_mad_u64_u32 v[2:3], s[12:13], s17, 36, v[2:3]
	v_and_b32_e32 v0, 14, v0
	v_mad_u64_u32 v[2:3], s[12:13], v14, 36, v[2:3]
	v_lshlrev_b32_e32 v0, 1, v0
	v_mov_b32_e32 v15, 0
	v_lshl_add_u64 v[2:3], v[2:3], 0, s[22:23]
	v_lshlrev_b32_e32 v37, 3, v36
	s_mul_i32 s15, s9, 7
	s_mul_i32 s19, s9, 6
	;; [unrolled: 1-line block ×3, first 2 shown]
	s_lshl_b32 s27, s9, 2
	v_lshl_add_u64 v[16:17], v[2:3], 0, 16
	s_lshl_b32 s22, s9, 1
	s_mul_i32 s23, s9, 3
	s_mov_b64 s[12:13], 0
	s_movk_i32 s28, 0x4a
	v_mov_b64_e32 v[18:19], s[20:21]
	v_lshlrev_b32_e32 v20, 1, v0
	v_mov_b32_e32 v21, v15
	s_mov_b32 s29, 0x1010101
	s_movk_i32 s30, 0xff00
	s_mov_b64 s[16:17], 0x900
	v_mov_b32_e32 v38, 3
	v_mov_b32_e32 v39, 8
	;; [unrolled: 1-line block ×3, first 2 shown]
.LBB179_2:                              ; =>This Inner Loop Header: Depth=1
	v_add_u32_e32 v9, s11, v36
	v_mad_i64_i32 v[22:23], s[20:21], v9, s28, v[18:19]
	v_lshl_add_u64 v[30:31], v[22:23], 0, v[20:21]
	global_load_dword v8, v[16:17], off offset:16
	global_load_dwordx4 v[0:3], v[16:17], off
	global_load_dwordx4 v[4:7], v[16:17], off offset:-16
	global_load_ushort v9, v[30:31], off offset:2
	global_load_dword v46, v[30:31], off offset:2
	global_load_dword v44, v[30:31], off offset:4
	global_load_dword v42, v[30:31], off offset:6
	s_getpc_b64 s[20:21]
	s_add_u32 s20, s20, _ZL10iq2xs_grid@rel32@lo+4
	s_addc_u32 s21, s21, _ZL10iq2xs_grid@rel32@hi+12
	v_lshl_add_u64 v[24:25], v[22:23], 0, v[14:15]
	v_mov_b32_e32 v62, 0
	v_lshl_add_u64 v[16:17], v[16:17], 0, s[16:17]
	s_waitcnt vmcnt(3)
	v_and_b32_e32 v10, 0x1ff, v9
	v_lshlrev_b32_sdwa v10, v38, v10 dst_sel:DWORD dst_unused:UNUSED_PAD src0_sel:DWORD src1_sel:WORD_0
	global_load_dwordx2 v[10:11], v10, s[20:21]
	v_lshrrev_b16_e32 v26, 9, v9
	v_bcnt_u32_b32 v27, v26, 0
	v_and_b32_e32 v27, 1, v27
	v_lshl_or_b32 v27, v27, 7, v26
	v_mul_lo_u32 v27, v27, s29
	v_and_b32_e32 v28, 0x8000000, v27
	v_lshrrev_b32_e32 v29, 8, v27
	v_lshrrev_b16_e32 v32, 1, v29
	v_cmp_ne_u16_sdwa s[34:35], v28, v15 src0_sel:BYTE_3 src1_sel:DWORD
	v_lshlrev_b16_e32 v9, 6, v9
	v_bfe_i32 v32, v32, 0, 1
	v_lshrrev_b32_e32 v33, 18, v27
	v_cndmask_b32_e64 v28, 0, -1, s[34:35]
	v_ashrrev_i16_e32 v9, 15, v9
	v_bfe_i32 v33, v33, 0, 1
	v_lshlrev_b16_e32 v28, 8, v28
	v_lshlrev_b16_e32 v32, 8, v32
	v_or_b32_sdwa v34, v33, v28 dst_sel:WORD_1 dst_unused:UNUSED_PAD src0_sel:BYTE_0 src1_sel:DWORD
	v_or_b32_sdwa v35, v9, v32 dst_sel:DWORD dst_unused:UNUSED_PAD src0_sel:BYTE_0 src1_sel:DWORD
	v_or_b32_sdwa v34, v35, v34 dst_sel:DWORD dst_unused:UNUSED_PAD src0_sel:WORD_0 src1_sel:DWORD
	v_lshlrev_b16_e32 v9, 8, v9
	v_cvt_f32_f16_e32 v4, v4
	s_waitcnt vmcnt(0)
	v_xor_b32_e32 v10, v10, v34
	v_and_b32_e32 v34, 0xffffff00, v10
	v_sub_i16 v32, v34, v32 clamp
	v_lshlrev_b16_e32 v34, 8, v10
	v_and_b32_e32 v32, 0xffffff00, v32
	v_sub_i16 v9, v34, v9 clamp
	v_or_b32_sdwa v9, v9, v32 dst_sel:DWORD dst_unused:UNUSED_PAD src0_sel:BYTE_1 src1_sel:DWORD
	v_and_b32_sdwa v32, v10, s30 dst_sel:DWORD dst_unused:UNUSED_PAD src0_sel:WORD_1 src1_sel:DWORD
	v_sub_i16 v28, v32, v28 clamp
	v_lshlrev_b16_sdwa v10, v39, v10 dst_sel:DWORD dst_unused:UNUSED_PAD src0_sel:DWORD src1_sel:WORD_1
	v_lshlrev_b16_e32 v32, 8, v33
	v_and_b32_e32 v28, 0xffffff00, v28
	v_sub_i16 v10, v10, v32 clamp
	v_or_b32_sdwa v10, v10, v28 dst_sel:WORD_1 dst_unused:UNUSED_PAD src0_sel:BYTE_1 src1_sel:DWORD
	s_nop 0
	v_or_b32_sdwa v47, v9, v10 dst_sel:DWORD dst_unused:UNUSED_PAD src0_sel:WORD_0 src1_sel:DWORD
	v_and_b32_e32 v9, 0x80000000, v27
	v_bfe_i32 v10, v26, 4, 1
	v_lshrrev_b16_e32 v26, 5, v29
	v_cmp_ne_u16_sdwa s[34:35], v9, v15 src0_sel:BYTE_3 src1_sel:DWORD
	v_bfe_i32 v26, v26, 0, 1
	v_lshrrev_b32_e32 v27, 22, v27
	v_cndmask_b32_e64 v9, 0, -1, s[34:35]
	v_bfe_i32 v27, v27, 0, 1
	v_lshlrev_b16_e32 v9, 8, v9
	v_lshlrev_b16_e32 v26, 8, v26
	v_or_b32_sdwa v28, v27, v9 dst_sel:WORD_1 dst_unused:UNUSED_PAD src0_sel:BYTE_0 src1_sel:DWORD
	v_or_b32_sdwa v29, v10, v26 dst_sel:DWORD dst_unused:UNUSED_PAD src0_sel:BYTE_0 src1_sel:DWORD
	v_or_b32_sdwa v28, v29, v28 dst_sel:DWORD dst_unused:UNUSED_PAD src0_sel:WORD_0 src1_sel:DWORD
	v_xor_b32_e32 v11, v11, v28
	v_and_b32_e32 v28, 0xffffff00, v11
	v_sub_i16 v26, v28, v26 clamp
	v_lshlrev_b16_e32 v28, 8, v11
	v_lshlrev_b16_e32 v10, 8, v10
	v_and_b32_e32 v26, 0xffffff00, v26
	v_sub_i16 v10, v28, v10 clamp
	v_or_b32_sdwa v10, v10, v26 dst_sel:DWORD dst_unused:UNUSED_PAD src0_sel:BYTE_1 src1_sel:DWORD
	v_and_b32_sdwa v26, v11, s30 dst_sel:DWORD dst_unused:UNUSED_PAD src0_sel:WORD_1 src1_sel:DWORD
	v_sub_i16 v9, v26, v9 clamp
	v_lshlrev_b16_sdwa v11, v39, v11 dst_sel:DWORD dst_unused:UNUSED_PAD src0_sel:DWORD src1_sel:WORD_1
	v_lshlrev_b16_e32 v26, 8, v27
	v_and_b32_e32 v9, 0xffffff00, v9
	v_sub_i16 v11, v11, v26 clamp
	v_or_b32_sdwa v9, v11, v9 dst_sel:WORD_1 dst_unused:UNUSED_PAD src0_sel:BYTE_1 src1_sel:DWORD
	v_lshrrev_b32_e32 v26, 25, v46
	v_or_b32_sdwa v48, v10, v9 dst_sel:DWORD dst_unused:UNUSED_PAD src0_sel:WORD_0 src1_sel:DWORD
	v_lshrrev_b32_e32 v10, 13, v46
	v_and_b32_e32 v10, 0xff8, v10
	global_load_dwordx2 v[10:11], v10, s[20:21]
	v_bcnt_u32_b32 v27, v26, 0
	v_and_b32_e32 v27, 1, v27
	v_alignbit_b32 v27, v27, v46, 25
	v_mul_lo_u32 v27, v27, s29
	v_and_b32_e32 v28, 0x8000000, v27
	v_lshrrev_b32_e32 v32, 8, v27
	v_lshrrev_b16_e32 v33, 1, v32
	v_cmp_ne_u16_sdwa s[34:35], v28, v15 src0_sel:BYTE_3 src1_sel:DWORD
	v_lshlrev_b16_sdwa v29, v40, v46 dst_sel:DWORD dst_unused:UNUSED_PAD src0_sel:DWORD src1_sel:WORD_1
	v_bfe_i32 v33, v33, 0, 1
	v_lshrrev_b32_e32 v34, 18, v27
	v_cndmask_b32_e64 v28, 0, -1, s[34:35]
	v_ashrrev_i16_e32 v29, 15, v29
	v_bfe_i32 v34, v34, 0, 1
	v_lshlrev_b16_e32 v28, 8, v28
	v_lshlrev_b16_e32 v33, 8, v33
	v_or_b32_sdwa v35, v34, v28 dst_sel:WORD_1 dst_unused:UNUSED_PAD src0_sel:BYTE_0 src1_sel:DWORD
	v_or_b32_sdwa v41, v29, v33 dst_sel:DWORD dst_unused:UNUSED_PAD src0_sel:BYTE_0 src1_sel:DWORD
	v_or_b32_sdwa v35, v41, v35 dst_sel:DWORD dst_unused:UNUSED_PAD src0_sel:WORD_0 src1_sel:DWORD
	v_lshlrev_b16_e32 v29, 8, v29
	v_bfe_i32 v26, v26, 4, 1
	v_mov_b32_e32 v9, 0
	v_dot4c_i32_i8_e32 v9, v47, v5
	v_dot4c_i32_i8_e32 v9, v48, v6
	s_waitcnt vmcnt(0)
	v_xor_b32_e32 v10, v10, v35
	v_and_b32_e32 v35, 0xffffff00, v10
	v_sub_i16 v33, v35, v33 clamp
	v_lshlrev_b16_e32 v35, 8, v10
	v_and_b32_e32 v33, 0xffffff00, v33
	v_sub_i16 v29, v35, v29 clamp
	v_or_b32_sdwa v29, v29, v33 dst_sel:DWORD dst_unused:UNUSED_PAD src0_sel:BYTE_1 src1_sel:DWORD
	v_and_b32_sdwa v33, v10, s30 dst_sel:DWORD dst_unused:UNUSED_PAD src0_sel:WORD_1 src1_sel:DWORD
	v_sub_i16 v28, v33, v28 clamp
	v_lshlrev_b16_sdwa v10, v39, v10 dst_sel:DWORD dst_unused:UNUSED_PAD src0_sel:DWORD src1_sel:WORD_1
	v_lshlrev_b16_e32 v33, 8, v34
	v_and_b32_e32 v28, 0xffffff00, v28
	v_sub_i16 v10, v10, v33 clamp
	v_or_b32_sdwa v10, v10, v28 dst_sel:WORD_1 dst_unused:UNUSED_PAD src0_sel:BYTE_1 src1_sel:DWORD
	v_and_b32_e32 v28, 0x80000000, v27
	v_or_b32_sdwa v10, v29, v10 dst_sel:DWORD dst_unused:UNUSED_PAD src0_sel:WORD_0 src1_sel:DWORD
	v_lshrrev_b16_e32 v29, 5, v32
	v_cmp_ne_u16_sdwa s[34:35], v28, v15 src0_sel:BYTE_3 src1_sel:DWORD
	v_bfe_i32 v29, v29, 0, 1
	v_lshrrev_b32_e32 v27, 22, v27
	v_cndmask_b32_e64 v28, 0, -1, s[34:35]
	v_bfe_i32 v27, v27, 0, 1
	v_lshlrev_b16_e32 v28, 8, v28
	v_lshlrev_b16_e32 v29, 8, v29
	v_or_b32_sdwa v32, v27, v28 dst_sel:WORD_1 dst_unused:UNUSED_PAD src0_sel:BYTE_0 src1_sel:DWORD
	v_or_b32_sdwa v33, v26, v29 dst_sel:DWORD dst_unused:UNUSED_PAD src0_sel:BYTE_0 src1_sel:DWORD
	v_or_b32_sdwa v32, v33, v32 dst_sel:DWORD dst_unused:UNUSED_PAD src0_sel:WORD_0 src1_sel:DWORD
	v_xor_b32_e32 v11, v11, v32
	v_and_b32_e32 v32, 0xffffff00, v11
	v_sub_i16 v29, v32, v29 clamp
	v_lshlrev_b16_e32 v32, 8, v11
	v_lshlrev_b16_e32 v26, 8, v26
	v_and_b32_e32 v29, 0xffffff00, v29
	v_sub_i16 v26, v32, v26 clamp
	v_or_b32_sdwa v26, v26, v29 dst_sel:DWORD dst_unused:UNUSED_PAD src0_sel:BYTE_1 src1_sel:DWORD
	v_and_b32_sdwa v29, v11, s30 dst_sel:DWORD dst_unused:UNUSED_PAD src0_sel:WORD_1 src1_sel:DWORD
	v_sub_i16 v28, v29, v28 clamp
	v_lshlrev_b16_sdwa v11, v39, v11 dst_sel:DWORD dst_unused:UNUSED_PAD src0_sel:DWORD src1_sel:WORD_1
	v_lshlrev_b16_e32 v27, 8, v27
	v_and_b32_e32 v28, 0xffffff00, v28
	v_sub_i16 v11, v11, v27 clamp
	v_or_b32_sdwa v11, v11, v28 dst_sel:WORD_1 dst_unused:UNUSED_PAD src0_sel:BYTE_1 src1_sel:DWORD
	v_dot4c_i32_i8_e32 v9, v10, v7
	v_lshrrev_b32_e32 v10, 13, v44
	v_or_b32_sdwa v11, v26, v11 dst_sel:DWORD dst_unused:UNUSED_PAD src0_sel:WORD_0 src1_sel:DWORD
	v_and_b32_e32 v10, 0xff8, v10
	v_dot4c_i32_i8_e32 v9, v11, v0
	global_load_dwordx2 v[10:11], v10, s[20:21]
	v_lshrrev_b32_e32 v26, 25, v44
	v_bcnt_u32_b32 v27, v26, 0
	v_and_b32_e32 v27, 1, v27
	v_alignbit_b32 v27, v27, v44, 25
	v_mul_lo_u32 v27, v27, s29
	v_and_b32_e32 v28, 0x8000000, v27
	v_lshrrev_b32_e32 v32, 8, v27
	v_lshrrev_b16_e32 v33, 1, v32
	v_cmp_ne_u16_sdwa s[34:35], v28, v15 src0_sel:BYTE_3 src1_sel:DWORD
	v_lshlrev_b16_sdwa v29, v40, v44 dst_sel:DWORD dst_unused:UNUSED_PAD src0_sel:DWORD src1_sel:WORD_1
	v_bfe_i32 v33, v33, 0, 1
	v_lshrrev_b32_e32 v34, 18, v27
	v_cndmask_b32_e64 v28, 0, -1, s[34:35]
	v_ashrrev_i16_e32 v29, 15, v29
	v_bfe_i32 v34, v34, 0, 1
	v_lshlrev_b16_e32 v28, 8, v28
	v_lshlrev_b16_e32 v33, 8, v33
	v_or_b32_sdwa v35, v34, v28 dst_sel:WORD_1 dst_unused:UNUSED_PAD src0_sel:BYTE_0 src1_sel:DWORD
	v_or_b32_sdwa v41, v29, v33 dst_sel:DWORD dst_unused:UNUSED_PAD src0_sel:BYTE_0 src1_sel:DWORD
	v_or_b32_sdwa v35, v41, v35 dst_sel:DWORD dst_unused:UNUSED_PAD src0_sel:WORD_0 src1_sel:DWORD
	v_lshlrev_b16_e32 v29, 8, v29
	v_bfe_i32 v26, v26, 4, 1
	s_waitcnt vmcnt(0)
	v_xor_b32_e32 v10, v10, v35
	v_and_b32_e32 v35, 0xffffff00, v10
	v_sub_i16 v33, v35, v33 clamp
	v_lshlrev_b16_e32 v35, 8, v10
	v_and_b32_e32 v33, 0xffffff00, v33
	v_sub_i16 v29, v35, v29 clamp
	v_or_b32_sdwa v29, v29, v33 dst_sel:DWORD dst_unused:UNUSED_PAD src0_sel:BYTE_1 src1_sel:DWORD
	v_and_b32_sdwa v33, v10, s30 dst_sel:DWORD dst_unused:UNUSED_PAD src0_sel:WORD_1 src1_sel:DWORD
	v_sub_i16 v28, v33, v28 clamp
	v_lshlrev_b16_sdwa v10, v39, v10 dst_sel:DWORD dst_unused:UNUSED_PAD src0_sel:DWORD src1_sel:WORD_1
	v_lshlrev_b16_e32 v33, 8, v34
	v_and_b32_e32 v28, 0xffffff00, v28
	v_sub_i16 v10, v10, v33 clamp
	v_or_b32_sdwa v10, v10, v28 dst_sel:WORD_1 dst_unused:UNUSED_PAD src0_sel:BYTE_1 src1_sel:DWORD
	s_nop 0
	v_or_b32_sdwa v28, v29, v10 dst_sel:DWORD dst_unused:UNUSED_PAD src0_sel:WORD_0 src1_sel:DWORD
	v_and_b32_e32 v10, 0x80000000, v27
	v_lshrrev_b16_e32 v29, 5, v32
	v_cmp_ne_u16_sdwa s[34:35], v10, v15 src0_sel:BYTE_3 src1_sel:DWORD
	v_bfe_i32 v29, v29, 0, 1
	v_lshrrev_b32_e32 v27, 22, v27
	v_cndmask_b32_e64 v10, 0, -1, s[34:35]
	v_bfe_i32 v27, v27, 0, 1
	v_lshlrev_b16_e32 v10, 8, v10
	v_lshlrev_b16_e32 v29, 8, v29
	v_or_b32_sdwa v32, v27, v10 dst_sel:WORD_1 dst_unused:UNUSED_PAD src0_sel:BYTE_0 src1_sel:DWORD
	v_or_b32_sdwa v33, v26, v29 dst_sel:DWORD dst_unused:UNUSED_PAD src0_sel:BYTE_0 src1_sel:DWORD
	v_or_b32_sdwa v32, v33, v32 dst_sel:DWORD dst_unused:UNUSED_PAD src0_sel:WORD_0 src1_sel:DWORD
	v_xor_b32_e32 v11, v11, v32
	v_and_b32_e32 v32, 0xffffff00, v11
	v_sub_i16 v29, v32, v29 clamp
	v_lshlrev_b16_e32 v32, 8, v11
	v_lshlrev_b16_e32 v26, 8, v26
	v_and_b32_e32 v29, 0xffffff00, v29
	v_sub_i16 v26, v32, v26 clamp
	v_or_b32_sdwa v26, v26, v29 dst_sel:DWORD dst_unused:UNUSED_PAD src0_sel:BYTE_1 src1_sel:DWORD
	v_and_b32_sdwa v29, v11, s30 dst_sel:DWORD dst_unused:UNUSED_PAD src0_sel:WORD_1 src1_sel:DWORD
	v_sub_i16 v10, v29, v10 clamp
	v_lshlrev_b16_sdwa v11, v39, v11 dst_sel:DWORD dst_unused:UNUSED_PAD src0_sel:DWORD src1_sel:WORD_1
	v_lshlrev_b16_e32 v27, 8, v27
	v_and_b32_e32 v10, 0xffffff00, v10
	v_sub_i16 v11, v11, v27 clamp
	v_or_b32_sdwa v10, v11, v10 dst_sel:WORD_1 dst_unused:UNUSED_PAD src0_sel:BYTE_1 src1_sel:DWORD
	v_lshlrev_b16_sdwa v32, v40, v42 dst_sel:DWORD dst_unused:UNUSED_PAD src0_sel:DWORD src1_sel:WORD_1
	v_or_b32_sdwa v11, v26, v10 dst_sel:DWORD dst_unused:UNUSED_PAD src0_sel:WORD_0 src1_sel:DWORD
	v_mov_b32_e32 v10, 0
	v_dot4c_i32_i8_e32 v10, v28, v1
	v_dot4c_i32_i8_e32 v10, v11, v2
	v_lshrrev_b32_e32 v11, 13, v42
	v_and_b32_e32 v11, 0xff8, v11
	global_load_dwordx2 v[26:27], v11, s[20:21]
	v_lshrrev_b32_e32 v11, 25, v42
	v_bcnt_u32_b32 v28, v11, 0
	v_and_b32_e32 v28, 1, v28
	v_alignbit_b32 v28, v28, v42, 25
	v_mul_lo_u32 v28, v28, s29
	v_and_b32_e32 v29, 0x8000000, v28
	v_lshrrev_b32_e32 v33, 8, v28
	v_lshrrev_b16_e32 v34, 1, v33
	v_cmp_ne_u16_sdwa s[34:35], v29, v15 src0_sel:BYTE_3 src1_sel:DWORD
	v_bfe_i32 v34, v34, 0, 1
	v_lshrrev_b32_e32 v35, 18, v28
	v_cndmask_b32_e64 v29, 0, -1, s[34:35]
	v_ashrrev_i16_e32 v32, 15, v32
	v_bfe_i32 v35, v35, 0, 1
	v_lshlrev_b16_e32 v29, 8, v29
	v_lshlrev_b16_e32 v34, 8, v34
	v_or_b32_sdwa v41, v35, v29 dst_sel:WORD_1 dst_unused:UNUSED_PAD src0_sel:BYTE_0 src1_sel:DWORD
	v_or_b32_sdwa v43, v32, v34 dst_sel:DWORD dst_unused:UNUSED_PAD src0_sel:BYTE_0 src1_sel:DWORD
	v_or_b32_sdwa v41, v43, v41 dst_sel:DWORD dst_unused:UNUSED_PAD src0_sel:WORD_0 src1_sel:DWORD
	v_lshlrev_b16_e32 v32, 8, v32
	v_bfe_i32 v11, v11, 4, 1
	s_waitcnt vmcnt(0)
	v_xor_b32_e32 v26, v26, v41
	v_and_b32_e32 v41, 0xffffff00, v26
	v_sub_i16 v34, v41, v34 clamp
	v_lshlrev_b16_e32 v41, 8, v26
	v_and_b32_e32 v34, 0xffffff00, v34
	v_sub_i16 v32, v41, v32 clamp
	v_or_b32_sdwa v32, v32, v34 dst_sel:DWORD dst_unused:UNUSED_PAD src0_sel:BYTE_1 src1_sel:DWORD
	v_and_b32_sdwa v34, v26, s30 dst_sel:DWORD dst_unused:UNUSED_PAD src0_sel:WORD_1 src1_sel:DWORD
	v_sub_i16 v29, v34, v29 clamp
	v_lshlrev_b16_sdwa v26, v39, v26 dst_sel:DWORD dst_unused:UNUSED_PAD src0_sel:DWORD src1_sel:WORD_1
	v_lshlrev_b16_e32 v34, 8, v35
	v_and_b32_e32 v29, 0xffffff00, v29
	v_sub_i16 v26, v26, v34 clamp
	v_or_b32_sdwa v26, v26, v29 dst_sel:WORD_1 dst_unused:UNUSED_PAD src0_sel:BYTE_1 src1_sel:DWORD
	v_and_b32_e32 v29, 0x80000000, v28
	v_or_b32_sdwa v26, v32, v26 dst_sel:DWORD dst_unused:UNUSED_PAD src0_sel:WORD_0 src1_sel:DWORD
	v_lshrrev_b16_e32 v32, 5, v33
	v_cmp_ne_u16_sdwa s[34:35], v29, v15 src0_sel:BYTE_3 src1_sel:DWORD
	v_bfe_i32 v32, v32, 0, 1
	v_lshrrev_b32_e32 v28, 22, v28
	v_cndmask_b32_e64 v29, 0, -1, s[34:35]
	v_bfe_i32 v28, v28, 0, 1
	v_lshlrev_b16_e32 v29, 8, v29
	v_lshlrev_b16_e32 v32, 8, v32
	v_or_b32_sdwa v33, v28, v29 dst_sel:WORD_1 dst_unused:UNUSED_PAD src0_sel:BYTE_0 src1_sel:DWORD
	v_or_b32_sdwa v34, v11, v32 dst_sel:DWORD dst_unused:UNUSED_PAD src0_sel:BYTE_0 src1_sel:DWORD
	v_or_b32_sdwa v33, v34, v33 dst_sel:DWORD dst_unused:UNUSED_PAD src0_sel:WORD_0 src1_sel:DWORD
	v_xor_b32_e32 v27, v27, v33
	v_and_b32_e32 v33, 0xffffff00, v27
	v_sub_i16 v32, v33, v32 clamp
	v_lshlrev_b16_e32 v33, 8, v27
	v_lshlrev_b16_e32 v11, 8, v11
	v_and_b32_e32 v32, 0xffffff00, v32
	v_sub_i16 v11, v33, v11 clamp
	v_or_b32_sdwa v11, v11, v32 dst_sel:DWORD dst_unused:UNUSED_PAD src0_sel:BYTE_1 src1_sel:DWORD
	v_and_b32_sdwa v32, v27, s30 dst_sel:DWORD dst_unused:UNUSED_PAD src0_sel:WORD_1 src1_sel:DWORD
	v_sub_i16 v29, v32, v29 clamp
	v_lshlrev_b16_sdwa v27, v39, v27 dst_sel:DWORD dst_unused:UNUSED_PAD src0_sel:DWORD src1_sel:WORD_1
	v_lshlrev_b16_e32 v28, 8, v28
	v_and_b32_e32 v29, 0xffffff00, v29
	v_sub_i16 v27, v27, v28 clamp
	v_or_b32_sdwa v27, v27, v29 dst_sel:WORD_1 dst_unused:UNUSED_PAD src0_sel:BYTE_1 src1_sel:DWORD
	v_dot4c_i32_i8_e32 v10, v26, v3
	v_add_u32_e32 v26, s8, v36
	v_or_b32_sdwa v11, v11, v27 dst_sel:DWORD dst_unused:UNUSED_PAD src0_sel:WORD_0 src1_sel:DWORD
	v_mad_i64_i32 v[26:27], s[34:35], v26, s28, v[18:19]
	v_lshl_add_u64 v[32:33], v[26:27], 0, v[20:21]
	v_dot4c_i32_i8_e32 v10, v11, v8
	global_load_ushort v11, v[22:23], off
	global_load_ushort v49, v[32:33], off offset:2
	global_load_dword v45, v[32:33], off offset:2
	global_load_dword v43, v[32:33], off offset:4
	;; [unrolled: 1-line block ×3, first 2 shown]
	v_lshl_add_u64 v[28:29], v[26:27], 0, v[14:15]
	v_add_u32_e32 v36, 8, v36
	v_cmp_le_u32_e32 vcc, s5, v36
	s_or_b64 s[12:13], vcc, s[12:13]
	s_waitcnt vmcnt(3)
	v_and_b32_e32 v34, 0x1ff, v49
	v_lshlrev_b32_sdwa v34, v38, v34 dst_sel:DWORD dst_unused:UNUSED_PAD src0_sel:DWORD src1_sel:WORD_0
	global_load_dwordx2 v[34:35], v34, s[20:21]
	v_lshrrev_b16_e32 v50, 9, v49
	v_bcnt_u32_b32 v51, v50, 0
	v_and_b32_e32 v51, 1, v51
	v_lshl_or_b32 v51, v51, 7, v50
	v_mul_lo_u32 v51, v51, s29
	v_and_b32_e32 v52, 0x8000000, v51
	v_lshrrev_b32_e32 v53, 8, v51
	v_lshrrev_b16_e32 v54, 1, v53
	v_cmp_ne_u16_sdwa s[34:35], v52, v15 src0_sel:BYTE_3 src1_sel:DWORD
	v_lshlrev_b16_e32 v49, 6, v49
	v_bfe_i32 v54, v54, 0, 1
	v_lshrrev_b32_e32 v55, 18, v51
	v_cndmask_b32_e64 v52, 0, -1, s[34:35]
	v_ashrrev_i16_e32 v49, 15, v49
	v_bfe_i32 v55, v55, 0, 1
	v_lshlrev_b16_e32 v52, 8, v52
	v_lshlrev_b16_e32 v54, 8, v54
	v_or_b32_sdwa v56, v55, v52 dst_sel:WORD_1 dst_unused:UNUSED_PAD src0_sel:BYTE_0 src1_sel:DWORD
	v_or_b32_sdwa v57, v49, v54 dst_sel:DWORD dst_unused:UNUSED_PAD src0_sel:BYTE_0 src1_sel:DWORD
	v_or_b32_sdwa v56, v57, v56 dst_sel:DWORD dst_unused:UNUSED_PAD src0_sel:WORD_0 src1_sel:DWORD
	v_lshlrev_b16_e32 v49, 8, v49
	v_bfe_i32 v50, v50, 4, 1
	s_waitcnt vmcnt(0)
	v_xor_b32_e32 v34, v34, v56
	v_and_b32_e32 v56, 0xffffff00, v34
	v_sub_i16 v54, v56, v54 clamp
	v_lshlrev_b16_e32 v56, 8, v34
	v_and_b32_e32 v54, 0xffffff00, v54
	v_sub_i16 v49, v56, v49 clamp
	v_or_b32_sdwa v49, v49, v54 dst_sel:DWORD dst_unused:UNUSED_PAD src0_sel:BYTE_1 src1_sel:DWORD
	v_and_b32_sdwa v54, v34, s30 dst_sel:DWORD dst_unused:UNUSED_PAD src0_sel:WORD_1 src1_sel:DWORD
	v_sub_i16 v52, v54, v52 clamp
	v_lshlrev_b16_sdwa v34, v39, v34 dst_sel:DWORD dst_unused:UNUSED_PAD src0_sel:DWORD src1_sel:WORD_1
	v_lshlrev_b16_e32 v54, 8, v55
	v_and_b32_e32 v52, 0xffffff00, v52
	v_sub_i16 v34, v34, v54 clamp
	v_or_b32_sdwa v34, v34, v52 dst_sel:WORD_1 dst_unused:UNUSED_PAD src0_sel:BYTE_1 src1_sel:DWORD
	v_lshrrev_b16_e32 v52, 5, v53
	v_or_b32_sdwa v49, v49, v34 dst_sel:DWORD dst_unused:UNUSED_PAD src0_sel:WORD_0 src1_sel:DWORD
	v_and_b32_e32 v34, 0x80000000, v51
	v_cmp_ne_u16_sdwa s[34:35], v34, v15 src0_sel:BYTE_3 src1_sel:DWORD
	v_bfe_i32 v52, v52, 0, 1
	v_lshrrev_b32_e32 v51, 22, v51
	v_cndmask_b32_e64 v34, 0, -1, s[34:35]
	v_bfe_i32 v51, v51, 0, 1
	v_lshlrev_b16_e32 v34, 8, v34
	v_lshlrev_b16_e32 v52, 8, v52
	v_or_b32_sdwa v53, v51, v34 dst_sel:WORD_1 dst_unused:UNUSED_PAD src0_sel:BYTE_0 src1_sel:DWORD
	v_or_b32_sdwa v54, v50, v52 dst_sel:DWORD dst_unused:UNUSED_PAD src0_sel:BYTE_0 src1_sel:DWORD
	v_or_b32_sdwa v53, v54, v53 dst_sel:DWORD dst_unused:UNUSED_PAD src0_sel:WORD_0 src1_sel:DWORD
	v_xor_b32_e32 v35, v35, v53
	v_and_b32_e32 v53, 0xffffff00, v35
	v_sub_i16 v52, v53, v52 clamp
	v_lshlrev_b16_e32 v53, 8, v35
	v_lshlrev_b16_e32 v50, 8, v50
	v_and_b32_e32 v52, 0xffffff00, v52
	v_sub_i16 v50, v53, v50 clamp
	v_or_b32_sdwa v50, v50, v52 dst_sel:DWORD dst_unused:UNUSED_PAD src0_sel:BYTE_1 src1_sel:DWORD
	v_and_b32_sdwa v52, v35, s30 dst_sel:DWORD dst_unused:UNUSED_PAD src0_sel:WORD_1 src1_sel:DWORD
	v_sub_i16 v34, v52, v34 clamp
	v_lshlrev_b16_sdwa v35, v39, v35 dst_sel:DWORD dst_unused:UNUSED_PAD src0_sel:DWORD src1_sel:WORD_1
	v_lshlrev_b16_e32 v51, 8, v51
	v_mov_b32_e32 v55, 0
	v_and_b32_e32 v34, 0xffffff00, v34
	v_sub_i16 v35, v35, v51 clamp
	v_dot4c_i32_i8_e32 v55, v49, v5
	v_lshrrev_b32_e32 v5, 13, v45
	v_or_b32_sdwa v34, v35, v34 dst_sel:WORD_1 dst_unused:UNUSED_PAD src0_sel:BYTE_1 src1_sel:DWORD
	v_and_b32_e32 v5, 0xff8, v5
	v_or_b32_sdwa v50, v50, v34 dst_sel:DWORD dst_unused:UNUSED_PAD src0_sel:WORD_0 src1_sel:DWORD
	global_load_dwordx2 v[34:35], v5, s[20:21]
	v_lshrrev_b32_e32 v5, 25, v45
	v_dot4c_i32_i8_e32 v55, v50, v6
	v_bcnt_u32_b32 v6, v5, 0
	v_and_b32_e32 v6, 1, v6
	v_alignbit_b32 v6, v6, v45, 25
	v_mul_lo_u32 v6, v6, s29
	v_and_b32_e32 v51, 0x8000000, v6
	v_lshrrev_b32_e32 v53, 8, v6
	v_lshrrev_b16_e32 v54, 1, v53
	v_cmp_ne_u16_sdwa s[34:35], v51, v15 src0_sel:BYTE_3 src1_sel:DWORD
	v_lshlrev_b16_sdwa v52, v40, v45 dst_sel:DWORD dst_unused:UNUSED_PAD src0_sel:DWORD src1_sel:WORD_1
	v_bfe_i32 v54, v54, 0, 1
	v_lshrrev_b32_e32 v56, 18, v6
	v_cndmask_b32_e64 v51, 0, -1, s[34:35]
	v_ashrrev_i16_e32 v52, 15, v52
	v_bfe_i32 v56, v56, 0, 1
	v_lshlrev_b16_e32 v51, 8, v51
	v_lshlrev_b16_e32 v54, 8, v54
	v_or_b32_sdwa v57, v56, v51 dst_sel:WORD_1 dst_unused:UNUSED_PAD src0_sel:BYTE_0 src1_sel:DWORD
	v_or_b32_sdwa v58, v52, v54 dst_sel:DWORD dst_unused:UNUSED_PAD src0_sel:BYTE_0 src1_sel:DWORD
	v_or_b32_sdwa v57, v58, v57 dst_sel:DWORD dst_unused:UNUSED_PAD src0_sel:WORD_0 src1_sel:DWORD
	v_lshlrev_b16_e32 v52, 8, v52
	v_bfe_i32 v5, v5, 4, 1
	s_waitcnt vmcnt(0)
	v_xor_b32_e32 v34, v34, v57
	v_and_b32_e32 v57, 0xffffff00, v34
	v_sub_i16 v54, v57, v54 clamp
	v_lshlrev_b16_e32 v57, 8, v34
	v_and_b32_e32 v54, 0xffffff00, v54
	v_sub_i16 v52, v57, v52 clamp
	v_or_b32_sdwa v52, v52, v54 dst_sel:DWORD dst_unused:UNUSED_PAD src0_sel:BYTE_1 src1_sel:DWORD
	v_and_b32_sdwa v54, v34, s30 dst_sel:DWORD dst_unused:UNUSED_PAD src0_sel:WORD_1 src1_sel:DWORD
	v_sub_i16 v51, v54, v51 clamp
	v_lshlrev_b16_sdwa v34, v39, v34 dst_sel:DWORD dst_unused:UNUSED_PAD src0_sel:DWORD src1_sel:WORD_1
	v_lshlrev_b16_e32 v54, 8, v56
	v_and_b32_e32 v51, 0xffffff00, v51
	v_sub_i16 v34, v34, v54 clamp
	v_or_b32_sdwa v34, v34, v51 dst_sel:WORD_1 dst_unused:UNUSED_PAD src0_sel:BYTE_1 src1_sel:DWORD
	v_and_b32_e32 v51, 0x80000000, v6
	v_or_b32_sdwa v34, v52, v34 dst_sel:DWORD dst_unused:UNUSED_PAD src0_sel:WORD_0 src1_sel:DWORD
	v_lshrrev_b16_e32 v52, 5, v53
	v_cmp_ne_u16_sdwa s[34:35], v51, v15 src0_sel:BYTE_3 src1_sel:DWORD
	v_bfe_i32 v52, v52, 0, 1
	v_lshrrev_b32_e32 v6, 22, v6
	v_cndmask_b32_e64 v51, 0, -1, s[34:35]
	v_bfe_i32 v6, v6, 0, 1
	v_lshlrev_b16_e32 v51, 8, v51
	v_lshlrev_b16_e32 v52, 8, v52
	v_or_b32_sdwa v53, v6, v51 dst_sel:WORD_1 dst_unused:UNUSED_PAD src0_sel:BYTE_0 src1_sel:DWORD
	v_or_b32_sdwa v54, v5, v52 dst_sel:DWORD dst_unused:UNUSED_PAD src0_sel:BYTE_0 src1_sel:DWORD
	v_or_b32_sdwa v53, v54, v53 dst_sel:DWORD dst_unused:UNUSED_PAD src0_sel:WORD_0 src1_sel:DWORD
	v_xor_b32_e32 v35, v35, v53
	v_and_b32_e32 v53, 0xffffff00, v35
	v_sub_i16 v52, v53, v52 clamp
	v_lshlrev_b16_e32 v53, 8, v35
	v_lshlrev_b16_e32 v5, 8, v5
	v_and_b32_e32 v52, 0xffffff00, v52
	v_sub_i16 v5, v53, v5 clamp
	v_or_b32_sdwa v5, v5, v52 dst_sel:DWORD dst_unused:UNUSED_PAD src0_sel:BYTE_1 src1_sel:DWORD
	v_and_b32_sdwa v52, v35, s30 dst_sel:DWORD dst_unused:UNUSED_PAD src0_sel:WORD_1 src1_sel:DWORD
	v_sub_i16 v51, v52, v51 clamp
	v_lshlrev_b16_sdwa v35, v39, v35 dst_sel:DWORD dst_unused:UNUSED_PAD src0_sel:DWORD src1_sel:WORD_1
	v_lshlrev_b16_e32 v6, 8, v6
	v_and_b32_e32 v51, 0xffffff00, v51
	v_sub_i16 v6, v35, v6 clamp
	v_or_b32_sdwa v6, v6, v51 dst_sel:WORD_1 dst_unused:UNUSED_PAD src0_sel:BYTE_1 src1_sel:DWORD
	v_dot4c_i32_i8_e32 v55, v34, v7
	v_or_b32_sdwa v5, v5, v6 dst_sel:DWORD dst_unused:UNUSED_PAD src0_sel:WORD_0 src1_sel:DWORD
	v_dot4c_i32_i8_e32 v55, v5, v0
	v_lshrrev_b32_e32 v0, 13, v43
	v_and_b32_e32 v0, 0xff8, v0
	global_load_dwordx2 v[6:7], v0, s[20:21]
	v_lshrrev_b32_e32 v0, 25, v43
	v_bcnt_u32_b32 v5, v0, 0
	v_and_b32_e32 v5, 1, v5
	v_alignbit_b32 v5, v5, v43, 25
	v_mul_lo_u32 v5, v5, s29
	v_and_b32_e32 v34, 0x8000000, v5
	v_lshrrev_b32_e32 v51, 8, v5
	v_lshrrev_b16_e32 v52, 1, v51
	v_cmp_ne_u16_sdwa s[34:35], v34, v15 src0_sel:BYTE_3 src1_sel:DWORD
	v_lshlrev_b16_sdwa v35, v40, v43 dst_sel:DWORD dst_unused:UNUSED_PAD src0_sel:DWORD src1_sel:WORD_1
	v_bfe_i32 v52, v52, 0, 1
	v_lshrrev_b32_e32 v53, 18, v5
	v_cndmask_b32_e64 v34, 0, -1, s[34:35]
	v_ashrrev_i16_e32 v35, 15, v35
	v_bfe_i32 v53, v53, 0, 1
	v_lshlrev_b16_e32 v34, 8, v34
	v_lshlrev_b16_e32 v52, 8, v52
	v_or_b32_sdwa v54, v53, v34 dst_sel:WORD_1 dst_unused:UNUSED_PAD src0_sel:BYTE_0 src1_sel:DWORD
	v_or_b32_sdwa v56, v35, v52 dst_sel:DWORD dst_unused:UNUSED_PAD src0_sel:BYTE_0 src1_sel:DWORD
	v_or_b32_sdwa v54, v56, v54 dst_sel:DWORD dst_unused:UNUSED_PAD src0_sel:WORD_0 src1_sel:DWORD
	v_lshlrev_b16_e32 v35, 8, v35
	v_bfe_i32 v0, v0, 4, 1
	s_waitcnt vmcnt(0)
	v_xor_b32_e32 v6, v6, v54
	v_and_b32_e32 v54, 0xffffff00, v6
	v_sub_i16 v52, v54, v52 clamp
	v_lshlrev_b16_e32 v54, 8, v6
	v_and_b32_e32 v52, 0xffffff00, v52
	v_sub_i16 v35, v54, v35 clamp
	v_or_b32_sdwa v35, v35, v52 dst_sel:DWORD dst_unused:UNUSED_PAD src0_sel:BYTE_1 src1_sel:DWORD
	v_and_b32_sdwa v52, v6, s30 dst_sel:DWORD dst_unused:UNUSED_PAD src0_sel:WORD_1 src1_sel:DWORD
	v_sub_i16 v34, v52, v34 clamp
	v_lshlrev_b16_sdwa v6, v39, v6 dst_sel:DWORD dst_unused:UNUSED_PAD src0_sel:DWORD src1_sel:WORD_1
	v_lshlrev_b16_e32 v52, 8, v53
	v_and_b32_e32 v34, 0xffffff00, v34
	v_sub_i16 v6, v6, v52 clamp
	v_or_b32_sdwa v6, v6, v34 dst_sel:WORD_1 dst_unused:UNUSED_PAD src0_sel:BYTE_1 src1_sel:DWORD
	v_and_b32_e32 v34, 0x80000000, v5
	v_or_b32_sdwa v6, v35, v6 dst_sel:DWORD dst_unused:UNUSED_PAD src0_sel:WORD_0 src1_sel:DWORD
	v_lshrrev_b16_e32 v35, 5, v51
	v_cmp_ne_u16_sdwa s[34:35], v34, v15 src0_sel:BYTE_3 src1_sel:DWORD
	v_bfe_i32 v35, v35, 0, 1
	v_lshrrev_b32_e32 v5, 22, v5
	v_cndmask_b32_e64 v34, 0, -1, s[34:35]
	v_bfe_i32 v5, v5, 0, 1
	v_lshlrev_b16_e32 v34, 8, v34
	v_lshlrev_b16_e32 v35, 8, v35
	v_or_b32_sdwa v51, v5, v34 dst_sel:WORD_1 dst_unused:UNUSED_PAD src0_sel:BYTE_0 src1_sel:DWORD
	v_or_b32_sdwa v52, v0, v35 dst_sel:DWORD dst_unused:UNUSED_PAD src0_sel:BYTE_0 src1_sel:DWORD
	v_or_b32_sdwa v51, v52, v51 dst_sel:DWORD dst_unused:UNUSED_PAD src0_sel:WORD_0 src1_sel:DWORD
	v_xor_b32_e32 v7, v7, v51
	v_and_b32_e32 v51, 0xffffff00, v7
	v_sub_i16 v35, v51, v35 clamp
	v_lshlrev_b16_e32 v51, 8, v7
	v_lshlrev_b16_e32 v0, 8, v0
	v_and_b32_e32 v35, 0xffffff00, v35
	v_sub_i16 v0, v51, v0 clamp
	v_or_b32_sdwa v0, v0, v35 dst_sel:DWORD dst_unused:UNUSED_PAD src0_sel:BYTE_1 src1_sel:DWORD
	v_and_b32_sdwa v35, v7, s30 dst_sel:DWORD dst_unused:UNUSED_PAD src0_sel:WORD_1 src1_sel:DWORD
	v_sub_i16 v34, v35, v34 clamp
	v_lshlrev_b16_sdwa v7, v39, v7 dst_sel:DWORD dst_unused:UNUSED_PAD src0_sel:DWORD src1_sel:WORD_1
	v_lshlrev_b16_e32 v5, 8, v5
	v_and_b32_e32 v34, 0xffffff00, v34
	v_sub_i16 v5, v7, v5 clamp
	v_or_b32_sdwa v5, v5, v34 dst_sel:WORD_1 dst_unused:UNUSED_PAD src0_sel:BYTE_1 src1_sel:DWORD
	v_lshlrev_b16_sdwa v34, v40, v41 dst_sel:DWORD dst_unused:UNUSED_PAD src0_sel:DWORD src1_sel:WORD_1
	v_or_b32_sdwa v0, v0, v5 dst_sel:DWORD dst_unused:UNUSED_PAD src0_sel:WORD_0 src1_sel:DWORD
	v_mov_b32_e32 v5, 0
	v_dot4c_i32_i8_e32 v5, v6, v1
	v_dot4c_i32_i8_e32 v5, v0, v2
	v_lshrrev_b32_e32 v0, 13, v41
	v_and_b32_e32 v0, 0xff8, v0
	global_load_dwordx2 v[0:1], v0, s[20:21]
	v_lshrrev_b32_e32 v2, 25, v41
	v_bcnt_u32_b32 v6, v2, 0
	v_and_b32_e32 v6, 1, v6
	v_alignbit_b32 v6, v6, v41, 25
	v_mul_lo_u32 v6, v6, s29
	v_and_b32_e32 v7, 0x8000000, v6
	v_lshrrev_b32_e32 v35, 8, v6
	v_lshrrev_b16_e32 v51, 1, v35
	v_cmp_ne_u16_sdwa s[34:35], v7, v15 src0_sel:BYTE_3 src1_sel:DWORD
	v_bfe_i32 v51, v51, 0, 1
	v_lshrrev_b32_e32 v52, 18, v6
	v_cndmask_b32_e64 v7, 0, -1, s[34:35]
	v_ashrrev_i16_e32 v34, 15, v34
	v_bfe_i32 v52, v52, 0, 1
	v_lshlrev_b16_e32 v7, 8, v7
	v_lshlrev_b16_e32 v51, 8, v51
	v_or_b32_sdwa v53, v52, v7 dst_sel:WORD_1 dst_unused:UNUSED_PAD src0_sel:BYTE_0 src1_sel:DWORD
	v_or_b32_sdwa v54, v34, v51 dst_sel:DWORD dst_unused:UNUSED_PAD src0_sel:BYTE_0 src1_sel:DWORD
	v_or_b32_sdwa v53, v54, v53 dst_sel:DWORD dst_unused:UNUSED_PAD src0_sel:WORD_0 src1_sel:DWORD
	v_lshlrev_b16_e32 v34, 8, v34
	v_bfe_i32 v2, v2, 4, 1
	s_waitcnt vmcnt(0)
	v_xor_b32_e32 v0, v0, v53
	v_and_b32_e32 v53, 0xffffff00, v0
	v_sub_i16 v51, v53, v51 clamp
	v_lshlrev_b16_e32 v53, 8, v0
	v_and_b32_e32 v51, 0xffffff00, v51
	v_sub_i16 v34, v53, v34 clamp
	v_or_b32_sdwa v34, v34, v51 dst_sel:DWORD dst_unused:UNUSED_PAD src0_sel:BYTE_1 src1_sel:DWORD
	v_and_b32_sdwa v51, v0, s30 dst_sel:DWORD dst_unused:UNUSED_PAD src0_sel:WORD_1 src1_sel:DWORD
	v_sub_i16 v7, v51, v7 clamp
	v_lshlrev_b16_sdwa v0, v39, v0 dst_sel:DWORD dst_unused:UNUSED_PAD src0_sel:DWORD src1_sel:WORD_1
	v_lshlrev_b16_e32 v51, 8, v52
	v_and_b32_e32 v7, 0xffffff00, v7
	v_sub_i16 v0, v0, v51 clamp
	v_or_b32_sdwa v0, v0, v7 dst_sel:WORD_1 dst_unused:UNUSED_PAD src0_sel:BYTE_1 src1_sel:DWORD
	v_and_b32_e32 v7, 0x80000000, v6
	v_or_b32_sdwa v0, v34, v0 dst_sel:DWORD dst_unused:UNUSED_PAD src0_sel:WORD_0 src1_sel:DWORD
	v_lshrrev_b16_e32 v34, 5, v35
	v_cmp_ne_u16_sdwa s[34:35], v7, v15 src0_sel:BYTE_3 src1_sel:DWORD
	v_bfe_i32 v34, v34, 0, 1
	v_lshrrev_b32_e32 v6, 22, v6
	v_cndmask_b32_e64 v7, 0, -1, s[34:35]
	v_bfe_i32 v6, v6, 0, 1
	v_lshlrev_b16_e32 v7, 8, v7
	v_lshlrev_b16_e32 v34, 8, v34
	v_or_b32_sdwa v35, v6, v7 dst_sel:WORD_1 dst_unused:UNUSED_PAD src0_sel:BYTE_0 src1_sel:DWORD
	v_or_b32_sdwa v51, v2, v34 dst_sel:DWORD dst_unused:UNUSED_PAD src0_sel:BYTE_0 src1_sel:DWORD
	v_or_b32_sdwa v35, v51, v35 dst_sel:DWORD dst_unused:UNUSED_PAD src0_sel:WORD_0 src1_sel:DWORD
	v_xor_b32_e32 v1, v1, v35
	v_and_b32_e32 v35, 0xffffff00, v1
	v_sub_i16 v34, v35, v34 clamp
	v_lshlrev_b16_e32 v35, 8, v1
	v_lshlrev_b16_e32 v2, 8, v2
	v_and_b32_e32 v34, 0xffffff00, v34
	v_sub_i16 v2, v35, v2 clamp
	v_or_b32_sdwa v2, v2, v34 dst_sel:DWORD dst_unused:UNUSED_PAD src0_sel:BYTE_1 src1_sel:DWORD
	v_and_b32_sdwa v34, v1, s30 dst_sel:DWORD dst_unused:UNUSED_PAD src0_sel:WORD_1 src1_sel:DWORD
	v_sub_i16 v7, v34, v7 clamp
	v_lshlrev_b16_sdwa v1, v39, v1 dst_sel:DWORD dst_unused:UNUSED_PAD src0_sel:DWORD src1_sel:WORD_1
	v_lshlrev_b16_e32 v6, 8, v6
	v_and_b32_e32 v7, 0xffffff00, v7
	v_sub_i16 v1, v1, v6 clamp
	v_or_b32_sdwa v1, v1, v7 dst_sel:WORD_1 dst_unused:UNUSED_PAD src0_sel:BYTE_1 src1_sel:DWORD
	v_dot4c_i32_i8_e32 v5, v0, v3
	v_or_b32_sdwa v1, v2, v1 dst_sel:DWORD dst_unused:UNUSED_PAD src0_sel:WORD_0 src1_sel:DWORD
	v_dot4c_i32_i8_e32 v5, v1, v8
	global_load_ushort v0, v[26:27], off
	global_load_ubyte v1, v[24:25], off offset:66
	global_load_ubyte v2, v[28:29], off offset:66
	v_add_u32_e32 v7, v10, v9
	v_lshrrev_b32_e32 v8, 31, v7
	v_add_u32_e32 v7, v7, v8
	v_ashrrev_i32_e32 v7, 1, v7
	v_cvt_f32_f16_e32 v34, v11
	s_waitcnt vmcnt(2)
	v_cvt_f32_f16_e32 v35, v0
	s_waitcnt vmcnt(1)
	v_lshrrev_b32_e32 v52, 4, v1
	s_waitcnt vmcnt(0)
	v_lshrrev_b32_e32 v51, 4, v2
	v_and_b32_e32 v54, 15, v1
	v_mul_lo_u32 v6, v5, v51
	v_add_u32_e32 v5, v5, v55
	v_mul_lo_u32 v1, v9, v54
	v_mul_lo_u32 v3, v10, v52
	v_lshrrev_b32_e32 v8, 31, v5
	v_and_b32_e32 v53, 15, v2
	v_add_u32_e32 v5, v5, v8
	v_add3_u32 v1, v3, v1, v7
	v_mul_lo_u32 v2, v55, v53
	v_ashrrev_i32_e32 v5, 1, v5
	v_ashrrev_i32_e32 v3, 31, v1
	v_add3_u32 v2, v6, v2, v5
	v_lshrrev_b32_e32 v3, 30, v3
	v_add_u32_e32 v1, v1, v3
	v_ashrrev_i32_e32 v3, 31, v2
	v_lshrrev_b32_e32 v3, 30, v3
	v_add_u32_e32 v2, v2, v3
	v_ashrrev_i32_e32 v1, 2, v1
	v_ashrrev_i32_e32 v2, 2, v2
	v_cvt_f32_i32_e32 v7, v2
	v_cvt_f32_i32_e32 v6, v1
	scratch_load_dwordx4 v[0:3], off, off
	v_pk_mul_f32 v[4:5], v[4:5], v[34:35] op_sel_hi:[0,1]
	s_waitcnt vmcnt(0)
	v_pk_fma_f32 v[0:1], v[4:5], v[6:7], v[0:1]
	v_add_u32_e32 v4, s9, v37
	v_mad_u64_u32 v[4:5], s[34:35], v4, 36, s[24:25]
	v_mad_u64_u32 v[56:57], s[34:35], v14, 36, v[4:5]
	global_load_dword v55, v[56:57], off offset:32
	global_load_dwordx4 v[4:7], v[56:57], off offset:16
	global_load_dwordx4 v[8:11], v[56:57], off
	s_nop 0
	global_load_ushort v56, v[30:31], off offset:4
	global_load_ushort v60, v[30:31], off offset:6
	;; [unrolled: 1-line block ×3, first 2 shown]
	s_waitcnt vmcnt(3)
	v_dot4c_i32_i8_e32 v62, v47, v9
	s_waitcnt vmcnt(2)
	v_and_b32_e32 v47, 0x1ff, v56
	v_lshlrev_b32_sdwa v47, v38, v47 dst_sel:DWORD dst_unused:UNUSED_PAD src0_sel:DWORD src1_sel:WORD_0
	global_load_dwordx2 v[58:59], v47, s[20:21]
	v_lshrrev_b16_e32 v47, 9, v56
	v_dot4c_i32_i8_e32 v62, v48, v10
	v_bcnt_u32_b32 v48, v47, 0
	v_and_b32_e32 v48, 1, v48
	v_lshl_or_b32 v48, v48, 7, v47
	v_mul_lo_u32 v48, v48, s29
	v_and_b32_e32 v57, 0x8000000, v48
	v_lshrrev_b32_e32 v63, 8, v48
	v_lshrrev_b16_e32 v64, 1, v63
	v_cmp_ne_u16_sdwa s[34:35], v57, v15 src0_sel:BYTE_3 src1_sel:DWORD
	v_lshlrev_b16_e32 v56, 6, v56
	v_bfe_i32 v64, v64, 0, 1
	v_lshrrev_b32_e32 v65, 18, v48
	v_cndmask_b32_e64 v57, 0, -1, s[34:35]
	v_ashrrev_i16_e32 v56, 15, v56
	v_bfe_i32 v65, v65, 0, 1
	v_lshlrev_b16_e32 v57, 8, v57
	v_lshlrev_b16_e32 v64, 8, v64
	v_or_b32_sdwa v66, v65, v57 dst_sel:WORD_1 dst_unused:UNUSED_PAD src0_sel:BYTE_0 src1_sel:DWORD
	v_or_b32_sdwa v67, v56, v64 dst_sel:DWORD dst_unused:UNUSED_PAD src0_sel:BYTE_0 src1_sel:DWORD
	v_or_b32_sdwa v66, v67, v66 dst_sel:DWORD dst_unused:UNUSED_PAD src0_sel:WORD_0 src1_sel:DWORD
	v_lshlrev_b16_e32 v56, 8, v56
	v_bfe_i32 v47, v47, 4, 1
	v_cvt_f32_f16_e32 v8, v8
	s_waitcnt vmcnt(0)
	v_xor_b32_e32 v58, v58, v66
	v_and_b32_e32 v66, 0xffffff00, v58
	v_sub_i16 v64, v66, v64 clamp
	v_lshlrev_b16_e32 v66, 8, v58
	v_and_b32_e32 v64, 0xffffff00, v64
	v_sub_i16 v56, v66, v56 clamp
	v_or_b32_sdwa v56, v56, v64 dst_sel:DWORD dst_unused:UNUSED_PAD src0_sel:BYTE_1 src1_sel:DWORD
	v_and_b32_sdwa v64, v58, s30 dst_sel:DWORD dst_unused:UNUSED_PAD src0_sel:WORD_1 src1_sel:DWORD
	v_sub_i16 v57, v64, v57 clamp
	v_lshlrev_b16_sdwa v58, v39, v58 dst_sel:DWORD dst_unused:UNUSED_PAD src0_sel:DWORD src1_sel:WORD_1
	v_lshlrev_b16_e32 v64, 8, v65
	v_and_b32_e32 v57, 0xffffff00, v57
	v_sub_i16 v58, v58, v64 clamp
	v_or_b32_sdwa v57, v58, v57 dst_sel:WORD_1 dst_unused:UNUSED_PAD src0_sel:BYTE_1 src1_sel:DWORD
	v_lshrrev_b16_e32 v58, 5, v63
	v_or_b32_sdwa v56, v56, v57 dst_sel:DWORD dst_unused:UNUSED_PAD src0_sel:WORD_0 src1_sel:DWORD
	v_and_b32_e32 v57, 0x80000000, v48
	v_cmp_ne_u16_sdwa s[34:35], v57, v15 src0_sel:BYTE_3 src1_sel:DWORD
	v_bfe_i32 v58, v58, 0, 1
	v_lshrrev_b32_e32 v48, 22, v48
	v_cndmask_b32_e64 v57, 0, -1, s[34:35]
	v_bfe_i32 v48, v48, 0, 1
	v_lshlrev_b16_e32 v57, 8, v57
	v_lshlrev_b16_e32 v58, 8, v58
	v_or_b32_sdwa v63, v48, v57 dst_sel:WORD_1 dst_unused:UNUSED_PAD src0_sel:BYTE_0 src1_sel:DWORD
	v_or_b32_sdwa v64, v47, v58 dst_sel:DWORD dst_unused:UNUSED_PAD src0_sel:BYTE_0 src1_sel:DWORD
	v_or_b32_sdwa v63, v64, v63 dst_sel:DWORD dst_unused:UNUSED_PAD src0_sel:WORD_0 src1_sel:DWORD
	v_xor_b32_e32 v59, v59, v63
	v_and_b32_e32 v63, 0xffffff00, v59
	v_sub_i16 v58, v63, v58 clamp
	v_lshlrev_b16_e32 v63, 8, v59
	v_lshlrev_b16_e32 v47, 8, v47
	v_and_b32_e32 v58, 0xffffff00, v58
	v_sub_i16 v47, v63, v47 clamp
	v_or_b32_sdwa v47, v47, v58 dst_sel:DWORD dst_unused:UNUSED_PAD src0_sel:BYTE_1 src1_sel:DWORD
	v_and_b32_sdwa v58, v59, s30 dst_sel:DWORD dst_unused:UNUSED_PAD src0_sel:WORD_1 src1_sel:DWORD
	v_sub_i16 v57, v58, v57 clamp
	v_lshlrev_b16_sdwa v58, v39, v59 dst_sel:DWORD dst_unused:UNUSED_PAD src0_sel:DWORD src1_sel:WORD_1
	v_lshlrev_b16_e32 v48, 8, v48
	v_and_b32_e32 v57, 0xffffff00, v57
	v_sub_i16 v48, v58, v48 clamp
	v_or_b32_sdwa v48, v48, v57 dst_sel:WORD_1 dst_unused:UNUSED_PAD src0_sel:BYTE_1 src1_sel:DWORD
	v_dot4c_i32_i8_e32 v62, v56, v11
	v_or_b32_sdwa v47, v47, v48 dst_sel:DWORD dst_unused:UNUSED_PAD src0_sel:WORD_0 src1_sel:DWORD
	v_dot4c_i32_i8_e32 v62, v47, v4
	v_and_b32_e32 v47, 0x1ff, v60
	v_lshlrev_b32_sdwa v47, v38, v47 dst_sel:DWORD dst_unused:UNUSED_PAD src0_sel:DWORD src1_sel:WORD_0
	global_load_dwordx2 v[56:57], v47, s[20:21]
	v_lshrrev_b16_e32 v47, 9, v60
	v_bcnt_u32_b32 v48, v47, 0
	v_and_b32_e32 v48, 1, v48
	v_lshl_or_b32 v48, v48, 7, v47
	v_mul_lo_u32 v48, v48, s29
	v_and_b32_e32 v58, 0x8000000, v48
	v_lshlrev_b16_e32 v59, 6, v60
	v_lshrrev_b32_e32 v60, 8, v48
	v_lshrrev_b16_e32 v63, 1, v60
	v_cmp_ne_u16_sdwa s[34:35], v58, v15 src0_sel:BYTE_3 src1_sel:DWORD
	v_bfe_i32 v63, v63, 0, 1
	v_lshrrev_b32_e32 v64, 18, v48
	v_cndmask_b32_e64 v58, 0, -1, s[34:35]
	v_ashrrev_i16_e32 v59, 15, v59
	v_bfe_i32 v64, v64, 0, 1
	v_lshlrev_b16_e32 v58, 8, v58
	v_lshlrev_b16_e32 v63, 8, v63
	v_or_b32_sdwa v65, v64, v58 dst_sel:WORD_1 dst_unused:UNUSED_PAD src0_sel:BYTE_0 src1_sel:DWORD
	v_or_b32_sdwa v66, v59, v63 dst_sel:DWORD dst_unused:UNUSED_PAD src0_sel:BYTE_0 src1_sel:DWORD
	v_or_b32_sdwa v65, v66, v65 dst_sel:DWORD dst_unused:UNUSED_PAD src0_sel:WORD_0 src1_sel:DWORD
	v_lshlrev_b16_e32 v59, 8, v59
	v_bfe_i32 v47, v47, 4, 1
	s_waitcnt vmcnt(0)
	v_xor_b32_e32 v56, v56, v65
	v_and_b32_e32 v65, 0xffffff00, v56
	v_sub_i16 v63, v65, v63 clamp
	v_lshlrev_b16_e32 v65, 8, v56
	v_and_b32_e32 v63, 0xffffff00, v63
	v_sub_i16 v59, v65, v59 clamp
	v_or_b32_sdwa v59, v59, v63 dst_sel:DWORD dst_unused:UNUSED_PAD src0_sel:BYTE_1 src1_sel:DWORD
	v_and_b32_sdwa v63, v56, s30 dst_sel:DWORD dst_unused:UNUSED_PAD src0_sel:WORD_1 src1_sel:DWORD
	v_sub_i16 v58, v63, v58 clamp
	v_lshlrev_b16_sdwa v56, v39, v56 dst_sel:DWORD dst_unused:UNUSED_PAD src0_sel:DWORD src1_sel:WORD_1
	v_lshlrev_b16_e32 v63, 8, v64
	v_and_b32_e32 v58, 0xffffff00, v58
	v_sub_i16 v56, v56, v63 clamp
	v_or_b32_sdwa v56, v56, v58 dst_sel:WORD_1 dst_unused:UNUSED_PAD src0_sel:BYTE_1 src1_sel:DWORD
	v_and_b32_e32 v58, 0x80000000, v48
	v_or_b32_sdwa v56, v59, v56 dst_sel:DWORD dst_unused:UNUSED_PAD src0_sel:WORD_0 src1_sel:DWORD
	v_lshrrev_b16_e32 v59, 5, v60
	v_cmp_ne_u16_sdwa s[34:35], v58, v15 src0_sel:BYTE_3 src1_sel:DWORD
	v_bfe_i32 v59, v59, 0, 1
	v_lshrrev_b32_e32 v48, 22, v48
	v_cndmask_b32_e64 v58, 0, -1, s[34:35]
	v_bfe_i32 v48, v48, 0, 1
	v_lshlrev_b16_e32 v58, 8, v58
	v_lshlrev_b16_e32 v59, 8, v59
	v_or_b32_sdwa v60, v48, v58 dst_sel:WORD_1 dst_unused:UNUSED_PAD src0_sel:BYTE_0 src1_sel:DWORD
	v_or_b32_sdwa v63, v47, v59 dst_sel:DWORD dst_unused:UNUSED_PAD src0_sel:BYTE_0 src1_sel:DWORD
	v_or_b32_sdwa v60, v63, v60 dst_sel:DWORD dst_unused:UNUSED_PAD src0_sel:WORD_0 src1_sel:DWORD
	v_xor_b32_e32 v57, v57, v60
	v_and_b32_e32 v60, 0xffffff00, v57
	v_sub_i16 v59, v60, v59 clamp
	v_lshlrev_b16_e32 v60, 8, v57
	v_lshlrev_b16_e32 v47, 8, v47
	v_and_b32_e32 v59, 0xffffff00, v59
	v_sub_i16 v47, v60, v47 clamp
	v_or_b32_sdwa v47, v47, v59 dst_sel:DWORD dst_unused:UNUSED_PAD src0_sel:BYTE_1 src1_sel:DWORD
	v_and_b32_sdwa v59, v57, s30 dst_sel:DWORD dst_unused:UNUSED_PAD src0_sel:WORD_1 src1_sel:DWORD
	v_sub_i16 v58, v59, v58 clamp
	v_lshlrev_b16_sdwa v57, v39, v57 dst_sel:DWORD dst_unused:UNUSED_PAD src0_sel:DWORD src1_sel:WORD_1
	v_lshlrev_b16_e32 v48, 8, v48
	v_and_b32_e32 v58, 0xffffff00, v58
	v_sub_i16 v48, v57, v48 clamp
	v_or_b32_sdwa v48, v48, v58 dst_sel:WORD_1 dst_unused:UNUSED_PAD src0_sel:BYTE_1 src1_sel:DWORD
	v_mov_b32_e32 v58, 0
	v_or_b32_sdwa v47, v47, v48 dst_sel:DWORD dst_unused:UNUSED_PAD src0_sel:WORD_0 src1_sel:DWORD
	v_dot4c_i32_i8_e32 v58, v56, v5
	v_dot4c_i32_i8_e32 v58, v47, v6
	v_and_b32_e32 v47, 0x1ff, v61
	v_lshlrev_b32_sdwa v47, v38, v47 dst_sel:DWORD dst_unused:UNUSED_PAD src0_sel:DWORD src1_sel:WORD_0
	global_load_dwordx2 v[56:57], v47, s[20:21]
	v_lshrrev_b16_e32 v47, 9, v61
	v_bcnt_u32_b32 v48, v47, 0
	v_and_b32_e32 v48, 1, v48
	v_lshl_or_b32 v48, v48, 7, v47
	v_mul_lo_u32 v48, v48, s29
	v_and_b32_e32 v59, 0x8000000, v48
	v_lshlrev_b16_e32 v60, 6, v61
	v_lshrrev_b32_e32 v61, 8, v48
	v_lshrrev_b16_e32 v63, 1, v61
	v_cmp_ne_u16_sdwa s[34:35], v59, v15 src0_sel:BYTE_3 src1_sel:DWORD
	v_bfe_i32 v63, v63, 0, 1
	v_lshrrev_b32_e32 v64, 18, v48
	v_cndmask_b32_e64 v59, 0, -1, s[34:35]
	v_ashrrev_i16_e32 v60, 15, v60
	v_bfe_i32 v64, v64, 0, 1
	v_lshlrev_b16_e32 v59, 8, v59
	v_lshlrev_b16_e32 v63, 8, v63
	v_or_b32_sdwa v65, v64, v59 dst_sel:WORD_1 dst_unused:UNUSED_PAD src0_sel:BYTE_0 src1_sel:DWORD
	v_or_b32_sdwa v66, v60, v63 dst_sel:DWORD dst_unused:UNUSED_PAD src0_sel:BYTE_0 src1_sel:DWORD
	v_or_b32_sdwa v65, v66, v65 dst_sel:DWORD dst_unused:UNUSED_PAD src0_sel:WORD_0 src1_sel:DWORD
	v_lshlrev_b16_e32 v60, 8, v60
	v_bfe_i32 v47, v47, 4, 1
	s_waitcnt vmcnt(0)
	v_xor_b32_e32 v56, v56, v65
	v_and_b32_e32 v65, 0xffffff00, v56
	v_sub_i16 v63, v65, v63 clamp
	v_lshlrev_b16_e32 v65, 8, v56
	v_and_b32_e32 v63, 0xffffff00, v63
	v_sub_i16 v60, v65, v60 clamp
	v_or_b32_sdwa v60, v60, v63 dst_sel:DWORD dst_unused:UNUSED_PAD src0_sel:BYTE_1 src1_sel:DWORD
	v_and_b32_sdwa v63, v56, s30 dst_sel:DWORD dst_unused:UNUSED_PAD src0_sel:WORD_1 src1_sel:DWORD
	v_sub_i16 v59, v63, v59 clamp
	v_lshlrev_b16_sdwa v56, v39, v56 dst_sel:DWORD dst_unused:UNUSED_PAD src0_sel:DWORD src1_sel:WORD_1
	v_lshlrev_b16_e32 v63, 8, v64
	v_and_b32_e32 v59, 0xffffff00, v59
	v_sub_i16 v56, v56, v63 clamp
	v_or_b32_sdwa v56, v56, v59 dst_sel:WORD_1 dst_unused:UNUSED_PAD src0_sel:BYTE_1 src1_sel:DWORD
	v_and_b32_e32 v59, 0x80000000, v48
	v_or_b32_sdwa v56, v60, v56 dst_sel:DWORD dst_unused:UNUSED_PAD src0_sel:WORD_0 src1_sel:DWORD
	v_lshrrev_b16_e32 v60, 5, v61
	v_cmp_ne_u16_sdwa s[34:35], v59, v15 src0_sel:BYTE_3 src1_sel:DWORD
	v_bfe_i32 v60, v60, 0, 1
	v_lshrrev_b32_e32 v48, 22, v48
	v_cndmask_b32_e64 v59, 0, -1, s[34:35]
	v_bfe_i32 v48, v48, 0, 1
	v_lshlrev_b16_e32 v59, 8, v59
	v_lshlrev_b16_e32 v60, 8, v60
	v_or_b32_sdwa v61, v48, v59 dst_sel:WORD_1 dst_unused:UNUSED_PAD src0_sel:BYTE_0 src1_sel:DWORD
	v_or_b32_sdwa v63, v47, v60 dst_sel:DWORD dst_unused:UNUSED_PAD src0_sel:BYTE_0 src1_sel:DWORD
	v_or_b32_sdwa v61, v63, v61 dst_sel:DWORD dst_unused:UNUSED_PAD src0_sel:WORD_0 src1_sel:DWORD
	v_xor_b32_e32 v57, v57, v61
	v_and_b32_e32 v61, 0xffffff00, v57
	v_sub_i16 v60, v61, v60 clamp
	v_lshlrev_b16_e32 v61, 8, v57
	v_lshlrev_b16_e32 v47, 8, v47
	v_and_b32_e32 v60, 0xffffff00, v60
	v_sub_i16 v47, v61, v47 clamp
	v_or_b32_sdwa v47, v47, v60 dst_sel:DWORD dst_unused:UNUSED_PAD src0_sel:BYTE_1 src1_sel:DWORD
	v_and_b32_sdwa v60, v57, s30 dst_sel:DWORD dst_unused:UNUSED_PAD src0_sel:WORD_1 src1_sel:DWORD
	v_sub_i16 v59, v60, v59 clamp
	v_lshlrev_b16_sdwa v57, v39, v57 dst_sel:DWORD dst_unused:UNUSED_PAD src0_sel:DWORD src1_sel:WORD_1
	v_lshlrev_b16_e32 v48, 8, v48
	v_and_b32_e32 v59, 0xffffff00, v59
	v_sub_i16 v48, v57, v48 clamp
	v_or_b32_sdwa v48, v48, v59 dst_sel:WORD_1 dst_unused:UNUSED_PAD src0_sel:BYTE_1 src1_sel:DWORD
	v_dot4c_i32_i8_e32 v58, v56, v7
	v_or_b32_sdwa v47, v47, v48 dst_sel:DWORD dst_unused:UNUSED_PAD src0_sel:WORD_0 src1_sel:DWORD
	v_dot4c_i32_i8_e32 v58, v47, v55
	global_load_ushort v47, v[32:33], off offset:4
	global_load_ushort v56, v[32:33], off offset:6
	;; [unrolled: 1-line block ×3, first 2 shown]
	v_mov_b32_e32 v59, 0
	v_dot4c_i32_i8_e32 v59, v49, v9
	v_dot4c_i32_i8_e32 v59, v50, v10
	s_waitcnt vmcnt(2)
	v_and_b32_e32 v9, 0x1ff, v47
	v_lshlrev_b32_sdwa v9, v38, v9 dst_sel:DWORD dst_unused:UNUSED_PAD src0_sel:DWORD src1_sel:WORD_0
	global_load_dwordx2 v[48:49], v9, s[20:21]
	v_lshrrev_b16_e32 v9, 9, v47
	v_bcnt_u32_b32 v10, v9, 0
	v_and_b32_e32 v10, 1, v10
	v_lshl_or_b32 v10, v10, 7, v9
	v_mul_lo_u32 v10, v10, s29
	v_and_b32_e32 v50, 0x8000000, v10
	v_lshrrev_b32_e32 v60, 8, v10
	v_lshrrev_b16_e32 v61, 1, v60
	v_cmp_ne_u16_sdwa s[34:35], v50, v15 src0_sel:BYTE_3 src1_sel:DWORD
	v_lshlrev_b16_e32 v47, 6, v47
	v_bfe_i32 v61, v61, 0, 1
	v_lshrrev_b32_e32 v63, 18, v10
	v_cndmask_b32_e64 v50, 0, -1, s[34:35]
	v_ashrrev_i16_e32 v47, 15, v47
	v_bfe_i32 v63, v63, 0, 1
	v_lshlrev_b16_e32 v50, 8, v50
	v_lshlrev_b16_e32 v61, 8, v61
	v_or_b32_sdwa v64, v63, v50 dst_sel:WORD_1 dst_unused:UNUSED_PAD src0_sel:BYTE_0 src1_sel:DWORD
	v_or_b32_sdwa v65, v47, v61 dst_sel:DWORD dst_unused:UNUSED_PAD src0_sel:BYTE_0 src1_sel:DWORD
	v_or_b32_sdwa v64, v65, v64 dst_sel:DWORD dst_unused:UNUSED_PAD src0_sel:WORD_0 src1_sel:DWORD
	v_lshlrev_b16_e32 v47, 8, v47
	v_bfe_i32 v9, v9, 4, 1
	s_waitcnt vmcnt(0)
	v_xor_b32_e32 v48, v48, v64
	v_and_b32_e32 v64, 0xffffff00, v48
	v_sub_i16 v61, v64, v61 clamp
	v_lshlrev_b16_e32 v64, 8, v48
	v_and_b32_e32 v61, 0xffffff00, v61
	v_sub_i16 v47, v64, v47 clamp
	v_or_b32_sdwa v47, v47, v61 dst_sel:DWORD dst_unused:UNUSED_PAD src0_sel:BYTE_1 src1_sel:DWORD
	v_and_b32_sdwa v61, v48, s30 dst_sel:DWORD dst_unused:UNUSED_PAD src0_sel:WORD_1 src1_sel:DWORD
	v_sub_i16 v50, v61, v50 clamp
	v_lshlrev_b16_sdwa v48, v39, v48 dst_sel:DWORD dst_unused:UNUSED_PAD src0_sel:DWORD src1_sel:WORD_1
	v_lshlrev_b16_e32 v61, 8, v63
	v_and_b32_e32 v50, 0xffffff00, v50
	v_sub_i16 v48, v48, v61 clamp
	v_or_b32_sdwa v48, v48, v50 dst_sel:WORD_1 dst_unused:UNUSED_PAD src0_sel:BYTE_1 src1_sel:DWORD
	v_lshrrev_b16_e32 v50, 5, v60
	v_or_b32_sdwa v47, v47, v48 dst_sel:DWORD dst_unused:UNUSED_PAD src0_sel:WORD_0 src1_sel:DWORD
	v_and_b32_e32 v48, 0x80000000, v10
	v_cmp_ne_u16_sdwa s[34:35], v48, v15 src0_sel:BYTE_3 src1_sel:DWORD
	v_bfe_i32 v50, v50, 0, 1
	v_lshrrev_b32_e32 v10, 22, v10
	v_cndmask_b32_e64 v48, 0, -1, s[34:35]
	v_bfe_i32 v10, v10, 0, 1
	v_lshlrev_b16_e32 v48, 8, v48
	v_lshlrev_b16_e32 v50, 8, v50
	v_or_b32_sdwa v60, v10, v48 dst_sel:WORD_1 dst_unused:UNUSED_PAD src0_sel:BYTE_0 src1_sel:DWORD
	v_or_b32_sdwa v61, v9, v50 dst_sel:DWORD dst_unused:UNUSED_PAD src0_sel:BYTE_0 src1_sel:DWORD
	v_or_b32_sdwa v60, v61, v60 dst_sel:DWORD dst_unused:UNUSED_PAD src0_sel:WORD_0 src1_sel:DWORD
	v_xor_b32_e32 v49, v49, v60
	v_and_b32_e32 v60, 0xffffff00, v49
	v_sub_i16 v50, v60, v50 clamp
	v_lshlrev_b16_e32 v60, 8, v49
	v_lshlrev_b16_e32 v9, 8, v9
	v_and_b32_e32 v50, 0xffffff00, v50
	v_sub_i16 v9, v60, v9 clamp
	v_or_b32_sdwa v9, v9, v50 dst_sel:DWORD dst_unused:UNUSED_PAD src0_sel:BYTE_1 src1_sel:DWORD
	v_and_b32_sdwa v50, v49, s30 dst_sel:DWORD dst_unused:UNUSED_PAD src0_sel:WORD_1 src1_sel:DWORD
	v_sub_i16 v48, v50, v48 clamp
	v_lshlrev_b16_sdwa v49, v39, v49 dst_sel:DWORD dst_unused:UNUSED_PAD src0_sel:DWORD src1_sel:WORD_1
	v_lshlrev_b16_e32 v10, 8, v10
	v_and_b32_e32 v48, 0xffffff00, v48
	v_sub_i16 v10, v49, v10 clamp
	v_or_b32_sdwa v10, v10, v48 dst_sel:WORD_1 dst_unused:UNUSED_PAD src0_sel:BYTE_1 src1_sel:DWORD
	v_dot4c_i32_i8_e32 v59, v47, v11
	v_or_b32_sdwa v9, v9, v10 dst_sel:DWORD dst_unused:UNUSED_PAD src0_sel:WORD_0 src1_sel:DWORD
	v_dot4c_i32_i8_e32 v59, v9, v4
	v_and_b32_e32 v4, 0x1ff, v56
	v_lshlrev_b32_sdwa v4, v38, v4 dst_sel:DWORD dst_unused:UNUSED_PAD src0_sel:DWORD src1_sel:WORD_0
	global_load_dwordx2 v[10:11], v4, s[20:21]
	v_lshrrev_b16_e32 v4, 9, v56
	v_bcnt_u32_b32 v9, v4, 0
	v_and_b32_e32 v9, 1, v9
	v_lshl_or_b32 v9, v9, 7, v4
	v_mul_lo_u32 v9, v9, s29
	v_and_b32_e32 v47, 0x8000000, v9
	v_lshrrev_b32_e32 v49, 8, v9
	v_lshrrev_b16_e32 v50, 1, v49
	v_cmp_ne_u16_sdwa s[34:35], v47, v15 src0_sel:BYTE_3 src1_sel:DWORD
	v_lshlrev_b16_e32 v48, 6, v56
	v_bfe_i32 v50, v50, 0, 1
	v_lshrrev_b32_e32 v56, 18, v9
	v_cndmask_b32_e64 v47, 0, -1, s[34:35]
	v_ashrrev_i16_e32 v48, 15, v48
	v_bfe_i32 v56, v56, 0, 1
	v_lshlrev_b16_e32 v47, 8, v47
	v_lshlrev_b16_e32 v50, 8, v50
	v_or_b32_sdwa v60, v56, v47 dst_sel:WORD_1 dst_unused:UNUSED_PAD src0_sel:BYTE_0 src1_sel:DWORD
	v_or_b32_sdwa v61, v48, v50 dst_sel:DWORD dst_unused:UNUSED_PAD src0_sel:BYTE_0 src1_sel:DWORD
	v_or_b32_sdwa v60, v61, v60 dst_sel:DWORD dst_unused:UNUSED_PAD src0_sel:WORD_0 src1_sel:DWORD
	v_lshlrev_b16_e32 v48, 8, v48
	v_bfe_i32 v4, v4, 4, 1
	s_waitcnt vmcnt(0)
	v_xor_b32_e32 v10, v10, v60
	v_and_b32_e32 v60, 0xffffff00, v10
	v_sub_i16 v50, v60, v50 clamp
	v_lshlrev_b16_e32 v60, 8, v10
	v_and_b32_e32 v50, 0xffffff00, v50
	v_sub_i16 v48, v60, v48 clamp
	v_or_b32_sdwa v48, v48, v50 dst_sel:DWORD dst_unused:UNUSED_PAD src0_sel:BYTE_1 src1_sel:DWORD
	v_and_b32_sdwa v50, v10, s30 dst_sel:DWORD dst_unused:UNUSED_PAD src0_sel:WORD_1 src1_sel:DWORD
	v_sub_i16 v47, v50, v47 clamp
	v_lshlrev_b16_sdwa v10, v39, v10 dst_sel:DWORD dst_unused:UNUSED_PAD src0_sel:DWORD src1_sel:WORD_1
	v_lshlrev_b16_e32 v50, 8, v56
	v_and_b32_e32 v47, 0xffffff00, v47
	v_sub_i16 v10, v10, v50 clamp
	v_or_b32_sdwa v10, v10, v47 dst_sel:WORD_1 dst_unused:UNUSED_PAD src0_sel:BYTE_1 src1_sel:DWORD
	v_and_b32_e32 v47, 0x80000000, v9
	v_or_b32_sdwa v10, v48, v10 dst_sel:DWORD dst_unused:UNUSED_PAD src0_sel:WORD_0 src1_sel:DWORD
	v_lshrrev_b16_e32 v48, 5, v49
	v_cmp_ne_u16_sdwa s[34:35], v47, v15 src0_sel:BYTE_3 src1_sel:DWORD
	v_bfe_i32 v48, v48, 0, 1
	v_lshrrev_b32_e32 v9, 22, v9
	v_cndmask_b32_e64 v47, 0, -1, s[34:35]
	v_bfe_i32 v9, v9, 0, 1
	v_lshlrev_b16_e32 v47, 8, v47
	v_lshlrev_b16_e32 v48, 8, v48
	v_or_b32_sdwa v49, v9, v47 dst_sel:WORD_1 dst_unused:UNUSED_PAD src0_sel:BYTE_0 src1_sel:DWORD
	v_or_b32_sdwa v50, v4, v48 dst_sel:DWORD dst_unused:UNUSED_PAD src0_sel:BYTE_0 src1_sel:DWORD
	v_or_b32_sdwa v49, v50, v49 dst_sel:DWORD dst_unused:UNUSED_PAD src0_sel:WORD_0 src1_sel:DWORD
	v_xor_b32_e32 v11, v11, v49
	v_and_b32_e32 v49, 0xffffff00, v11
	v_sub_i16 v48, v49, v48 clamp
	v_lshlrev_b16_e32 v49, 8, v11
	v_lshlrev_b16_e32 v4, 8, v4
	v_and_b32_e32 v48, 0xffffff00, v48
	v_sub_i16 v4, v49, v4 clamp
	v_or_b32_sdwa v4, v4, v48 dst_sel:DWORD dst_unused:UNUSED_PAD src0_sel:BYTE_1 src1_sel:DWORD
	v_and_b32_sdwa v48, v11, s30 dst_sel:DWORD dst_unused:UNUSED_PAD src0_sel:WORD_1 src1_sel:DWORD
	v_sub_i16 v47, v48, v47 clamp
	v_lshlrev_b16_sdwa v11, v39, v11 dst_sel:DWORD dst_unused:UNUSED_PAD src0_sel:DWORD src1_sel:WORD_1
	v_lshlrev_b16_e32 v9, 8, v9
	v_and_b32_e32 v47, 0xffffff00, v47
	v_sub_i16 v9, v11, v9 clamp
	v_or_b32_sdwa v9, v9, v47 dst_sel:WORD_1 dst_unused:UNUSED_PAD src0_sel:BYTE_1 src1_sel:DWORD
	v_lshlrev_b16_e32 v47, 6, v57
	v_or_b32_sdwa v4, v4, v9 dst_sel:DWORD dst_unused:UNUSED_PAD src0_sel:WORD_0 src1_sel:DWORD
	v_mov_b32_e32 v9, 0
	v_dot4c_i32_i8_e32 v9, v10, v5
	v_dot4c_i32_i8_e32 v9, v4, v6
	v_and_b32_e32 v4, 0x1ff, v57
	v_lshlrev_b32_sdwa v4, v38, v4 dst_sel:DWORD dst_unused:UNUSED_PAD src0_sel:DWORD src1_sel:WORD_0
	global_load_dwordx2 v[4:5], v4, s[20:21]
	v_lshrrev_b16_e32 v6, 9, v57
	v_bcnt_u32_b32 v10, v6, 0
	v_and_b32_e32 v10, 1, v10
	v_lshl_or_b32 v10, v10, 7, v6
	v_mul_lo_u32 v10, v10, s29
	v_and_b32_e32 v11, 0x8000000, v10
	v_lshrrev_b32_e32 v48, 8, v10
	v_lshrrev_b16_e32 v49, 1, v48
	v_cmp_ne_u16_sdwa s[34:35], v11, v15 src0_sel:BYTE_3 src1_sel:DWORD
	v_bfe_i32 v49, v49, 0, 1
	v_lshrrev_b32_e32 v50, 18, v10
	v_cndmask_b32_e64 v11, 0, -1, s[34:35]
	v_ashrrev_i16_e32 v47, 15, v47
	v_bfe_i32 v50, v50, 0, 1
	v_lshlrev_b16_e32 v11, 8, v11
	v_lshlrev_b16_e32 v49, 8, v49
	v_or_b32_sdwa v56, v50, v11 dst_sel:WORD_1 dst_unused:UNUSED_PAD src0_sel:BYTE_0 src1_sel:DWORD
	v_or_b32_sdwa v57, v47, v49 dst_sel:DWORD dst_unused:UNUSED_PAD src0_sel:BYTE_0 src1_sel:DWORD
	v_or_b32_sdwa v56, v57, v56 dst_sel:DWORD dst_unused:UNUSED_PAD src0_sel:WORD_0 src1_sel:DWORD
	v_lshlrev_b16_e32 v47, 8, v47
	v_bfe_i32 v6, v6, 4, 1
	s_waitcnt vmcnt(0)
	v_xor_b32_e32 v4, v4, v56
	v_and_b32_e32 v56, 0xffffff00, v4
	v_sub_i16 v49, v56, v49 clamp
	v_lshlrev_b16_e32 v56, 8, v4
	v_and_b32_e32 v49, 0xffffff00, v49
	v_sub_i16 v47, v56, v47 clamp
	v_or_b32_sdwa v47, v47, v49 dst_sel:DWORD dst_unused:UNUSED_PAD src0_sel:BYTE_1 src1_sel:DWORD
	v_and_b32_sdwa v49, v4, s30 dst_sel:DWORD dst_unused:UNUSED_PAD src0_sel:WORD_1 src1_sel:DWORD
	v_sub_i16 v11, v49, v11 clamp
	v_lshlrev_b16_sdwa v4, v39, v4 dst_sel:DWORD dst_unused:UNUSED_PAD src0_sel:DWORD src1_sel:WORD_1
	v_lshlrev_b16_e32 v49, 8, v50
	v_and_b32_e32 v11, 0xffffff00, v11
	v_sub_i16 v4, v4, v49 clamp
	v_or_b32_sdwa v4, v4, v11 dst_sel:WORD_1 dst_unused:UNUSED_PAD src0_sel:BYTE_1 src1_sel:DWORD
	v_and_b32_e32 v11, 0x80000000, v10
	v_or_b32_sdwa v4, v47, v4 dst_sel:DWORD dst_unused:UNUSED_PAD src0_sel:WORD_0 src1_sel:DWORD
	v_lshrrev_b16_e32 v47, 5, v48
	v_cmp_ne_u16_sdwa s[34:35], v11, v15 src0_sel:BYTE_3 src1_sel:DWORD
	v_bfe_i32 v47, v47, 0, 1
	v_lshrrev_b32_e32 v10, 22, v10
	v_cndmask_b32_e64 v11, 0, -1, s[34:35]
	v_bfe_i32 v10, v10, 0, 1
	v_lshlrev_b16_e32 v11, 8, v11
	v_lshlrev_b16_e32 v47, 8, v47
	v_or_b32_sdwa v48, v10, v11 dst_sel:WORD_1 dst_unused:UNUSED_PAD src0_sel:BYTE_0 src1_sel:DWORD
	v_or_b32_sdwa v49, v6, v47 dst_sel:DWORD dst_unused:UNUSED_PAD src0_sel:BYTE_0 src1_sel:DWORD
	v_or_b32_sdwa v48, v49, v48 dst_sel:DWORD dst_unused:UNUSED_PAD src0_sel:WORD_0 src1_sel:DWORD
	v_xor_b32_e32 v5, v5, v48
	v_and_b32_e32 v48, 0xffffff00, v5
	v_sub_i16 v47, v48, v47 clamp
	v_lshlrev_b16_e32 v48, 8, v5
	v_lshlrev_b16_e32 v6, 8, v6
	v_and_b32_e32 v47, 0xffffff00, v47
	v_sub_i16 v6, v48, v6 clamp
	v_or_b32_sdwa v6, v6, v47 dst_sel:DWORD dst_unused:UNUSED_PAD src0_sel:BYTE_1 src1_sel:DWORD
	v_and_b32_sdwa v47, v5, s30 dst_sel:DWORD dst_unused:UNUSED_PAD src0_sel:WORD_1 src1_sel:DWORD
	v_sub_i16 v11, v47, v11 clamp
	v_lshlrev_b16_sdwa v5, v39, v5 dst_sel:DWORD dst_unused:UNUSED_PAD src0_sel:DWORD src1_sel:WORD_1
	v_lshlrev_b16_e32 v10, 8, v10
	v_and_b32_e32 v11, 0xffffff00, v11
	v_sub_i16 v5, v5, v10 clamp
	v_or_b32_sdwa v5, v5, v11 dst_sel:WORD_1 dst_unused:UNUSED_PAD src0_sel:BYTE_1 src1_sel:DWORD
	v_add_u32_e32 v10, v58, v62
	v_or_b32_sdwa v5, v6, v5 dst_sel:DWORD dst_unused:UNUSED_PAD src0_sel:WORD_0 src1_sel:DWORD
	v_dot4c_i32_i8_e32 v9, v4, v7
	v_lshrrev_b32_e32 v11, 31, v10
	v_dot4c_i32_i8_e32 v9, v5, v55
	v_add_u32_e32 v10, v10, v11
	v_mul_lo_u32 v4, v62, v54
	v_mul_lo_u32 v6, v58, v52
	;; [unrolled: 1-line block ×3, first 2 shown]
	v_add_u32_e32 v9, v9, v59
	v_ashrrev_i32_e32 v10, 1, v10
	v_lshrrev_b32_e32 v11, 31, v9
	v_add3_u32 v4, v6, v4, v10
	v_add_u32_e32 v9, v9, v11
	v_ashrrev_i32_e32 v6, 31, v4
	v_mul_lo_u32 v5, v59, v53
	v_ashrrev_i32_e32 v9, 1, v9
	v_lshrrev_b32_e32 v6, 30, v6
	v_add3_u32 v5, v7, v5, v9
	v_add_u32_e32 v4, v4, v6
	v_ashrrev_i32_e32 v6, 2, v4
	v_ashrrev_i32_e32 v4, 31, v5
	v_lshrrev_b32_e32 v4, 30, v4
	v_add_u32_e32 v4, v5, v4
	v_ashrrev_i32_e32 v7, 2, v4
	v_cvt_f32_i32_e32 v7, v7
	v_cvt_f32_i32_e32 v6, v6
	v_pk_mul_f32 v[4:5], v[8:9], v[34:35] op_sel_hi:[0,1]
	v_mov_b32_e32 v52, 0
	v_pk_fma_f32 v[2:3], v[4:5], v[6:7], v[2:3]
	scratch_store_dwordx4 off, v[0:3], off
	s_nop 1
	v_add_u32_e32 v0, s22, v37
	v_mad_u64_u32 v[0:1], s[34:35], v0, 36, s[24:25]
	v_mad_u64_u32 v[8:9], s[34:35], v14, 36, v[0:1]
	global_load_dword v53, v[8:9], off offset:32
	global_load_dwordx4 v[0:3], v[8:9], off offset:16
	global_load_dwordx4 v[4:7], v[8:9], off
	global_load_ushort v10, v[30:31], off offset:2
	s_waitcnt vmcnt(1)
	v_cvt_f32_f16_e32 v4, v4
	s_waitcnt vmcnt(0)
	v_and_b32_e32 v8, 0x1ff, v10
	v_lshlrev_b32_sdwa v8, v38, v8 dst_sel:DWORD dst_unused:UNUSED_PAD src0_sel:DWORD src1_sel:WORD_0
	global_load_dwordx2 v[8:9], v8, s[20:21]
	v_lshrrev_b16_e32 v11, 9, v10
	v_bcnt_u32_b32 v34, v11, 0
	v_and_b32_e32 v34, 1, v34
	v_lshl_or_b32 v34, v34, 7, v11
	v_mul_lo_u32 v34, v34, s29
	v_and_b32_e32 v35, 0x8000000, v34
	v_lshrrev_b32_e32 v47, 8, v34
	v_lshrrev_b16_e32 v48, 1, v47
	v_cmp_ne_u16_sdwa s[34:35], v35, v15 src0_sel:BYTE_3 src1_sel:DWORD
	v_lshlrev_b16_e32 v10, 6, v10
	v_bfe_i32 v48, v48, 0, 1
	v_lshrrev_b32_e32 v49, 18, v34
	v_cndmask_b32_e64 v35, 0, -1, s[34:35]
	v_ashrrev_i16_e32 v10, 15, v10
	v_bfe_i32 v49, v49, 0, 1
	v_lshlrev_b16_e32 v35, 8, v35
	v_lshlrev_b16_e32 v48, 8, v48
	v_or_b32_sdwa v50, v49, v35 dst_sel:WORD_1 dst_unused:UNUSED_PAD src0_sel:BYTE_0 src1_sel:DWORD
	v_or_b32_sdwa v51, v10, v48 dst_sel:DWORD dst_unused:UNUSED_PAD src0_sel:BYTE_0 src1_sel:DWORD
	v_or_b32_sdwa v50, v51, v50 dst_sel:DWORD dst_unused:UNUSED_PAD src0_sel:WORD_0 src1_sel:DWORD
	v_lshlrev_b16_e32 v10, 8, v10
	v_bfe_i32 v11, v11, 4, 1
	s_waitcnt vmcnt(0)
	v_xor_b32_e32 v8, v8, v50
	v_and_b32_e32 v50, 0xffffff00, v8
	v_sub_i16 v48, v50, v48 clamp
	v_lshlrev_b16_e32 v50, 8, v8
	v_and_b32_e32 v48, 0xffffff00, v48
	v_sub_i16 v10, v50, v10 clamp
	v_or_b32_sdwa v10, v10, v48 dst_sel:DWORD dst_unused:UNUSED_PAD src0_sel:BYTE_1 src1_sel:DWORD
	v_and_b32_sdwa v48, v8, s30 dst_sel:DWORD dst_unused:UNUSED_PAD src0_sel:WORD_1 src1_sel:DWORD
	v_sub_i16 v35, v48, v35 clamp
	v_lshlrev_b16_sdwa v8, v39, v8 dst_sel:DWORD dst_unused:UNUSED_PAD src0_sel:DWORD src1_sel:WORD_1
	v_lshlrev_b16_e32 v48, 8, v49
	v_and_b32_e32 v35, 0xffffff00, v35
	v_sub_i16 v8, v8, v48 clamp
	v_or_b32_sdwa v8, v8, v35 dst_sel:WORD_1 dst_unused:UNUSED_PAD src0_sel:BYTE_1 src1_sel:DWORD
	v_lshrrev_b16_e32 v35, 5, v47
	v_or_b32_sdwa v8, v10, v8 dst_sel:DWORD dst_unused:UNUSED_PAD src0_sel:WORD_0 src1_sel:DWORD
	v_and_b32_e32 v10, 0x80000000, v34
	v_cmp_ne_u16_sdwa s[34:35], v10, v15 src0_sel:BYTE_3 src1_sel:DWORD
	v_bfe_i32 v35, v35, 0, 1
	v_lshrrev_b32_e32 v34, 22, v34
	v_cndmask_b32_e64 v10, 0, -1, s[34:35]
	v_bfe_i32 v34, v34, 0, 1
	v_lshlrev_b16_e32 v10, 8, v10
	v_lshlrev_b16_e32 v35, 8, v35
	v_or_b32_sdwa v47, v34, v10 dst_sel:WORD_1 dst_unused:UNUSED_PAD src0_sel:BYTE_0 src1_sel:DWORD
	v_or_b32_sdwa v48, v11, v35 dst_sel:DWORD dst_unused:UNUSED_PAD src0_sel:BYTE_0 src1_sel:DWORD
	v_or_b32_sdwa v47, v48, v47 dst_sel:DWORD dst_unused:UNUSED_PAD src0_sel:WORD_0 src1_sel:DWORD
	v_xor_b32_e32 v9, v9, v47
	v_and_b32_e32 v47, 0xffffff00, v9
	v_sub_i16 v35, v47, v35 clamp
	v_lshlrev_b16_e32 v47, 8, v9
	v_lshlrev_b16_e32 v11, 8, v11
	v_and_b32_e32 v35, 0xffffff00, v35
	v_sub_i16 v11, v47, v11 clamp
	v_or_b32_sdwa v11, v11, v35 dst_sel:DWORD dst_unused:UNUSED_PAD src0_sel:BYTE_1 src1_sel:DWORD
	v_and_b32_sdwa v35, v9, s30 dst_sel:DWORD dst_unused:UNUSED_PAD src0_sel:WORD_1 src1_sel:DWORD
	v_lshlrev_b16_sdwa v9, v39, v9 dst_sel:DWORD dst_unused:UNUSED_PAD src0_sel:DWORD src1_sel:WORD_1
	v_lshlrev_b16_e32 v34, 8, v34
	v_sub_i16 v9, v9, v34 clamp
	global_load_ushort v34, v[30:31], off offset:4
	v_sub_i16 v10, v35, v10 clamp
	v_and_b32_e32 v10, 0xffffff00, v10
	v_or_b32_sdwa v9, v9, v10 dst_sel:WORD_1 dst_unused:UNUSED_PAD src0_sel:BYTE_1 src1_sel:DWORD
	v_dot4c_i32_i8_e32 v52, v8, v5
	v_or_b32_sdwa v9, v11, v9 dst_sel:DWORD dst_unused:UNUSED_PAD src0_sel:WORD_0 src1_sel:DWORD
	v_dot4c_i32_i8_e32 v52, v9, v6
	s_waitcnt vmcnt(0)
	v_and_b32_e32 v10, 0x1ff, v34
	v_lshlrev_b32_sdwa v10, v38, v10 dst_sel:DWORD dst_unused:UNUSED_PAD src0_sel:DWORD src1_sel:WORD_0
	global_load_dwordx2 v[10:11], v10, s[20:21]
	v_lshrrev_b16_e32 v35, 9, v34
	v_bcnt_u32_b32 v47, v35, 0
	v_and_b32_e32 v47, 1, v47
	v_lshl_or_b32 v47, v47, 7, v35
	v_mul_lo_u32 v47, v47, s29
	v_and_b32_e32 v48, 0x8000000, v47
	v_lshrrev_b32_e32 v49, 8, v47
	v_lshrrev_b16_e32 v50, 1, v49
	v_cmp_ne_u16_sdwa s[34:35], v48, v15 src0_sel:BYTE_3 src1_sel:DWORD
	v_lshlrev_b16_e32 v34, 6, v34
	v_bfe_i32 v50, v50, 0, 1
	v_lshrrev_b32_e32 v51, 18, v47
	v_cndmask_b32_e64 v48, 0, -1, s[34:35]
	v_ashrrev_i16_e32 v34, 15, v34
	v_bfe_i32 v51, v51, 0, 1
	v_lshlrev_b16_e32 v48, 8, v48
	v_lshlrev_b16_e32 v50, 8, v50
	v_or_b32_sdwa v54, v51, v48 dst_sel:WORD_1 dst_unused:UNUSED_PAD src0_sel:BYTE_0 src1_sel:DWORD
	v_or_b32_sdwa v55, v34, v50 dst_sel:DWORD dst_unused:UNUSED_PAD src0_sel:BYTE_0 src1_sel:DWORD
	v_or_b32_sdwa v54, v55, v54 dst_sel:DWORD dst_unused:UNUSED_PAD src0_sel:WORD_0 src1_sel:DWORD
	v_lshlrev_b16_e32 v34, 8, v34
	v_bfe_i32 v35, v35, 4, 1
	s_waitcnt vmcnt(0)
	v_xor_b32_e32 v10, v10, v54
	v_and_b32_e32 v54, 0xffffff00, v10
	v_sub_i16 v50, v54, v50 clamp
	v_lshlrev_b16_e32 v54, 8, v10
	v_and_b32_e32 v50, 0xffffff00, v50
	v_sub_i16 v34, v54, v34 clamp
	v_or_b32_sdwa v34, v34, v50 dst_sel:DWORD dst_unused:UNUSED_PAD src0_sel:BYTE_1 src1_sel:DWORD
	v_and_b32_sdwa v50, v10, s30 dst_sel:DWORD dst_unused:UNUSED_PAD src0_sel:WORD_1 src1_sel:DWORD
	v_sub_i16 v48, v50, v48 clamp
	v_lshlrev_b16_sdwa v10, v39, v10 dst_sel:DWORD dst_unused:UNUSED_PAD src0_sel:DWORD src1_sel:WORD_1
	v_lshlrev_b16_e32 v50, 8, v51
	v_and_b32_e32 v48, 0xffffff00, v48
	v_sub_i16 v10, v10, v50 clamp
	v_or_b32_sdwa v10, v10, v48 dst_sel:WORD_1 dst_unused:UNUSED_PAD src0_sel:BYTE_1 src1_sel:DWORD
	v_lshrrev_b16_e32 v48, 5, v49
	v_or_b32_sdwa v10, v34, v10 dst_sel:DWORD dst_unused:UNUSED_PAD src0_sel:WORD_0 src1_sel:DWORD
	v_and_b32_e32 v34, 0x80000000, v47
	v_cmp_ne_u16_sdwa s[34:35], v34, v15 src0_sel:BYTE_3 src1_sel:DWORD
	v_bfe_i32 v48, v48, 0, 1
	v_lshrrev_b32_e32 v47, 22, v47
	v_cndmask_b32_e64 v34, 0, -1, s[34:35]
	v_bfe_i32 v47, v47, 0, 1
	v_lshlrev_b16_e32 v34, 8, v34
	v_lshlrev_b16_e32 v48, 8, v48
	v_or_b32_sdwa v49, v47, v34 dst_sel:WORD_1 dst_unused:UNUSED_PAD src0_sel:BYTE_0 src1_sel:DWORD
	v_or_b32_sdwa v50, v35, v48 dst_sel:DWORD dst_unused:UNUSED_PAD src0_sel:BYTE_0 src1_sel:DWORD
	v_or_b32_sdwa v49, v50, v49 dst_sel:DWORD dst_unused:UNUSED_PAD src0_sel:WORD_0 src1_sel:DWORD
	v_xor_b32_e32 v11, v11, v49
	v_and_b32_e32 v49, 0xffffff00, v11
	v_sub_i16 v48, v49, v48 clamp
	v_lshlrev_b16_e32 v49, 8, v11
	v_lshlrev_b16_e32 v35, 8, v35
	v_and_b32_e32 v48, 0xffffff00, v48
	v_sub_i16 v35, v49, v35 clamp
	v_or_b32_sdwa v35, v35, v48 dst_sel:DWORD dst_unused:UNUSED_PAD src0_sel:BYTE_1 src1_sel:DWORD
	v_and_b32_sdwa v48, v11, s30 dst_sel:DWORD dst_unused:UNUSED_PAD src0_sel:WORD_1 src1_sel:DWORD
	v_lshlrev_b16_sdwa v11, v39, v11 dst_sel:DWORD dst_unused:UNUSED_PAD src0_sel:DWORD src1_sel:WORD_1
	v_lshlrev_b16_e32 v47, 8, v47
	v_sub_i16 v11, v11, v47 clamp
	global_load_ushort v47, v[30:31], off offset:6
	v_sub_i16 v34, v48, v34 clamp
	v_and_b32_e32 v34, 0xffffff00, v34
	v_or_b32_sdwa v11, v11, v34 dst_sel:WORD_1 dst_unused:UNUSED_PAD src0_sel:BYTE_1 src1_sel:DWORD
	v_dot4c_i32_i8_e32 v52, v10, v7
	v_or_b32_sdwa v11, v35, v11 dst_sel:DWORD dst_unused:UNUSED_PAD src0_sel:WORD_0 src1_sel:DWORD
	v_dot4c_i32_i8_e32 v52, v11, v0
	s_waitcnt vmcnt(0)
	v_and_b32_e32 v34, 0x1ff, v47
	v_lshlrev_b32_sdwa v34, v38, v34 dst_sel:DWORD dst_unused:UNUSED_PAD src0_sel:DWORD src1_sel:WORD_0
	global_load_dwordx2 v[34:35], v34, s[20:21]
	v_lshrrev_b16_e32 v48, 9, v47
	v_bcnt_u32_b32 v49, v48, 0
	v_and_b32_e32 v49, 1, v49
	v_lshl_or_b32 v49, v49, 7, v48
	v_mul_lo_u32 v49, v49, s29
	v_and_b32_e32 v50, 0x8000000, v49
	v_lshrrev_b32_e32 v51, 8, v49
	v_lshrrev_b16_e32 v54, 1, v51
	v_cmp_ne_u16_sdwa s[34:35], v50, v15 src0_sel:BYTE_3 src1_sel:DWORD
	v_lshlrev_b16_e32 v47, 6, v47
	v_bfe_i32 v54, v54, 0, 1
	v_lshrrev_b32_e32 v55, 18, v49
	v_cndmask_b32_e64 v50, 0, -1, s[34:35]
	v_ashrrev_i16_e32 v47, 15, v47
	v_bfe_i32 v55, v55, 0, 1
	v_lshlrev_b16_e32 v50, 8, v50
	v_lshlrev_b16_e32 v54, 8, v54
	v_or_b32_sdwa v56, v55, v50 dst_sel:WORD_1 dst_unused:UNUSED_PAD src0_sel:BYTE_0 src1_sel:DWORD
	v_or_b32_sdwa v57, v47, v54 dst_sel:DWORD dst_unused:UNUSED_PAD src0_sel:BYTE_0 src1_sel:DWORD
	v_or_b32_sdwa v56, v57, v56 dst_sel:DWORD dst_unused:UNUSED_PAD src0_sel:WORD_0 src1_sel:DWORD
	v_lshlrev_b16_e32 v47, 8, v47
	v_bfe_i32 v48, v48, 4, 1
	s_waitcnt vmcnt(0)
	v_xor_b32_e32 v34, v34, v56
	v_and_b32_e32 v56, 0xffffff00, v34
	v_sub_i16 v54, v56, v54 clamp
	v_lshlrev_b16_e32 v56, 8, v34
	v_and_b32_e32 v54, 0xffffff00, v54
	v_sub_i16 v47, v56, v47 clamp
	v_or_b32_sdwa v47, v47, v54 dst_sel:DWORD dst_unused:UNUSED_PAD src0_sel:BYTE_1 src1_sel:DWORD
	v_and_b32_sdwa v54, v34, s30 dst_sel:DWORD dst_unused:UNUSED_PAD src0_sel:WORD_1 src1_sel:DWORD
	v_sub_i16 v50, v54, v50 clamp
	v_lshlrev_b16_sdwa v34, v39, v34 dst_sel:DWORD dst_unused:UNUSED_PAD src0_sel:DWORD src1_sel:WORD_1
	v_lshlrev_b16_e32 v54, 8, v55
	v_and_b32_e32 v50, 0xffffff00, v50
	v_sub_i16 v34, v34, v54 clamp
	v_or_b32_sdwa v34, v34, v50 dst_sel:WORD_1 dst_unused:UNUSED_PAD src0_sel:BYTE_1 src1_sel:DWORD
	v_lshrrev_b16_e32 v50, 5, v51
	v_or_b32_sdwa v47, v47, v34 dst_sel:DWORD dst_unused:UNUSED_PAD src0_sel:WORD_0 src1_sel:DWORD
	v_and_b32_e32 v34, 0x80000000, v49
	v_cmp_ne_u16_sdwa s[34:35], v34, v15 src0_sel:BYTE_3 src1_sel:DWORD
	v_bfe_i32 v50, v50, 0, 1
	v_lshrrev_b32_e32 v49, 22, v49
	v_cndmask_b32_e64 v34, 0, -1, s[34:35]
	v_bfe_i32 v49, v49, 0, 1
	v_lshlrev_b16_e32 v34, 8, v34
	v_lshlrev_b16_e32 v50, 8, v50
	v_or_b32_sdwa v51, v49, v34 dst_sel:WORD_1 dst_unused:UNUSED_PAD src0_sel:BYTE_0 src1_sel:DWORD
	v_or_b32_sdwa v55, v48, v50 dst_sel:DWORD dst_unused:UNUSED_PAD src0_sel:BYTE_0 src1_sel:DWORD
	v_or_b32_sdwa v51, v55, v51 dst_sel:DWORD dst_unused:UNUSED_PAD src0_sel:WORD_0 src1_sel:DWORD
	v_xor_b32_e32 v35, v35, v51
	v_and_b32_e32 v51, 0xffffff00, v35
	v_sub_i16 v50, v51, v50 clamp
	v_lshlrev_b16_e32 v51, 8, v35
	v_lshlrev_b16_e32 v48, 8, v48
	v_and_b32_e32 v50, 0xffffff00, v50
	v_sub_i16 v48, v51, v48 clamp
	v_or_b32_sdwa v48, v48, v50 dst_sel:DWORD dst_unused:UNUSED_PAD src0_sel:BYTE_1 src1_sel:DWORD
	v_and_b32_sdwa v50, v35, s30 dst_sel:DWORD dst_unused:UNUSED_PAD src0_sel:WORD_1 src1_sel:DWORD
	v_sub_i16 v34, v50, v34 clamp
	v_lshlrev_b16_sdwa v35, v39, v35 dst_sel:DWORD dst_unused:UNUSED_PAD src0_sel:DWORD src1_sel:WORD_1
	v_lshlrev_b16_e32 v49, 8, v49
	v_and_b32_e32 v34, 0xffffff00, v34
	v_sub_i16 v35, v35, v49 clamp
	v_or_b32_sdwa v34, v35, v34 dst_sel:WORD_1 dst_unused:UNUSED_PAD src0_sel:BYTE_1 src1_sel:DWORD
	v_mov_b32_e32 v54, 0
	v_or_b32_sdwa v48, v48, v34 dst_sel:DWORD dst_unused:UNUSED_PAD src0_sel:WORD_0 src1_sel:DWORD
	global_load_ushort v34, v[30:31], off offset:8
	v_dot4c_i32_i8_e32 v54, v47, v1
	v_dot4c_i32_i8_e32 v54, v48, v2
	s_waitcnt vmcnt(0)
	v_and_b32_e32 v30, 0x1ff, v34
	v_lshlrev_b32_sdwa v30, v38, v30 dst_sel:DWORD dst_unused:UNUSED_PAD src0_sel:DWORD src1_sel:WORD_0
	global_load_dwordx2 v[30:31], v30, s[20:21]
	v_lshrrev_b16_e32 v35, 9, v34
	v_bcnt_u32_b32 v49, v35, 0
	v_and_b32_e32 v49, 1, v49
	v_lshl_or_b32 v49, v49, 7, v35
	v_mul_lo_u32 v49, v49, s29
	v_and_b32_e32 v50, 0x8000000, v49
	v_lshrrev_b32_e32 v51, 8, v49
	v_lshrrev_b16_e32 v55, 1, v51
	v_cmp_ne_u16_sdwa s[34:35], v50, v15 src0_sel:BYTE_3 src1_sel:DWORD
	v_lshlrev_b16_e32 v34, 6, v34
	v_bfe_i32 v55, v55, 0, 1
	v_lshrrev_b32_e32 v56, 18, v49
	v_cndmask_b32_e64 v50, 0, -1, s[34:35]
	v_ashrrev_i16_e32 v34, 15, v34
	v_bfe_i32 v56, v56, 0, 1
	v_lshlrev_b16_e32 v50, 8, v50
	v_lshlrev_b16_e32 v55, 8, v55
	v_or_b32_sdwa v57, v56, v50 dst_sel:WORD_1 dst_unused:UNUSED_PAD src0_sel:BYTE_0 src1_sel:DWORD
	v_or_b32_sdwa v58, v34, v55 dst_sel:DWORD dst_unused:UNUSED_PAD src0_sel:BYTE_0 src1_sel:DWORD
	v_or_b32_sdwa v57, v58, v57 dst_sel:DWORD dst_unused:UNUSED_PAD src0_sel:WORD_0 src1_sel:DWORD
	v_lshlrev_b16_e32 v34, 8, v34
	v_bfe_i32 v35, v35, 4, 1
	s_waitcnt vmcnt(0)
	v_xor_b32_e32 v30, v30, v57
	v_and_b32_e32 v57, 0xffffff00, v30
	v_sub_i16 v55, v57, v55 clamp
	v_lshlrev_b16_e32 v57, 8, v30
	v_and_b32_e32 v55, 0xffffff00, v55
	v_sub_i16 v34, v57, v34 clamp
	v_or_b32_sdwa v34, v34, v55 dst_sel:DWORD dst_unused:UNUSED_PAD src0_sel:BYTE_1 src1_sel:DWORD
	v_and_b32_sdwa v55, v30, s30 dst_sel:DWORD dst_unused:UNUSED_PAD src0_sel:WORD_1 src1_sel:DWORD
	v_sub_i16 v50, v55, v50 clamp
	v_lshlrev_b16_sdwa v30, v39, v30 dst_sel:DWORD dst_unused:UNUSED_PAD src0_sel:DWORD src1_sel:WORD_1
	v_lshlrev_b16_e32 v55, 8, v56
	v_and_b32_e32 v50, 0xffffff00, v50
	v_sub_i16 v30, v30, v55 clamp
	v_or_b32_sdwa v30, v30, v50 dst_sel:WORD_1 dst_unused:UNUSED_PAD src0_sel:BYTE_1 src1_sel:DWORD
	v_lshrrev_b16_e32 v50, 5, v51
	v_or_b32_sdwa v34, v34, v30 dst_sel:DWORD dst_unused:UNUSED_PAD src0_sel:WORD_0 src1_sel:DWORD
	v_and_b32_e32 v30, 0x80000000, v49
	v_cmp_ne_u16_sdwa s[34:35], v30, v15 src0_sel:BYTE_3 src1_sel:DWORD
	v_bfe_i32 v50, v50, 0, 1
	v_lshrrev_b32_e32 v49, 22, v49
	v_cndmask_b32_e64 v30, 0, -1, s[34:35]
	v_bfe_i32 v49, v49, 0, 1
	v_lshlrev_b16_e32 v30, 8, v30
	v_lshlrev_b16_e32 v50, 8, v50
	v_or_b32_sdwa v51, v49, v30 dst_sel:WORD_1 dst_unused:UNUSED_PAD src0_sel:BYTE_0 src1_sel:DWORD
	v_or_b32_sdwa v55, v35, v50 dst_sel:DWORD dst_unused:UNUSED_PAD src0_sel:BYTE_0 src1_sel:DWORD
	v_or_b32_sdwa v51, v55, v51 dst_sel:DWORD dst_unused:UNUSED_PAD src0_sel:WORD_0 src1_sel:DWORD
	v_xor_b32_e32 v31, v31, v51
	v_and_b32_e32 v51, 0xffffff00, v31
	v_sub_i16 v50, v51, v50 clamp
	v_lshlrev_b16_e32 v51, 8, v31
	v_lshlrev_b16_e32 v35, 8, v35
	v_and_b32_e32 v50, 0xffffff00, v50
	v_sub_i16 v35, v51, v35 clamp
	v_or_b32_sdwa v35, v35, v50 dst_sel:DWORD dst_unused:UNUSED_PAD src0_sel:BYTE_1 src1_sel:DWORD
	v_and_b32_sdwa v50, v31, s30 dst_sel:DWORD dst_unused:UNUSED_PAD src0_sel:WORD_1 src1_sel:DWORD
	v_lshlrev_b16_sdwa v31, v39, v31 dst_sel:DWORD dst_unused:UNUSED_PAD src0_sel:DWORD src1_sel:WORD_1
	v_lshlrev_b16_e32 v49, 8, v49
	v_sub_i16 v31, v31, v49 clamp
	global_load_ushort v49, v[32:33], off offset:2
	v_sub_i16 v30, v50, v30 clamp
	v_and_b32_e32 v30, 0xffffff00, v30
	v_or_b32_sdwa v30, v31, v30 dst_sel:WORD_1 dst_unused:UNUSED_PAD src0_sel:BYTE_1 src1_sel:DWORD
	v_dot4c_i32_i8_e32 v54, v34, v3
	v_or_b32_sdwa v35, v35, v30 dst_sel:DWORD dst_unused:UNUSED_PAD src0_sel:WORD_0 src1_sel:DWORD
	v_dot4c_i32_i8_e32 v54, v35, v53
	s_waitcnt vmcnt(0)
	v_and_b32_e32 v30, 0x1ff, v49
	v_lshlrev_b32_sdwa v30, v38, v30 dst_sel:DWORD dst_unused:UNUSED_PAD src0_sel:DWORD src1_sel:WORD_0
	global_load_dwordx2 v[30:31], v30, s[20:21]
	v_lshrrev_b16_e32 v50, 9, v49
	v_bcnt_u32_b32 v51, v50, 0
	v_and_b32_e32 v51, 1, v51
	v_lshl_or_b32 v51, v51, 7, v50
	v_mul_lo_u32 v51, v51, s29
	v_and_b32_e32 v55, 0x8000000, v51
	v_lshrrev_b32_e32 v56, 8, v51
	v_lshrrev_b16_e32 v57, 1, v56
	v_cmp_ne_u16_sdwa s[34:35], v55, v15 src0_sel:BYTE_3 src1_sel:DWORD
	v_lshlrev_b16_e32 v49, 6, v49
	v_bfe_i32 v57, v57, 0, 1
	v_lshrrev_b32_e32 v58, 18, v51
	v_cndmask_b32_e64 v55, 0, -1, s[34:35]
	v_ashrrev_i16_e32 v49, 15, v49
	v_bfe_i32 v58, v58, 0, 1
	v_lshlrev_b16_e32 v55, 8, v55
	v_lshlrev_b16_e32 v57, 8, v57
	v_or_b32_sdwa v59, v58, v55 dst_sel:WORD_1 dst_unused:UNUSED_PAD src0_sel:BYTE_0 src1_sel:DWORD
	v_or_b32_sdwa v60, v49, v57 dst_sel:DWORD dst_unused:UNUSED_PAD src0_sel:BYTE_0 src1_sel:DWORD
	v_or_b32_sdwa v59, v60, v59 dst_sel:DWORD dst_unused:UNUSED_PAD src0_sel:WORD_0 src1_sel:DWORD
	v_lshlrev_b16_e32 v49, 8, v49
	s_waitcnt vmcnt(0)
	v_xor_b32_e32 v30, v30, v59
	v_and_b32_e32 v59, 0xffffff00, v30
	v_sub_i16 v57, v59, v57 clamp
	v_lshlrev_b16_e32 v59, 8, v30
	v_and_b32_e32 v57, 0xffffff00, v57
	v_sub_i16 v49, v59, v49 clamp
	v_or_b32_sdwa v49, v49, v57 dst_sel:DWORD dst_unused:UNUSED_PAD src0_sel:BYTE_1 src1_sel:DWORD
	v_and_b32_sdwa v57, v30, s30 dst_sel:DWORD dst_unused:UNUSED_PAD src0_sel:WORD_1 src1_sel:DWORD
	v_sub_i16 v55, v57, v55 clamp
	v_lshlrev_b16_sdwa v30, v39, v30 dst_sel:DWORD dst_unused:UNUSED_PAD src0_sel:DWORD src1_sel:WORD_1
	v_lshlrev_b16_e32 v57, 8, v58
	v_and_b32_e32 v55, 0xffffff00, v55
	v_sub_i16 v30, v30, v57 clamp
	v_or_b32_sdwa v30, v30, v55 dst_sel:WORD_1 dst_unused:UNUSED_PAD src0_sel:BYTE_1 src1_sel:DWORD
	v_mov_b32_e32 v55, 0
	v_or_b32_sdwa v49, v49, v30 dst_sel:DWORD dst_unused:UNUSED_PAD src0_sel:WORD_0 src1_sel:DWORD
	v_dot4c_i32_i8_e32 v55, v49, v5
	v_and_b32_e32 v5, 0x80000000, v51
	v_bfe_i32 v30, v50, 4, 1
	v_lshrrev_b16_e32 v50, 5, v56
	v_cmp_ne_u16_sdwa s[34:35], v5, v15 src0_sel:BYTE_3 src1_sel:DWORD
	v_bfe_i32 v50, v50, 0, 1
	v_lshrrev_b32_e32 v51, 22, v51
	v_cndmask_b32_e64 v5, 0, -1, s[34:35]
	v_bfe_i32 v51, v51, 0, 1
	v_lshlrev_b16_e32 v5, 8, v5
	v_lshlrev_b16_e32 v50, 8, v50
	v_or_b32_sdwa v56, v51, v5 dst_sel:WORD_1 dst_unused:UNUSED_PAD src0_sel:BYTE_0 src1_sel:DWORD
	v_or_b32_sdwa v57, v30, v50 dst_sel:DWORD dst_unused:UNUSED_PAD src0_sel:BYTE_0 src1_sel:DWORD
	v_or_b32_sdwa v56, v57, v56 dst_sel:DWORD dst_unused:UNUSED_PAD src0_sel:WORD_0 src1_sel:DWORD
	v_xor_b32_e32 v31, v31, v56
	v_and_b32_e32 v56, 0xffffff00, v31
	v_sub_i16 v50, v56, v50 clamp
	v_lshlrev_b16_e32 v56, 8, v31
	v_lshlrev_b16_e32 v30, 8, v30
	v_and_b32_e32 v50, 0xffffff00, v50
	v_sub_i16 v30, v56, v30 clamp
	v_or_b32_sdwa v30, v30, v50 dst_sel:DWORD dst_unused:UNUSED_PAD src0_sel:BYTE_1 src1_sel:DWORD
	v_and_b32_sdwa v50, v31, s30 dst_sel:DWORD dst_unused:UNUSED_PAD src0_sel:WORD_1 src1_sel:DWORD
	v_sub_i16 v5, v50, v5 clamp
	v_lshlrev_b16_sdwa v31, v39, v31 dst_sel:DWORD dst_unused:UNUSED_PAD src0_sel:DWORD src1_sel:WORD_1
	v_lshlrev_b16_e32 v50, 8, v51
	v_and_b32_e32 v5, 0xffffff00, v5
	v_sub_i16 v31, v31, v50 clamp
	v_or_b32_sdwa v5, v31, v5 dst_sel:WORD_1 dst_unused:UNUSED_PAD src0_sel:BYTE_1 src1_sel:DWORD
	s_nop 0
	v_or_b32_sdwa v5, v30, v5 dst_sel:DWORD dst_unused:UNUSED_PAD src0_sel:WORD_0 src1_sel:DWORD
	v_dot4c_i32_i8_e32 v55, v5, v6
	global_load_ushort v6, v[32:33], off offset:4
	s_waitcnt vmcnt(0)
	v_and_b32_e32 v30, 0x1ff, v6
	v_lshlrev_b32_sdwa v30, v38, v30 dst_sel:DWORD dst_unused:UNUSED_PAD src0_sel:DWORD src1_sel:WORD_0
	global_load_dwordx2 v[30:31], v30, s[20:21]
	v_lshrrev_b16_e32 v50, 9, v6
	v_bcnt_u32_b32 v51, v50, 0
	v_and_b32_e32 v51, 1, v51
	v_lshl_or_b32 v51, v51, 7, v50
	v_mul_lo_u32 v51, v51, s29
	v_and_b32_e32 v56, 0x8000000, v51
	v_lshrrev_b32_e32 v57, 8, v51
	v_lshrrev_b16_e32 v58, 1, v57
	v_cmp_ne_u16_sdwa s[34:35], v56, v15 src0_sel:BYTE_3 src1_sel:DWORD
	v_lshlrev_b16_e32 v6, 6, v6
	v_bfe_i32 v58, v58, 0, 1
	v_lshrrev_b32_e32 v59, 18, v51
	v_cndmask_b32_e64 v56, 0, -1, s[34:35]
	v_ashrrev_i16_e32 v6, 15, v6
	v_bfe_i32 v59, v59, 0, 1
	v_lshlrev_b16_e32 v56, 8, v56
	v_lshlrev_b16_e32 v58, 8, v58
	v_or_b32_sdwa v60, v59, v56 dst_sel:WORD_1 dst_unused:UNUSED_PAD src0_sel:BYTE_0 src1_sel:DWORD
	v_or_b32_sdwa v61, v6, v58 dst_sel:DWORD dst_unused:UNUSED_PAD src0_sel:BYTE_0 src1_sel:DWORD
	v_or_b32_sdwa v60, v61, v60 dst_sel:DWORD dst_unused:UNUSED_PAD src0_sel:WORD_0 src1_sel:DWORD
	v_lshlrev_b16_e32 v6, 8, v6
	s_waitcnt vmcnt(0)
	v_xor_b32_e32 v30, v30, v60
	v_and_b32_e32 v60, 0xffffff00, v30
	v_sub_i16 v58, v60, v58 clamp
	v_lshlrev_b16_e32 v60, 8, v30
	v_and_b32_e32 v58, 0xffffff00, v58
	v_sub_i16 v6, v60, v6 clamp
	v_or_b32_sdwa v6, v6, v58 dst_sel:DWORD dst_unused:UNUSED_PAD src0_sel:BYTE_1 src1_sel:DWORD
	v_and_b32_sdwa v58, v30, s30 dst_sel:DWORD dst_unused:UNUSED_PAD src0_sel:WORD_1 src1_sel:DWORD
	v_sub_i16 v56, v58, v56 clamp
	v_lshlrev_b16_sdwa v30, v39, v30 dst_sel:DWORD dst_unused:UNUSED_PAD src0_sel:DWORD src1_sel:WORD_1
	v_lshlrev_b16_e32 v58, 8, v59
	v_and_b32_e32 v56, 0xffffff00, v56
	v_sub_i16 v30, v30, v58 clamp
	v_or_b32_sdwa v30, v30, v56 dst_sel:WORD_1 dst_unused:UNUSED_PAD src0_sel:BYTE_1 src1_sel:DWORD
	s_nop 0
	v_or_b32_sdwa v6, v6, v30 dst_sel:DWORD dst_unused:UNUSED_PAD src0_sel:WORD_0 src1_sel:DWORD
	v_dot4c_i32_i8_e32 v55, v6, v7
	v_and_b32_e32 v7, 0x80000000, v51
	v_bfe_i32 v30, v50, 4, 1
	v_lshrrev_b16_e32 v50, 5, v57
	v_cmp_ne_u16_sdwa s[34:35], v7, v15 src0_sel:BYTE_3 src1_sel:DWORD
	v_bfe_i32 v50, v50, 0, 1
	v_lshrrev_b32_e32 v51, 22, v51
	v_cndmask_b32_e64 v7, 0, -1, s[34:35]
	v_bfe_i32 v51, v51, 0, 1
	v_lshlrev_b16_e32 v7, 8, v7
	v_lshlrev_b16_e32 v50, 8, v50
	v_or_b32_sdwa v56, v51, v7 dst_sel:WORD_1 dst_unused:UNUSED_PAD src0_sel:BYTE_0 src1_sel:DWORD
	v_or_b32_sdwa v57, v30, v50 dst_sel:DWORD dst_unused:UNUSED_PAD src0_sel:BYTE_0 src1_sel:DWORD
	v_or_b32_sdwa v56, v57, v56 dst_sel:DWORD dst_unused:UNUSED_PAD src0_sel:WORD_0 src1_sel:DWORD
	v_xor_b32_e32 v31, v31, v56
	v_and_b32_e32 v56, 0xffffff00, v31
	v_sub_i16 v50, v56, v50 clamp
	v_lshlrev_b16_e32 v56, 8, v31
	v_lshlrev_b16_e32 v30, 8, v30
	v_and_b32_e32 v50, 0xffffff00, v50
	v_sub_i16 v30, v56, v30 clamp
	v_or_b32_sdwa v30, v30, v50 dst_sel:DWORD dst_unused:UNUSED_PAD src0_sel:BYTE_1 src1_sel:DWORD
	v_and_b32_sdwa v50, v31, s30 dst_sel:DWORD dst_unused:UNUSED_PAD src0_sel:WORD_1 src1_sel:DWORD
	v_sub_i16 v7, v50, v7 clamp
	v_lshlrev_b16_sdwa v31, v39, v31 dst_sel:DWORD dst_unused:UNUSED_PAD src0_sel:DWORD src1_sel:WORD_1
	v_lshlrev_b16_e32 v50, 8, v51
	v_and_b32_e32 v7, 0xffffff00, v7
	v_sub_i16 v31, v31, v50 clamp
	v_or_b32_sdwa v7, v31, v7 dst_sel:WORD_1 dst_unused:UNUSED_PAD src0_sel:BYTE_1 src1_sel:DWORD
	s_nop 0
	v_or_b32_sdwa v7, v30, v7 dst_sel:DWORD dst_unused:UNUSED_PAD src0_sel:WORD_0 src1_sel:DWORD
	v_dot4c_i32_i8_e32 v55, v7, v0
	global_load_ushort v0, v[32:33], off offset:6
	s_waitcnt vmcnt(0)
	v_and_b32_e32 v30, 0x1ff, v0
	v_lshlrev_b32_sdwa v30, v38, v30 dst_sel:DWORD dst_unused:UNUSED_PAD src0_sel:DWORD src1_sel:WORD_0
	global_load_dwordx2 v[30:31], v30, s[20:21]
	v_lshrrev_b16_e32 v51, 9, v0
	v_bcnt_u32_b32 v50, v51, 0
	v_and_b32_e32 v50, 1, v50
	v_lshl_or_b32 v50, v50, 7, v51
	v_mul_lo_u32 v56, v50, s29
	v_and_b32_e32 v50, 0x8000000, v56
	v_lshrrev_b32_e32 v57, 8, v56
	v_lshrrev_b16_e32 v58, 1, v57
	v_cmp_ne_u16_sdwa s[34:35], v50, v15 src0_sel:BYTE_3 src1_sel:DWORD
	v_lshlrev_b16_e32 v0, 6, v0
	v_bfe_i32 v58, v58, 0, 1
	v_lshrrev_b32_e32 v59, 18, v56
	v_cndmask_b32_e64 v50, 0, -1, s[34:35]
	v_ashrrev_i16_e32 v0, 15, v0
	v_bfe_i32 v59, v59, 0, 1
	v_lshlrev_b16_e32 v50, 8, v50
	v_lshlrev_b16_e32 v58, 8, v58
	v_or_b32_sdwa v60, v59, v50 dst_sel:WORD_1 dst_unused:UNUSED_PAD src0_sel:BYTE_0 src1_sel:DWORD
	v_or_b32_sdwa v61, v0, v58 dst_sel:DWORD dst_unused:UNUSED_PAD src0_sel:BYTE_0 src1_sel:DWORD
	v_or_b32_sdwa v60, v61, v60 dst_sel:DWORD dst_unused:UNUSED_PAD src0_sel:WORD_0 src1_sel:DWORD
	v_lshlrev_b16_e32 v0, 8, v0
	s_waitcnt vmcnt(0)
	v_xor_b32_e32 v30, v30, v60
	v_and_b32_e32 v60, 0xffffff00, v30
	v_sub_i16 v58, v60, v58 clamp
	v_lshlrev_b16_e32 v60, 8, v30
	v_and_b32_e32 v58, 0xffffff00, v58
	v_sub_i16 v0, v60, v0 clamp
	v_or_b32_sdwa v0, v0, v58 dst_sel:DWORD dst_unused:UNUSED_PAD src0_sel:BYTE_1 src1_sel:DWORD
	v_and_b32_sdwa v58, v30, s30 dst_sel:DWORD dst_unused:UNUSED_PAD src0_sel:WORD_1 src1_sel:DWORD
	v_sub_i16 v50, v58, v50 clamp
	v_lshlrev_b16_sdwa v30, v39, v30 dst_sel:DWORD dst_unused:UNUSED_PAD src0_sel:DWORD src1_sel:WORD_1
	v_lshlrev_b16_e32 v58, 8, v59
	v_and_b32_e32 v50, 0xffffff00, v50
	v_sub_i16 v30, v30, v58 clamp
	v_or_b32_sdwa v30, v30, v50 dst_sel:WORD_1 dst_unused:UNUSED_PAD src0_sel:BYTE_1 src1_sel:DWORD
	s_nop 0
	v_or_b32_sdwa v50, v0, v30 dst_sel:DWORD dst_unused:UNUSED_PAD src0_sel:WORD_0 src1_sel:DWORD
	v_mov_b32_e32 v0, 0
	v_dot4c_i32_i8_e32 v0, v50, v1
	v_and_b32_e32 v1, 0x80000000, v56
	v_bfe_i32 v30, v51, 4, 1
	v_lshrrev_b16_e32 v51, 5, v57
	v_cmp_ne_u16_sdwa s[34:35], v1, v15 src0_sel:BYTE_3 src1_sel:DWORD
	v_bfe_i32 v51, v51, 0, 1
	v_lshrrev_b32_e32 v56, 22, v56
	v_cndmask_b32_e64 v1, 0, -1, s[34:35]
	v_bfe_i32 v56, v56, 0, 1
	v_lshlrev_b16_e32 v1, 8, v1
	v_lshlrev_b16_e32 v51, 8, v51
	v_or_b32_sdwa v57, v56, v1 dst_sel:WORD_1 dst_unused:UNUSED_PAD src0_sel:BYTE_0 src1_sel:DWORD
	v_or_b32_sdwa v58, v30, v51 dst_sel:DWORD dst_unused:UNUSED_PAD src0_sel:BYTE_0 src1_sel:DWORD
	v_or_b32_sdwa v57, v58, v57 dst_sel:DWORD dst_unused:UNUSED_PAD src0_sel:WORD_0 src1_sel:DWORD
	v_xor_b32_e32 v31, v31, v57
	v_and_b32_e32 v57, 0xffffff00, v31
	v_sub_i16 v51, v57, v51 clamp
	v_lshlrev_b16_e32 v57, 8, v31
	v_lshlrev_b16_e32 v30, 8, v30
	v_and_b32_e32 v51, 0xffffff00, v51
	v_sub_i16 v30, v57, v30 clamp
	v_or_b32_sdwa v30, v30, v51 dst_sel:DWORD dst_unused:UNUSED_PAD src0_sel:BYTE_1 src1_sel:DWORD
	v_and_b32_sdwa v51, v31, s30 dst_sel:DWORD dst_unused:UNUSED_PAD src0_sel:WORD_1 src1_sel:DWORD
	v_sub_i16 v1, v51, v1 clamp
	v_lshlrev_b16_sdwa v31, v39, v31 dst_sel:DWORD dst_unused:UNUSED_PAD src0_sel:DWORD src1_sel:WORD_1
	v_lshlrev_b16_e32 v51, 8, v56
	v_and_b32_e32 v1, 0xffffff00, v1
	v_sub_i16 v31, v31, v51 clamp
	v_or_b32_sdwa v1, v31, v1 dst_sel:WORD_1 dst_unused:UNUSED_PAD src0_sel:BYTE_1 src1_sel:DWORD
	s_nop 0
	v_or_b32_sdwa v51, v30, v1 dst_sel:DWORD dst_unused:UNUSED_PAD src0_sel:WORD_0 src1_sel:DWORD
	global_load_ushort v1, v[32:33], off offset:8
	v_dot4c_i32_i8_e32 v0, v51, v2
	s_waitcnt vmcnt(0)
	v_and_b32_e32 v2, 0x1ff, v1
	v_lshlrev_b32_sdwa v2, v38, v2 dst_sel:DWORD dst_unused:UNUSED_PAD src0_sel:DWORD src1_sel:WORD_0
	global_load_dwordx2 v[30:31], v2, s[20:21]
	v_lshrrev_b16_e32 v2, 9, v1
	v_bcnt_u32_b32 v32, v2, 0
	v_and_b32_e32 v32, 1, v32
	v_lshl_or_b32 v32, v32, 7, v2
	v_mul_lo_u32 v32, v32, s29
	v_and_b32_e32 v33, 0x8000000, v32
	v_lshrrev_b32_e32 v56, 8, v32
	v_lshrrev_b16_e32 v57, 1, v56
	v_cmp_ne_u16_sdwa s[34:35], v33, v15 src0_sel:BYTE_3 src1_sel:DWORD
	v_lshlrev_b16_e32 v1, 6, v1
	v_bfe_i32 v57, v57, 0, 1
	v_lshrrev_b32_e32 v58, 18, v32
	v_cndmask_b32_e64 v33, 0, -1, s[34:35]
	v_ashrrev_i16_e32 v1, 15, v1
	v_bfe_i32 v58, v58, 0, 1
	v_lshlrev_b16_e32 v33, 8, v33
	v_lshlrev_b16_e32 v57, 8, v57
	v_or_b32_sdwa v59, v58, v33 dst_sel:WORD_1 dst_unused:UNUSED_PAD src0_sel:BYTE_0 src1_sel:DWORD
	v_or_b32_sdwa v60, v1, v57 dst_sel:DWORD dst_unused:UNUSED_PAD src0_sel:BYTE_0 src1_sel:DWORD
	v_or_b32_sdwa v59, v60, v59 dst_sel:DWORD dst_unused:UNUSED_PAD src0_sel:WORD_0 src1_sel:DWORD
	v_lshlrev_b16_e32 v1, 8, v1
	v_bfe_i32 v2, v2, 4, 1
	s_waitcnt vmcnt(0)
	v_xor_b32_e32 v30, v30, v59
	v_and_b32_e32 v59, 0xffffff00, v30
	v_sub_i16 v57, v59, v57 clamp
	v_lshlrev_b16_e32 v59, 8, v30
	v_and_b32_e32 v57, 0xffffff00, v57
	v_sub_i16 v1, v59, v1 clamp
	v_or_b32_sdwa v1, v1, v57 dst_sel:DWORD dst_unused:UNUSED_PAD src0_sel:BYTE_1 src1_sel:DWORD
	v_and_b32_sdwa v57, v30, s30 dst_sel:DWORD dst_unused:UNUSED_PAD src0_sel:WORD_1 src1_sel:DWORD
	v_sub_i16 v33, v57, v33 clamp
	v_lshlrev_b16_sdwa v30, v39, v30 dst_sel:DWORD dst_unused:UNUSED_PAD src0_sel:DWORD src1_sel:WORD_1
	v_lshlrev_b16_e32 v57, 8, v58
	v_and_b32_e32 v33, 0xffffff00, v33
	v_sub_i16 v30, v30, v57 clamp
	v_or_b32_sdwa v30, v30, v33 dst_sel:WORD_1 dst_unused:UNUSED_PAD src0_sel:BYTE_1 src1_sel:DWORD
	s_nop 0
	v_or_b32_sdwa v30, v1, v30 dst_sel:DWORD dst_unused:UNUSED_PAD src0_sel:WORD_0 src1_sel:DWORD
	v_and_b32_e32 v1, 0x80000000, v32
	v_dot4c_i32_i8_e32 v0, v30, v3
	v_lshrrev_b16_e32 v3, 5, v56
	v_cmp_ne_u16_sdwa s[34:35], v1, v15 src0_sel:BYTE_3 src1_sel:DWORD
	v_bfe_i32 v3, v3, 0, 1
	v_lshrrev_b32_e32 v32, 22, v32
	v_cndmask_b32_e64 v1, 0, -1, s[34:35]
	v_bfe_i32 v32, v32, 0, 1
	v_lshlrev_b16_e32 v1, 8, v1
	v_lshlrev_b16_e32 v3, 8, v3
	v_or_b32_sdwa v33, v32, v1 dst_sel:WORD_1 dst_unused:UNUSED_PAD src0_sel:BYTE_0 src1_sel:DWORD
	v_or_b32_sdwa v56, v2, v3 dst_sel:DWORD dst_unused:UNUSED_PAD src0_sel:BYTE_0 src1_sel:DWORD
	v_or_b32_sdwa v33, v56, v33 dst_sel:DWORD dst_unused:UNUSED_PAD src0_sel:WORD_0 src1_sel:DWORD
	v_xor_b32_e32 v31, v31, v33
	v_and_b32_e32 v33, 0xffffff00, v31
	v_sub_i16 v3, v33, v3 clamp
	v_lshlrev_b16_e32 v33, 8, v31
	v_lshlrev_b16_e32 v2, 8, v2
	v_and_b32_e32 v3, 0xffffff00, v3
	v_sub_i16 v2, v33, v2 clamp
	v_or_b32_sdwa v2, v2, v3 dst_sel:DWORD dst_unused:UNUSED_PAD src0_sel:BYTE_1 src1_sel:DWORD
	v_and_b32_sdwa v3, v31, s30 dst_sel:DWORD dst_unused:UNUSED_PAD src0_sel:WORD_1 src1_sel:DWORD
	v_sub_i16 v1, v3, v1 clamp
	v_lshlrev_b16_sdwa v3, v39, v31 dst_sel:DWORD dst_unused:UNUSED_PAD src0_sel:DWORD src1_sel:WORD_1
	v_lshlrev_b16_e32 v31, 8, v32
	v_and_b32_e32 v1, 0xffffff00, v1
	v_sub_i16 v3, v3, v31 clamp
	v_or_b32_sdwa v1, v3, v1 dst_sel:WORD_1 dst_unused:UNUSED_PAD src0_sel:BYTE_1 src1_sel:DWORD
	global_load_ubyte v3, v[28:29], off offset:66
	v_or_b32_sdwa v31, v2, v1 dst_sel:DWORD dst_unused:UNUSED_PAD src0_sel:WORD_0 src1_sel:DWORD
	global_load_ubyte v1, v[24:25], off offset:66
	v_add_u32_e32 v25, v54, v52
	v_dot4c_i32_i8_e32 v0, v31, v53
	s_waitcnt vmcnt(1)
	v_lshrrev_b32_e32 v33, 4, v3
	v_and_b32_e32 v28, 15, v3
	s_waitcnt vmcnt(0)
	v_and_b32_e32 v32, 15, v1
	v_mul_lo_u32 v2, v52, v32
	v_lshrrev_b32_e32 v52, 31, v25
	v_lshrrev_b32_e32 v29, 4, v1
	v_mul_lo_u32 v3, v0, v33
	v_add_u32_e32 v0, v0, v55
	v_add_u32_e32 v25, v25, v52
	v_mul_lo_u32 v1, v54, v29
	v_ashrrev_i32_e32 v25, 1, v25
	v_lshrrev_b32_e32 v52, 31, v0
	v_add_u32_e32 v0, v0, v52
	v_add3_u32 v1, v1, v2, v25
	v_mul_lo_u32 v24, v55, v28
	v_ashrrev_i32_e32 v0, 1, v0
	v_ashrrev_i32_e32 v2, 31, v1
	v_add3_u32 v0, v3, v24, v0
	v_lshrrev_b32_e32 v2, 30, v2
	v_add_u32_e32 v1, v1, v2
	v_ashrrev_i32_e32 v2, 31, v0
	v_lshrrev_b32_e32 v2, 30, v2
	v_add_u32_e32 v0, v0, v2
	global_load_ushort v2, v[22:23], off
	global_load_ushort v3, v[26:27], off
	v_ashrrev_i32_e32 v1, 2, v1
	v_ashrrev_i32_e32 v0, 2, v0
	v_cvt_f32_i32_e32 v27, v0
	v_cvt_f32_i32_e32 v26, v1
	s_waitcnt vmcnt(1)
	v_cvt_f32_f16_e32 v22, v2
	s_waitcnt vmcnt(0)
	v_cvt_f32_f16_e32 v23, v3
	scratch_load_dwordx4 v[0:3], off, off offset:16
	v_pk_mul_f32 v[24:25], v[4:5], v[22:23] op_sel_hi:[0,1]
	v_add_u32_e32 v4, s23, v37
	s_waitcnt vmcnt(0)
	v_pk_fma_f32 v[0:1], v[24:25], v[26:27], v[0:1]
	v_mad_u64_u32 v[24:25], s[34:35], v4, 36, s[24:25]
	v_mad_u64_u32 v[56:57], s[34:35], v14, 36, v[24:25]
	global_load_dword v58, v[56:57], off offset:32
	global_load_dwordx4 v[24:27], v[56:57], off offset:16
	global_load_dwordx4 v[52:55], v[56:57], off
	v_mov_b32_e32 v57, 0
	v_mov_b32_e32 v56, 0
	s_waitcnt vmcnt(1)
	v_dot4c_i32_i8_e32 v56, v47, v25
	s_waitcnt vmcnt(0)
	v_cvt_f32_f16_e32 v4, v52
	v_mov_b32_e32 v52, 0
	v_dot4c_i32_i8_e32 v52, v8, v53
	v_dot4c_i32_i8_e32 v57, v49, v53
	;; [unrolled: 1-line block ×8, first 2 shown]
	v_mov_b32_e32 v24, 0
	v_dot4c_i32_i8_e32 v56, v48, v26
	v_dot4c_i32_i8_e32 v24, v50, v25
	;; [unrolled: 1-line block ×7, first 2 shown]
	v_mul_lo_u32 v25, v52, v32
	v_add_u32_e32 v52, v56, v52
	v_lshrrev_b32_e32 v54, 31, v52
	v_mul_lo_u32 v53, v24, v33
	v_add_u32_e32 v24, v24, v57
	v_add_u32_e32 v52, v52, v54
	v_lshrrev_b32_e32 v54, 31, v24
	v_mul_lo_u32 v27, v56, v29
	v_ashrrev_i32_e32 v52, 1, v52
	v_add_u32_e32 v24, v24, v54
	v_mul_lo_u32 v26, v57, v28
	v_ashrrev_i32_e32 v24, 1, v24
	v_add3_u32 v25, v27, v25, v52
	v_add3_u32 v24, v53, v26, v24
	v_ashrrev_i32_e32 v26, 31, v25
	v_lshrrev_b32_e32 v26, 30, v26
	v_add_u32_e32 v25, v25, v26
	v_ashrrev_i32_e32 v26, 2, v25
	v_ashrrev_i32_e32 v25, 31, v24
	v_lshrrev_b32_e32 v25, 30, v25
	v_add_u32_e32 v24, v24, v25
	v_ashrrev_i32_e32 v27, 2, v24
	v_cvt_f32_i32_e32 v27, v27
	v_cvt_f32_i32_e32 v26, v26
	v_pk_mul_f32 v[24:25], v[4:5], v[22:23] op_sel_hi:[0,1]
	v_pk_fma_f32 v[2:3], v[24:25], v[26:27], v[2:3]
	scratch_store_dwordx4 off, v[0:3], off offset:16
	s_nop 1
	v_add_u32_e32 v0, s27, v37
	v_mad_u64_u32 v[0:1], s[34:35], v0, 36, s[24:25]
	v_mad_u64_u32 v[52:53], s[34:35], v14, 36, v[0:1]
	global_load_dword v54, v[52:53], off offset:32
	global_load_dwordx4 v[0:3], v[52:53], off offset:16
	global_load_dwordx4 v[24:27], v[52:53], off
	v_mov_b32_e32 v53, 0
	v_mov_b32_e32 v52, 0
	s_waitcnt vmcnt(1)
	v_dot4c_i32_i8_e32 v52, v47, v1
	s_waitcnt vmcnt(0)
	v_cvt_f32_f16_e32 v4, v24
	v_mov_b32_e32 v24, 0
	v_dot4c_i32_i8_e32 v24, v8, v25
	v_dot4c_i32_i8_e32 v53, v49, v25
	;; [unrolled: 1-line block ×8, first 2 shown]
	v_mov_b32_e32 v0, 0
	v_dot4c_i32_i8_e32 v52, v48, v2
	v_dot4c_i32_i8_e32 v0, v50, v1
	;; [unrolled: 1-line block ×7, first 2 shown]
	v_mul_lo_u32 v1, v24, v32
	v_add_u32_e32 v24, v52, v24
	v_lshrrev_b32_e32 v26, 31, v24
	v_mul_lo_u32 v25, v0, v33
	v_add_u32_e32 v0, v0, v53
	v_add_u32_e32 v24, v24, v26
	v_lshrrev_b32_e32 v26, 31, v0
	v_mul_lo_u32 v3, v52, v29
	v_ashrrev_i32_e32 v24, 1, v24
	v_add_u32_e32 v0, v0, v26
	v_mul_lo_u32 v2, v53, v28
	v_ashrrev_i32_e32 v0, 1, v0
	v_add3_u32 v1, v3, v1, v24
	v_add3_u32 v0, v25, v2, v0
	v_ashrrev_i32_e32 v2, 31, v1
	v_lshrrev_b32_e32 v2, 30, v2
	v_add_u32_e32 v1, v1, v2
	v_ashrrev_i32_e32 v2, 31, v0
	v_lshrrev_b32_e32 v2, 30, v2
	v_add_u32_e32 v0, v0, v2
	v_ashrrev_i32_e32 v1, 2, v1
	v_ashrrev_i32_e32 v0, 2, v0
	v_cvt_f32_i32_e32 v27, v0
	v_cvt_f32_i32_e32 v26, v1
	scratch_load_dwordx4 v[0:3], off, off offset:32
	v_pk_mul_f32 v[24:25], v[4:5], v[22:23] op_sel_hi:[0,1]
	v_add_u32_e32 v4, s26, v37
	s_waitcnt vmcnt(0)
	v_pk_fma_f32 v[0:1], v[24:25], v[26:27], v[0:1]
	v_mad_u64_u32 v[24:25], s[34:35], v4, 36, s[24:25]
	v_mad_u64_u32 v[56:57], s[34:35], v14, 36, v[24:25]
	global_load_dword v58, v[56:57], off offset:32
	global_load_dwordx4 v[24:27], v[56:57], off offset:16
	global_load_dwordx4 v[52:55], v[56:57], off
	v_mov_b32_e32 v57, 0
	v_mov_b32_e32 v56, 0
	s_waitcnt vmcnt(1)
	v_dot4c_i32_i8_e32 v56, v47, v25
	s_waitcnt vmcnt(0)
	v_cvt_f32_f16_e32 v4, v52
	v_mov_b32_e32 v52, 0
	v_dot4c_i32_i8_e32 v52, v8, v53
	v_dot4c_i32_i8_e32 v57, v49, v53
	;; [unrolled: 1-line block ×8, first 2 shown]
	v_mov_b32_e32 v24, 0
	v_dot4c_i32_i8_e32 v56, v48, v26
	v_dot4c_i32_i8_e32 v24, v50, v25
	v_dot4c_i32_i8_e32 v56, v34, v27
	v_dot4c_i32_i8_e32 v24, v51, v26
	v_dot4c_i32_i8_e32 v56, v35, v58
	v_dot4c_i32_i8_e32 v24, v30, v27
	v_dot4c_i32_i8_e32 v24, v31, v58
	v_mul_lo_u32 v25, v52, v32
	v_add_u32_e32 v52, v56, v52
	v_lshrrev_b32_e32 v54, 31, v52
	v_mul_lo_u32 v53, v24, v33
	v_add_u32_e32 v24, v24, v57
	v_add_u32_e32 v52, v52, v54
	v_lshrrev_b32_e32 v54, 31, v24
	v_mul_lo_u32 v27, v56, v29
	v_ashrrev_i32_e32 v52, 1, v52
	v_add_u32_e32 v24, v24, v54
	v_mul_lo_u32 v26, v57, v28
	v_ashrrev_i32_e32 v24, 1, v24
	v_add3_u32 v25, v27, v25, v52
	v_add3_u32 v24, v53, v26, v24
	v_ashrrev_i32_e32 v26, 31, v25
	v_lshrrev_b32_e32 v26, 30, v26
	v_add_u32_e32 v25, v25, v26
	v_ashrrev_i32_e32 v26, 2, v25
	v_ashrrev_i32_e32 v25, 31, v24
	v_lshrrev_b32_e32 v25, 30, v25
	v_add_u32_e32 v24, v24, v25
	v_ashrrev_i32_e32 v27, 2, v24
	v_cvt_f32_i32_e32 v27, v27
	v_cvt_f32_i32_e32 v26, v26
	v_pk_mul_f32 v[24:25], v[4:5], v[22:23] op_sel_hi:[0,1]
	v_pk_fma_f32 v[2:3], v[24:25], v[26:27], v[2:3]
	scratch_store_dwordx4 off, v[0:3], off offset:32
	s_nop 1
	v_add_u32_e32 v0, s19, v37
	v_mad_u64_u32 v[0:1], s[34:35], v0, 36, s[24:25]
	v_mad_u64_u32 v[52:53], s[34:35], v14, 36, v[0:1]
	global_load_dword v54, v[52:53], off offset:32
	global_load_dwordx4 v[0:3], v[52:53], off offset:16
	global_load_dwordx4 v[24:27], v[52:53], off
	s_waitcnt vmcnt(0)
	v_cvt_f32_f16_e32 v4, v24
	v_mov_b32_e32 v24, 0
	v_dot4c_i32_i8_e32 v24, v8, v25
	v_dot4c_i32_i8_e32 v24, v9, v26
	v_mov_b32_e32 v9, 0
	v_dot4c_i32_i8_e32 v9, v49, v25
	v_dot4c_i32_i8_e32 v9, v5, v26
	;; [unrolled: 1-line block ×3, first 2 shown]
	v_mov_b32_e32 v8, 0
	v_dot4c_i32_i8_e32 v9, v6, v27
	v_dot4c_i32_i8_e32 v24, v11, v0
	;; [unrolled: 1-line block ×4, first 2 shown]
	v_mov_b32_e32 v0, 0
	v_dot4c_i32_i8_e32 v8, v48, v2
	v_dot4c_i32_i8_e32 v0, v50, v1
	v_dot4c_i32_i8_e32 v8, v34, v3
	v_dot4c_i32_i8_e32 v0, v51, v2
	v_dot4c_i32_i8_e32 v8, v35, v54
	v_dot4c_i32_i8_e32 v0, v30, v3
	v_dot4c_i32_i8_e32 v0, v31, v54
	v_mul_lo_u32 v1, v24, v32
	v_add_u32_e32 v6, v8, v24
	v_lshrrev_b32_e32 v7, 31, v6
	v_mul_lo_u32 v5, v0, v33
	v_add_u32_e32 v0, v0, v9
	v_add_u32_e32 v6, v6, v7
	v_lshrrev_b32_e32 v7, 31, v0
	v_mul_lo_u32 v3, v8, v29
	v_ashrrev_i32_e32 v6, 1, v6
	v_add_u32_e32 v0, v0, v7
	v_mul_lo_u32 v2, v9, v28
	v_ashrrev_i32_e32 v0, 1, v0
	v_add3_u32 v1, v3, v1, v6
	v_add3_u32 v0, v5, v2, v0
	v_ashrrev_i32_e32 v2, 31, v1
	v_lshrrev_b32_e32 v2, 30, v2
	v_add_u32_e32 v1, v1, v2
	v_ashrrev_i32_e32 v2, 31, v0
	v_lshrrev_b32_e32 v2, 30, v2
	v_add_u32_e32 v0, v0, v2
	v_ashrrev_i32_e32 v1, 2, v1
	v_ashrrev_i32_e32 v0, 2, v0
	v_cvt_f32_i32_e32 v7, v0
	v_cvt_f32_i32_e32 v6, v1
	scratch_load_dwordx4 v[0:3], off, off offset:48
	v_pk_mul_f32 v[4:5], v[4:5], v[22:23] op_sel_hi:[0,1]
	v_lshrrev_b16_e32 v27, 9, v46
	v_bcnt_u32_b32 v47, v27, 0
	v_and_b32_e32 v47, 1, v47
	v_lshl_or_b32 v47, v47, 7, v27
	v_mul_lo_u32 v47, v47, s29
	v_and_b32_e32 v48, 0x8000000, v47
	v_lshrrev_b32_e32 v49, 8, v47
	v_lshrrev_b16_e32 v50, 1, v49
	v_bfe_i32 v50, v50, 0, 1
	v_lshrrev_b32_e32 v51, 18, v47
	v_bfe_i32 v51, v51, 0, 1
	v_lshlrev_b16_e32 v50, 8, v50
	v_bfe_i32 v27, v27, 4, 1
	s_waitcnt vmcnt(0)
	v_pk_fma_f32 v[0:1], v[4:5], v[6:7], v[0:1]
	v_add_u32_e32 v4, s15, v37
	v_mad_u64_u32 v[4:5], s[34:35], v4, 36, s[24:25]
	v_mad_u64_u32 v[24:25], s[34:35], v14, 36, v[4:5]
	global_load_dword v26, v[24:25], off offset:32
	global_load_dwordx4 v[4:7], v[24:25], off offset:16
	global_load_dwordx4 v[8:11], v[24:25], off
	v_and_b32_e32 v24, 0x1ff, v46
	v_lshlrev_b32_e32 v24, 3, v24
	global_load_dwordx2 v[24:25], v24, s[20:21]
	v_cmp_ne_u16_sdwa s[34:35], v48, v15 src0_sel:BYTE_3 src1_sel:DWORD
	v_lshlrev_b16_e32 v46, 6, v46
	v_ashrrev_i16_e32 v46, 15, v46
	v_cndmask_b32_e64 v48, 0, -1, s[34:35]
	v_lshlrev_b16_e32 v48, 8, v48
	v_or_b32_sdwa v52, v51, v48 dst_sel:WORD_1 dst_unused:UNUSED_PAD src0_sel:BYTE_0 src1_sel:DWORD
	v_or_b32_sdwa v53, v46, v50 dst_sel:DWORD dst_unused:UNUSED_PAD src0_sel:BYTE_0 src1_sel:DWORD
	v_or_b32_sdwa v52, v53, v52 dst_sel:DWORD dst_unused:UNUSED_PAD src0_sel:WORD_0 src1_sel:DWORD
	v_lshlrev_b16_e32 v46, 8, v46
	v_add_u32_e32 v37, 64, v37
	s_waitcnt vmcnt(1)
	v_cvt_f32_f16_e32 v8, v8
	s_waitcnt vmcnt(0)
	v_xor_b32_e32 v24, v24, v52
	v_and_b32_e32 v52, 0xffffff00, v24
	v_sub_i16 v50, v52, v50 clamp
	v_lshlrev_b16_e32 v52, 8, v24
	v_and_b32_e32 v50, 0xffffff00, v50
	v_sub_i16 v46, v52, v46 clamp
	v_or_b32_sdwa v46, v46, v50 dst_sel:DWORD dst_unused:UNUSED_PAD src0_sel:BYTE_1 src1_sel:DWORD
	v_and_b32_sdwa v50, v24, s30 dst_sel:DWORD dst_unused:UNUSED_PAD src0_sel:WORD_1 src1_sel:DWORD
	v_sub_i16 v48, v50, v48 clamp
	v_lshlrev_b16_sdwa v24, v39, v24 dst_sel:DWORD dst_unused:UNUSED_PAD src0_sel:DWORD src1_sel:WORD_1
	v_lshlrev_b16_e32 v50, 8, v51
	v_and_b32_e32 v48, 0xffffff00, v48
	v_sub_i16 v24, v24, v50 clamp
	v_or_b32_sdwa v24, v24, v48 dst_sel:WORD_1 dst_unused:UNUSED_PAD src0_sel:BYTE_1 src1_sel:DWORD
	v_lshrrev_b16_e32 v48, 5, v49
	v_or_b32_sdwa v24, v46, v24 dst_sel:DWORD dst_unused:UNUSED_PAD src0_sel:WORD_0 src1_sel:DWORD
	v_and_b32_e32 v46, 0x80000000, v47
	v_cmp_ne_u16_sdwa s[34:35], v46, v15 src0_sel:BYTE_3 src1_sel:DWORD
	v_bfe_i32 v48, v48, 0, 1
	v_lshrrev_b32_e32 v47, 22, v47
	v_cndmask_b32_e64 v46, 0, -1, s[34:35]
	v_bfe_i32 v47, v47, 0, 1
	v_lshlrev_b16_e32 v46, 8, v46
	v_lshlrev_b16_e32 v48, 8, v48
	v_or_b32_sdwa v49, v47, v46 dst_sel:WORD_1 dst_unused:UNUSED_PAD src0_sel:BYTE_0 src1_sel:DWORD
	v_or_b32_sdwa v50, v27, v48 dst_sel:DWORD dst_unused:UNUSED_PAD src0_sel:BYTE_0 src1_sel:DWORD
	v_or_b32_sdwa v49, v50, v49 dst_sel:DWORD dst_unused:UNUSED_PAD src0_sel:WORD_0 src1_sel:DWORD
	v_xor_b32_e32 v25, v25, v49
	v_and_b32_e32 v49, 0xffffff00, v25
	v_sub_i16 v48, v49, v48 clamp
	v_lshlrev_b16_e32 v49, 8, v25
	v_lshlrev_b16_e32 v27, 8, v27
	v_and_b32_e32 v48, 0xffffff00, v48
	v_sub_i16 v27, v49, v27 clamp
	v_or_b32_sdwa v27, v27, v48 dst_sel:DWORD dst_unused:UNUSED_PAD src0_sel:BYTE_1 src1_sel:DWORD
	v_and_b32_sdwa v48, v25, s30 dst_sel:DWORD dst_unused:UNUSED_PAD src0_sel:WORD_1 src1_sel:DWORD
	v_sub_i16 v46, v48, v46 clamp
	v_lshlrev_b16_sdwa v25, v39, v25 dst_sel:DWORD dst_unused:UNUSED_PAD src0_sel:DWORD src1_sel:WORD_1
	v_lshlrev_b16_e32 v47, 8, v47
	v_and_b32_e32 v46, 0xffffff00, v46
	v_sub_i16 v25, v25, v47 clamp
	v_or_b32_sdwa v25, v25, v46 dst_sel:WORD_1 dst_unused:UNUSED_PAD src0_sel:BYTE_1 src1_sel:DWORD
	v_lshrrev_b16_e32 v46, 9, v44
	v_or_b32_sdwa v25, v27, v25 dst_sel:DWORD dst_unused:UNUSED_PAD src0_sel:WORD_0 src1_sel:DWORD
	v_mov_b32_e32 v27, 0
	v_dot4c_i32_i8_e32 v27, v24, v9
	v_and_b32_e32 v24, 0x1ff, v44
	v_lshlrev_b32_e32 v24, 3, v24
	v_dot4c_i32_i8_e32 v27, v25, v10
	global_load_dwordx2 v[24:25], v24, s[20:21]
	v_bcnt_u32_b32 v47, v46, 0
	v_and_b32_e32 v47, 1, v47
	v_lshl_or_b32 v47, v47, 7, v46
	v_mul_lo_u32 v47, v47, s29
	v_and_b32_e32 v48, 0x8000000, v47
	v_lshrrev_b32_e32 v49, 8, v47
	v_lshrrev_b16_e32 v50, 1, v49
	v_cmp_ne_u16_sdwa s[34:35], v48, v15 src0_sel:BYTE_3 src1_sel:DWORD
	v_lshlrev_b16_e32 v44, 6, v44
	v_bfe_i32 v50, v50, 0, 1
	v_lshrrev_b32_e32 v51, 18, v47
	v_cndmask_b32_e64 v48, 0, -1, s[34:35]
	v_ashrrev_i16_e32 v44, 15, v44
	v_bfe_i32 v51, v51, 0, 1
	v_lshlrev_b16_e32 v48, 8, v48
	v_lshlrev_b16_e32 v50, 8, v50
	v_or_b32_sdwa v52, v51, v48 dst_sel:WORD_1 dst_unused:UNUSED_PAD src0_sel:BYTE_0 src1_sel:DWORD
	v_or_b32_sdwa v53, v44, v50 dst_sel:DWORD dst_unused:UNUSED_PAD src0_sel:BYTE_0 src1_sel:DWORD
	v_or_b32_sdwa v52, v53, v52 dst_sel:DWORD dst_unused:UNUSED_PAD src0_sel:WORD_0 src1_sel:DWORD
	v_lshlrev_b16_e32 v44, 8, v44
	v_bfe_i32 v46, v46, 4, 1
	s_waitcnt vmcnt(0)
	v_xor_b32_e32 v24, v24, v52
	v_and_b32_e32 v52, 0xffffff00, v24
	v_sub_i16 v50, v52, v50 clamp
	v_lshlrev_b16_e32 v52, 8, v24
	v_and_b32_e32 v50, 0xffffff00, v50
	v_sub_i16 v44, v52, v44 clamp
	v_or_b32_sdwa v44, v44, v50 dst_sel:DWORD dst_unused:UNUSED_PAD src0_sel:BYTE_1 src1_sel:DWORD
	v_and_b32_sdwa v50, v24, s30 dst_sel:DWORD dst_unused:UNUSED_PAD src0_sel:WORD_1 src1_sel:DWORD
	v_sub_i16 v48, v50, v48 clamp
	v_lshlrev_b16_sdwa v24, v39, v24 dst_sel:DWORD dst_unused:UNUSED_PAD src0_sel:DWORD src1_sel:WORD_1
	v_lshlrev_b16_e32 v50, 8, v51
	v_and_b32_e32 v48, 0xffffff00, v48
	v_sub_i16 v24, v24, v50 clamp
	v_or_b32_sdwa v24, v24, v48 dst_sel:WORD_1 dst_unused:UNUSED_PAD src0_sel:BYTE_1 src1_sel:DWORD
	v_lshrrev_b16_e32 v48, 5, v49
	v_or_b32_sdwa v24, v44, v24 dst_sel:DWORD dst_unused:UNUSED_PAD src0_sel:WORD_0 src1_sel:DWORD
	v_and_b32_e32 v44, 0x80000000, v47
	v_cmp_ne_u16_sdwa s[34:35], v44, v15 src0_sel:BYTE_3 src1_sel:DWORD
	v_bfe_i32 v48, v48, 0, 1
	v_lshrrev_b32_e32 v47, 22, v47
	v_cndmask_b32_e64 v44, 0, -1, s[34:35]
	v_bfe_i32 v47, v47, 0, 1
	v_lshlrev_b16_e32 v44, 8, v44
	v_lshlrev_b16_e32 v48, 8, v48
	v_or_b32_sdwa v49, v47, v44 dst_sel:WORD_1 dst_unused:UNUSED_PAD src0_sel:BYTE_0 src1_sel:DWORD
	v_or_b32_sdwa v50, v46, v48 dst_sel:DWORD dst_unused:UNUSED_PAD src0_sel:BYTE_0 src1_sel:DWORD
	v_or_b32_sdwa v49, v50, v49 dst_sel:DWORD dst_unused:UNUSED_PAD src0_sel:WORD_0 src1_sel:DWORD
	v_xor_b32_e32 v25, v25, v49
	v_and_b32_e32 v49, 0xffffff00, v25
	v_sub_i16 v48, v49, v48 clamp
	v_lshlrev_b16_e32 v49, 8, v25
	v_lshlrev_b16_e32 v46, 8, v46
	v_and_b32_e32 v48, 0xffffff00, v48
	v_sub_i16 v46, v49, v46 clamp
	v_or_b32_sdwa v46, v46, v48 dst_sel:DWORD dst_unused:UNUSED_PAD src0_sel:BYTE_1 src1_sel:DWORD
	v_and_b32_sdwa v48, v25, s30 dst_sel:DWORD dst_unused:UNUSED_PAD src0_sel:WORD_1 src1_sel:DWORD
	v_sub_i16 v44, v48, v44 clamp
	v_lshlrev_b16_sdwa v25, v39, v25 dst_sel:DWORD dst_unused:UNUSED_PAD src0_sel:DWORD src1_sel:WORD_1
	v_lshlrev_b16_e32 v47, 8, v47
	v_and_b32_e32 v44, 0xffffff00, v44
	v_sub_i16 v25, v25, v47 clamp
	v_or_b32_sdwa v25, v25, v44 dst_sel:WORD_1 dst_unused:UNUSED_PAD src0_sel:BYTE_1 src1_sel:DWORD
	v_dot4c_i32_i8_e32 v27, v24, v11
	v_and_b32_e32 v24, 0x1ff, v42
	v_or_b32_sdwa v25, v46, v25 dst_sel:DWORD dst_unused:UNUSED_PAD src0_sel:WORD_0 src1_sel:DWORD
	v_lshlrev_b32_e32 v24, 3, v24
	v_dot4c_i32_i8_e32 v27, v25, v4
	global_load_dwordx2 v[24:25], v24, s[20:21]
	v_lshrrev_b16_e32 v44, 9, v42
	v_bcnt_u32_b32 v46, v44, 0
	v_and_b32_e32 v46, 1, v46
	v_lshl_or_b32 v46, v46, 7, v44
	v_mul_lo_u32 v46, v46, s29
	v_and_b32_e32 v47, 0x8000000, v46
	v_lshrrev_b32_e32 v48, 8, v46
	v_lshrrev_b16_e32 v49, 1, v48
	v_cmp_ne_u16_sdwa s[34:35], v47, v15 src0_sel:BYTE_3 src1_sel:DWORD
	v_lshlrev_b16_e32 v42, 6, v42
	v_bfe_i32 v49, v49, 0, 1
	v_lshrrev_b32_e32 v50, 18, v46
	v_cndmask_b32_e64 v47, 0, -1, s[34:35]
	v_ashrrev_i16_e32 v42, 15, v42
	v_bfe_i32 v50, v50, 0, 1
	v_lshlrev_b16_e32 v47, 8, v47
	v_lshlrev_b16_e32 v49, 8, v49
	v_or_b32_sdwa v51, v50, v47 dst_sel:WORD_1 dst_unused:UNUSED_PAD src0_sel:BYTE_0 src1_sel:DWORD
	v_or_b32_sdwa v52, v42, v49 dst_sel:DWORD dst_unused:UNUSED_PAD src0_sel:BYTE_0 src1_sel:DWORD
	v_or_b32_sdwa v51, v52, v51 dst_sel:DWORD dst_unused:UNUSED_PAD src0_sel:WORD_0 src1_sel:DWORD
	v_lshlrev_b16_e32 v42, 8, v42
	v_bfe_i32 v44, v44, 4, 1
	s_waitcnt vmcnt(0)
	v_xor_b32_e32 v24, v24, v51
	v_and_b32_e32 v51, 0xffffff00, v24
	v_sub_i16 v49, v51, v49 clamp
	v_lshlrev_b16_e32 v51, 8, v24
	v_and_b32_e32 v49, 0xffffff00, v49
	v_sub_i16 v42, v51, v42 clamp
	v_or_b32_sdwa v42, v42, v49 dst_sel:DWORD dst_unused:UNUSED_PAD src0_sel:BYTE_1 src1_sel:DWORD
	v_and_b32_sdwa v49, v24, s30 dst_sel:DWORD dst_unused:UNUSED_PAD src0_sel:WORD_1 src1_sel:DWORD
	v_sub_i16 v47, v49, v47 clamp
	v_lshlrev_b16_sdwa v24, v39, v24 dst_sel:DWORD dst_unused:UNUSED_PAD src0_sel:DWORD src1_sel:WORD_1
	v_lshlrev_b16_e32 v49, 8, v50
	v_and_b32_e32 v47, 0xffffff00, v47
	v_sub_i16 v24, v24, v49 clamp
	v_or_b32_sdwa v24, v24, v47 dst_sel:WORD_1 dst_unused:UNUSED_PAD src0_sel:BYTE_1 src1_sel:DWORD
	v_lshrrev_b16_e32 v47, 5, v48
	v_or_b32_sdwa v24, v42, v24 dst_sel:DWORD dst_unused:UNUSED_PAD src0_sel:WORD_0 src1_sel:DWORD
	v_and_b32_e32 v42, 0x80000000, v46
	v_cmp_ne_u16_sdwa s[34:35], v42, v15 src0_sel:BYTE_3 src1_sel:DWORD
	v_bfe_i32 v47, v47, 0, 1
	v_lshrrev_b32_e32 v46, 22, v46
	v_cndmask_b32_e64 v42, 0, -1, s[34:35]
	v_bfe_i32 v46, v46, 0, 1
	v_lshlrev_b16_e32 v42, 8, v42
	v_lshlrev_b16_e32 v47, 8, v47
	v_or_b32_sdwa v48, v46, v42 dst_sel:WORD_1 dst_unused:UNUSED_PAD src0_sel:BYTE_0 src1_sel:DWORD
	v_or_b32_sdwa v49, v44, v47 dst_sel:DWORD dst_unused:UNUSED_PAD src0_sel:BYTE_0 src1_sel:DWORD
	v_or_b32_sdwa v48, v49, v48 dst_sel:DWORD dst_unused:UNUSED_PAD src0_sel:WORD_0 src1_sel:DWORD
	v_xor_b32_e32 v25, v25, v48
	v_and_b32_e32 v48, 0xffffff00, v25
	v_sub_i16 v47, v48, v47 clamp
	v_lshlrev_b16_e32 v48, 8, v25
	v_lshlrev_b16_e32 v44, 8, v44
	v_and_b32_e32 v47, 0xffffff00, v47
	v_sub_i16 v44, v48, v44 clamp
	v_or_b32_sdwa v44, v44, v47 dst_sel:DWORD dst_unused:UNUSED_PAD src0_sel:BYTE_1 src1_sel:DWORD
	v_and_b32_sdwa v47, v25, s30 dst_sel:DWORD dst_unused:UNUSED_PAD src0_sel:WORD_1 src1_sel:DWORD
	v_sub_i16 v42, v47, v42 clamp
	v_lshlrev_b16_sdwa v25, v39, v25 dst_sel:DWORD dst_unused:UNUSED_PAD src0_sel:DWORD src1_sel:WORD_1
	v_lshlrev_b16_e32 v46, 8, v46
	v_and_b32_e32 v42, 0xffffff00, v42
	v_sub_i16 v25, v25, v46 clamp
	v_or_b32_sdwa v25, v25, v42 dst_sel:WORD_1 dst_unused:UNUSED_PAD src0_sel:BYTE_1 src1_sel:DWORD
	v_mov_b32_e32 v42, 0
	v_dot4c_i32_i8_e32 v42, v24, v5
	v_and_b32_e32 v24, 0x1ff, v45
	v_or_b32_sdwa v25, v44, v25 dst_sel:DWORD dst_unused:UNUSED_PAD src0_sel:WORD_0 src1_sel:DWORD
	v_lshlrev_b32_e32 v24, 3, v24
	v_dot4c_i32_i8_e32 v42, v25, v6
	global_load_dwordx2 v[24:25], v24, s[20:21]
	v_dot4c_i32_i8_e32 v42, v34, v7
	v_lshrrev_b16_e32 v34, 9, v45
	v_dot4c_i32_i8_e32 v42, v35, v26
	v_bcnt_u32_b32 v35, v34, 0
	v_and_b32_e32 v35, 1, v35
	v_lshl_or_b32 v35, v35, 7, v34
	v_mul_lo_u32 v35, v35, s29
	v_and_b32_e32 v44, 0x8000000, v35
	v_lshrrev_b32_e32 v46, 8, v35
	v_lshrrev_b16_e32 v47, 1, v46
	v_cmp_ne_u16_sdwa s[34:35], v44, v15 src0_sel:BYTE_3 src1_sel:DWORD
	v_lshlrev_b16_e32 v45, 6, v45
	v_bfe_i32 v47, v47, 0, 1
	v_lshrrev_b32_e32 v48, 18, v35
	v_cndmask_b32_e64 v44, 0, -1, s[34:35]
	v_ashrrev_i16_e32 v45, 15, v45
	v_bfe_i32 v48, v48, 0, 1
	v_lshlrev_b16_e32 v44, 8, v44
	v_lshlrev_b16_e32 v47, 8, v47
	v_or_b32_sdwa v49, v48, v44 dst_sel:WORD_1 dst_unused:UNUSED_PAD src0_sel:BYTE_0 src1_sel:DWORD
	v_or_b32_sdwa v50, v45, v47 dst_sel:DWORD dst_unused:UNUSED_PAD src0_sel:BYTE_0 src1_sel:DWORD
	v_or_b32_sdwa v49, v50, v49 dst_sel:DWORD dst_unused:UNUSED_PAD src0_sel:WORD_0 src1_sel:DWORD
	v_lshlrev_b16_e32 v45, 8, v45
	v_bfe_i32 v34, v34, 4, 1
	s_waitcnt vmcnt(0)
	v_xor_b32_e32 v24, v24, v49
	v_and_b32_e32 v49, 0xffffff00, v24
	v_sub_i16 v47, v49, v47 clamp
	v_lshlrev_b16_e32 v49, 8, v24
	v_and_b32_e32 v47, 0xffffff00, v47
	v_sub_i16 v45, v49, v45 clamp
	v_or_b32_sdwa v45, v45, v47 dst_sel:DWORD dst_unused:UNUSED_PAD src0_sel:BYTE_1 src1_sel:DWORD
	v_and_b32_sdwa v47, v24, s30 dst_sel:DWORD dst_unused:UNUSED_PAD src0_sel:WORD_1 src1_sel:DWORD
	v_sub_i16 v44, v47, v44 clamp
	v_lshlrev_b16_sdwa v24, v39, v24 dst_sel:DWORD dst_unused:UNUSED_PAD src0_sel:DWORD src1_sel:WORD_1
	v_lshlrev_b16_e32 v47, 8, v48
	v_and_b32_e32 v44, 0xffffff00, v44
	v_sub_i16 v24, v24, v47 clamp
	v_or_b32_sdwa v24, v24, v44 dst_sel:WORD_1 dst_unused:UNUSED_PAD src0_sel:BYTE_1 src1_sel:DWORD
	v_and_b32_e32 v44, 0x80000000, v35
	v_or_b32_sdwa v24, v45, v24 dst_sel:DWORD dst_unused:UNUSED_PAD src0_sel:WORD_0 src1_sel:DWORD
	v_lshrrev_b16_e32 v45, 5, v46
	v_cmp_ne_u16_sdwa s[34:35], v44, v15 src0_sel:BYTE_3 src1_sel:DWORD
	v_bfe_i32 v45, v45, 0, 1
	v_lshrrev_b32_e32 v35, 22, v35
	v_cndmask_b32_e64 v44, 0, -1, s[34:35]
	v_bfe_i32 v35, v35, 0, 1
	v_lshlrev_b16_e32 v44, 8, v44
	v_lshlrev_b16_e32 v45, 8, v45
	v_or_b32_sdwa v46, v35, v44 dst_sel:WORD_1 dst_unused:UNUSED_PAD src0_sel:BYTE_0 src1_sel:DWORD
	v_or_b32_sdwa v47, v34, v45 dst_sel:DWORD dst_unused:UNUSED_PAD src0_sel:BYTE_0 src1_sel:DWORD
	v_or_b32_sdwa v46, v47, v46 dst_sel:DWORD dst_unused:UNUSED_PAD src0_sel:WORD_0 src1_sel:DWORD
	v_xor_b32_e32 v25, v25, v46
	v_and_b32_e32 v46, 0xffffff00, v25
	v_sub_i16 v45, v46, v45 clamp
	v_lshlrev_b16_e32 v46, 8, v25
	v_lshlrev_b16_e32 v34, 8, v34
	v_and_b32_e32 v45, 0xffffff00, v45
	v_sub_i16 v34, v46, v34 clamp
	v_or_b32_sdwa v34, v34, v45 dst_sel:DWORD dst_unused:UNUSED_PAD src0_sel:BYTE_1 src1_sel:DWORD
	v_and_b32_sdwa v45, v25, s30 dst_sel:DWORD dst_unused:UNUSED_PAD src0_sel:WORD_1 src1_sel:DWORD
	v_sub_i16 v44, v45, v44 clamp
	v_lshlrev_b16_sdwa v25, v39, v25 dst_sel:DWORD dst_unused:UNUSED_PAD src0_sel:DWORD src1_sel:WORD_1
	v_lshlrev_b16_e32 v35, 8, v35
	v_and_b32_e32 v44, 0xffffff00, v44
	v_sub_i16 v25, v25, v35 clamp
	v_or_b32_sdwa v25, v25, v44 dst_sel:WORD_1 dst_unused:UNUSED_PAD src0_sel:BYTE_1 src1_sel:DWORD
	s_nop 0
	v_or_b32_sdwa v25, v34, v25 dst_sel:DWORD dst_unused:UNUSED_PAD src0_sel:WORD_0 src1_sel:DWORD
	v_mov_b32_e32 v34, 0
	v_dot4c_i32_i8_e32 v34, v24, v9
	v_and_b32_e32 v9, 0x1ff, v43
	v_lshlrev_b32_e32 v9, 3, v9
	v_dot4c_i32_i8_e32 v34, v25, v10
	global_load_dwordx2 v[24:25], v9, s[20:21]
	v_lshrrev_b16_e32 v9, 9, v43
	v_bcnt_u32_b32 v10, v9, 0
	v_and_b32_e32 v10, 1, v10
	v_lshl_or_b32 v10, v10, 7, v9
	v_mul_lo_u32 v10, v10, s29
	v_and_b32_e32 v35, 0x8000000, v10
	v_lshrrev_b32_e32 v44, 8, v10
	v_lshrrev_b16_e32 v45, 1, v44
	v_cmp_ne_u16_sdwa s[34:35], v35, v15 src0_sel:BYTE_3 src1_sel:DWORD
	v_lshlrev_b16_e32 v43, 6, v43
	v_bfe_i32 v45, v45, 0, 1
	v_lshrrev_b32_e32 v46, 18, v10
	v_cndmask_b32_e64 v35, 0, -1, s[34:35]
	v_ashrrev_i16_e32 v43, 15, v43
	v_bfe_i32 v46, v46, 0, 1
	v_lshlrev_b16_e32 v35, 8, v35
	v_lshlrev_b16_e32 v45, 8, v45
	v_or_b32_sdwa v47, v46, v35 dst_sel:WORD_1 dst_unused:UNUSED_PAD src0_sel:BYTE_0 src1_sel:DWORD
	v_or_b32_sdwa v48, v43, v45 dst_sel:DWORD dst_unused:UNUSED_PAD src0_sel:BYTE_0 src1_sel:DWORD
	v_or_b32_sdwa v47, v48, v47 dst_sel:DWORD dst_unused:UNUSED_PAD src0_sel:WORD_0 src1_sel:DWORD
	v_lshlrev_b16_e32 v43, 8, v43
	v_bfe_i32 v9, v9, 4, 1
	s_waitcnt vmcnt(0)
	v_xor_b32_e32 v24, v24, v47
	v_and_b32_e32 v47, 0xffffff00, v24
	v_sub_i16 v45, v47, v45 clamp
	v_lshlrev_b16_e32 v47, 8, v24
	v_and_b32_e32 v45, 0xffffff00, v45
	v_sub_i16 v43, v47, v43 clamp
	v_or_b32_sdwa v43, v43, v45 dst_sel:DWORD dst_unused:UNUSED_PAD src0_sel:BYTE_1 src1_sel:DWORD
	v_and_b32_sdwa v45, v24, s30 dst_sel:DWORD dst_unused:UNUSED_PAD src0_sel:WORD_1 src1_sel:DWORD
	v_sub_i16 v35, v45, v35 clamp
	v_lshlrev_b16_sdwa v24, v39, v24 dst_sel:DWORD dst_unused:UNUSED_PAD src0_sel:DWORD src1_sel:WORD_1
	v_lshlrev_b16_e32 v45, 8, v46
	v_and_b32_e32 v35, 0xffffff00, v35
	v_sub_i16 v24, v24, v45 clamp
	v_or_b32_sdwa v24, v24, v35 dst_sel:WORD_1 dst_unused:UNUSED_PAD src0_sel:BYTE_1 src1_sel:DWORD
	v_and_b32_e32 v35, 0x80000000, v10
	v_or_b32_sdwa v24, v43, v24 dst_sel:DWORD dst_unused:UNUSED_PAD src0_sel:WORD_0 src1_sel:DWORD
	v_lshrrev_b16_e32 v43, 5, v44
	v_cmp_ne_u16_sdwa s[34:35], v35, v15 src0_sel:BYTE_3 src1_sel:DWORD
	v_bfe_i32 v43, v43, 0, 1
	v_lshrrev_b32_e32 v10, 22, v10
	v_cndmask_b32_e64 v35, 0, -1, s[34:35]
	v_bfe_i32 v10, v10, 0, 1
	v_lshlrev_b16_e32 v35, 8, v35
	v_lshlrev_b16_e32 v43, 8, v43
	v_or_b32_sdwa v44, v10, v35 dst_sel:WORD_1 dst_unused:UNUSED_PAD src0_sel:BYTE_0 src1_sel:DWORD
	v_or_b32_sdwa v45, v9, v43 dst_sel:DWORD dst_unused:UNUSED_PAD src0_sel:BYTE_0 src1_sel:DWORD
	v_or_b32_sdwa v44, v45, v44 dst_sel:DWORD dst_unused:UNUSED_PAD src0_sel:WORD_0 src1_sel:DWORD
	v_xor_b32_e32 v25, v25, v44
	v_and_b32_e32 v44, 0xffffff00, v25
	v_sub_i16 v43, v44, v43 clamp
	v_lshlrev_b16_e32 v44, 8, v25
	v_lshlrev_b16_e32 v9, 8, v9
	v_and_b32_e32 v43, 0xffffff00, v43
	v_sub_i16 v9, v44, v9 clamp
	v_or_b32_sdwa v9, v9, v43 dst_sel:DWORD dst_unused:UNUSED_PAD src0_sel:BYTE_1 src1_sel:DWORD
	v_and_b32_sdwa v43, v25, s30 dst_sel:DWORD dst_unused:UNUSED_PAD src0_sel:WORD_1 src1_sel:DWORD
	v_sub_i16 v35, v43, v35 clamp
	v_lshlrev_b16_sdwa v25, v39, v25 dst_sel:DWORD dst_unused:UNUSED_PAD src0_sel:DWORD src1_sel:WORD_1
	v_lshlrev_b16_e32 v10, 8, v10
	v_and_b32_e32 v35, 0xffffff00, v35
	v_sub_i16 v10, v25, v10 clamp
	v_or_b32_sdwa v10, v10, v35 dst_sel:WORD_1 dst_unused:UNUSED_PAD src0_sel:BYTE_1 src1_sel:DWORD
	v_dot4c_i32_i8_e32 v34, v24, v11
	v_or_b32_sdwa v9, v9, v10 dst_sel:DWORD dst_unused:UNUSED_PAD src0_sel:WORD_0 src1_sel:DWORD
	v_dot4c_i32_i8_e32 v34, v9, v4
	v_and_b32_e32 v4, 0x1ff, v41
	v_lshlrev_b32_e32 v4, 3, v4
	global_load_dwordx2 v[10:11], v4, s[20:21]
	v_lshrrev_b16_e32 v9, 9, v41
	v_bcnt_u32_b32 v4, v9, 0
	v_and_b32_e32 v4, 1, v4
	v_lshl_or_b32 v4, v4, 7, v9
	v_mul_lo_u32 v24, v4, s29
	v_and_b32_e32 v4, 0x8000000, v24
	v_lshrrev_b32_e32 v35, 8, v24
	v_lshlrev_b16_e32 v25, 6, v41
	v_lshrrev_b16_e32 v41, 1, v35
	v_cmp_ne_u16_sdwa s[20:21], v4, v15 src0_sel:BYTE_3 src1_sel:DWORD
	v_bfe_i32 v41, v41, 0, 1
	v_lshrrev_b32_e32 v43, 18, v24
	v_cndmask_b32_e64 v4, 0, -1, s[20:21]
	v_ashrrev_i16_e32 v25, 15, v25
	v_bfe_i32 v43, v43, 0, 1
	v_lshlrev_b16_e32 v4, 8, v4
	v_lshlrev_b16_e32 v41, 8, v41
	v_or_b32_sdwa v44, v43, v4 dst_sel:WORD_1 dst_unused:UNUSED_PAD src0_sel:BYTE_0 src1_sel:DWORD
	v_or_b32_sdwa v45, v25, v41 dst_sel:DWORD dst_unused:UNUSED_PAD src0_sel:BYTE_0 src1_sel:DWORD
	v_or_b32_sdwa v44, v45, v44 dst_sel:DWORD dst_unused:UNUSED_PAD src0_sel:WORD_0 src1_sel:DWORD
	v_lshlrev_b16_e32 v25, 8, v25
	v_bfe_i32 v9, v9, 4, 1
	s_waitcnt vmcnt(0)
	v_xor_b32_e32 v10, v10, v44
	v_and_b32_e32 v44, 0xffffff00, v10
	v_sub_i16 v41, v44, v41 clamp
	v_lshlrev_b16_e32 v44, 8, v10
	v_and_b32_e32 v41, 0xffffff00, v41
	v_sub_i16 v25, v44, v25 clamp
	v_or_b32_sdwa v25, v25, v41 dst_sel:DWORD dst_unused:UNUSED_PAD src0_sel:BYTE_1 src1_sel:DWORD
	v_and_b32_sdwa v41, v10, s30 dst_sel:DWORD dst_unused:UNUSED_PAD src0_sel:WORD_1 src1_sel:DWORD
	v_sub_i16 v4, v41, v4 clamp
	v_lshlrev_b16_sdwa v10, v39, v10 dst_sel:DWORD dst_unused:UNUSED_PAD src0_sel:DWORD src1_sel:WORD_1
	v_lshlrev_b16_e32 v41, 8, v43
	v_and_b32_e32 v4, 0xffffff00, v4
	v_sub_i16 v10, v10, v41 clamp
	v_or_b32_sdwa v4, v10, v4 dst_sel:WORD_1 dst_unused:UNUSED_PAD src0_sel:BYTE_1 src1_sel:DWORD
	v_and_b32_e32 v10, 0x80000000, v24
	v_or_b32_sdwa v4, v25, v4 dst_sel:DWORD dst_unused:UNUSED_PAD src0_sel:WORD_0 src1_sel:DWORD
	v_lshrrev_b16_e32 v25, 5, v35
	v_cmp_ne_u16_sdwa s[20:21], v10, v15 src0_sel:BYTE_3 src1_sel:DWORD
	v_bfe_i32 v25, v25, 0, 1
	v_lshrrev_b32_e32 v24, 22, v24
	v_cndmask_b32_e64 v10, 0, -1, s[20:21]
	v_bfe_i32 v24, v24, 0, 1
	v_lshlrev_b16_e32 v10, 8, v10
	v_lshlrev_b16_e32 v25, 8, v25
	v_or_b32_sdwa v35, v24, v10 dst_sel:WORD_1 dst_unused:UNUSED_PAD src0_sel:BYTE_0 src1_sel:DWORD
	v_or_b32_sdwa v41, v9, v25 dst_sel:DWORD dst_unused:UNUSED_PAD src0_sel:BYTE_0 src1_sel:DWORD
	v_or_b32_sdwa v35, v41, v35 dst_sel:DWORD dst_unused:UNUSED_PAD src0_sel:WORD_0 src1_sel:DWORD
	v_xor_b32_e32 v11, v11, v35
	v_and_b32_e32 v35, 0xffffff00, v11
	v_sub_i16 v25, v35, v25 clamp
	v_lshlrev_b16_e32 v35, 8, v11
	v_lshlrev_b16_e32 v9, 8, v9
	v_and_b32_e32 v25, 0xffffff00, v25
	v_sub_i16 v9, v35, v9 clamp
	v_or_b32_sdwa v9, v9, v25 dst_sel:DWORD dst_unused:UNUSED_PAD src0_sel:BYTE_1 src1_sel:DWORD
	v_and_b32_sdwa v25, v11, s30 dst_sel:DWORD dst_unused:UNUSED_PAD src0_sel:WORD_1 src1_sel:DWORD
	v_sub_i16 v10, v25, v10 clamp
	v_lshlrev_b16_sdwa v11, v39, v11 dst_sel:DWORD dst_unused:UNUSED_PAD src0_sel:DWORD src1_sel:WORD_1
	v_lshlrev_b16_e32 v24, 8, v24
	v_and_b32_e32 v10, 0xffffff00, v10
	v_sub_i16 v11, v11, v24 clamp
	v_or_b32_sdwa v10, v11, v10 dst_sel:WORD_1 dst_unused:UNUSED_PAD src0_sel:BYTE_1 src1_sel:DWORD
	s_nop 0
	v_or_b32_sdwa v9, v9, v10 dst_sel:DWORD dst_unused:UNUSED_PAD src0_sel:WORD_0 src1_sel:DWORD
	v_mov_b32_e32 v10, 0
	v_dot4c_i32_i8_e32 v10, v4, v5
	v_dot4c_i32_i8_e32 v10, v9, v6
	v_dot4c_i32_i8_e32 v10, v30, v7
	v_dot4c_i32_i8_e32 v10, v31, v26
	v_mul_lo_u32 v4, v27, v32
	v_mul_lo_u32 v6, v42, v29
	;; [unrolled: 1-line block ×4, first 2 shown]
	v_add_u32_e32 v9, v10, v34
	v_add_u32_e32 v10, v42, v27
	v_lshrrev_b32_e32 v11, 31, v10
	v_add_u32_e32 v10, v10, v11
	v_ashrrev_i32_e32 v10, 1, v10
	v_lshrrev_b32_e32 v11, 31, v9
	v_add3_u32 v4, v6, v4, v10
	v_add_u32_e32 v9, v9, v11
	v_ashrrev_i32_e32 v6, 31, v4
	v_ashrrev_i32_e32 v9, 1, v9
	v_lshrrev_b32_e32 v6, 30, v6
	v_add3_u32 v5, v7, v5, v9
	v_add_u32_e32 v4, v4, v6
	v_ashrrev_i32_e32 v6, 2, v4
	v_ashrrev_i32_e32 v4, 31, v5
	v_lshrrev_b32_e32 v4, 30, v4
	v_add_u32_e32 v4, v5, v4
	v_ashrrev_i32_e32 v7, 2, v4
	v_cvt_f32_i32_e32 v7, v7
	v_cvt_f32_i32_e32 v6, v6
	v_pk_mul_f32 v[4:5], v[8:9], v[22:23] op_sel_hi:[0,1]
	v_pk_fma_f32 v[2:3], v[4:5], v[6:7], v[2:3]
	scratch_store_dwordx4 off, v[0:3], off offset:48
	s_andn2_b64 exec, exec, s[12:13]
	s_cbranch_execnz .LBB179_2
.LBB179_3:
	s_or_b64 exec, exec, s[6:7]
	s_mov_b32 s5, 0
	v_cmp_eq_u32_e32 vcc, 0, v13
	s_waitcnt lgkmcnt(0)
	; wave barrier
	s_and_saveexec_b64 s[6:7], vcc
	s_cbranch_execz .LBB179_20
; %bb.4:
	scratch_load_dwordx2 v[2:3], off, off
	v_mbcnt_lo_u32_b32 v0, -1, 0
	v_mbcnt_hi_u32_b32 v13, -1, v0
	s_load_dwordx2 s[6:7], s[0:1], 0x38
	s_mul_i32 s0, s3, s14
	v_or_b32_e32 v1, s2, v12
	v_and_b32_e32 v0, 64, v13
	s_mul_i32 s4, s4, s18
	s_add_i32 s2, s0, s2
	v_cmp_gt_u32_e64 s[0:1], s10, v1
	v_xor_b32_e32 v1, 32, v13
	v_add_u32_e32 v14, 64, v0
	s_add_i32 s4, s2, s4
	v_cmp_lt_i32_e64 s[2:3], v1, v14
	v_cmp_gt_u32_e32 vcc, 2, v12
	s_nop 0
	v_cndmask_b32_e64 v0, v13, v1, s[2:3]
	v_lshlrev_b32_e32 v0, 2, v0
	v_xor_b32_e32 v1, 16, v13
	v_cmp_lt_i32_e64 s[2:3], v1, v14
	s_waitcnt vmcnt(0)
	ds_bpermute_b32 v4, v0, v2
	ds_bpermute_b32 v5, v0, v3
	v_cndmask_b32_e64 v1, v13, v1, s[2:3]
	v_lshlrev_b32_e32 v1, 2, v1
	s_waitcnt lgkmcnt(0)
	v_pk_add_f32 v[4:5], v[2:3], v[4:5]
	ds_bpermute_b32 v6, v1, v4
	ds_bpermute_b32 v7, v1, v5
	v_xor_b32_e32 v2, 8, v13
	v_cmp_lt_i32_e64 s[2:3], v2, v14
	v_xor_b32_e32 v3, 4, v13
	s_waitcnt lgkmcnt(0)
	v_pk_add_f32 v[4:5], v[4:5], v[6:7]
	v_cndmask_b32_e64 v2, v13, v2, s[2:3]
	v_lshlrev_b32_e32 v2, 2, v2
	ds_bpermute_b32 v6, v2, v4
	ds_bpermute_b32 v7, v2, v5
	v_cmp_lt_i32_e64 s[2:3], v3, v14
	s_waitcnt lgkmcnt(0)
	v_pk_add_f32 v[6:7], v[4:5], v[6:7]
	v_cndmask_b32_e64 v3, v13, v3, s[2:3]
	v_lshlrev_b32_e32 v3, 2, v3
	ds_bpermute_b32 v8, v3, v6
	ds_bpermute_b32 v9, v3, v7
	v_xor_b32_e32 v4, 2, v13
	v_cmp_lt_i32_e64 s[2:3], v4, v14
	v_xor_b32_e32 v5, 1, v13
	s_waitcnt lgkmcnt(0)
	v_pk_add_f32 v[8:9], v[6:7], v[8:9]
	v_cndmask_b32_e64 v4, v13, v4, s[2:3]
	v_lshlrev_b32_e32 v4, 2, v4
	ds_bpermute_b32 v10, v4, v8
	ds_bpermute_b32 v11, v4, v9
	v_cmp_lt_i32_e64 s[2:3], v5, v14
	s_waitcnt lgkmcnt(0)
	v_pk_add_f32 v[8:9], v[8:9], v[10:11]
	v_cndmask_b32_e64 v5, v13, v5, s[2:3]
	v_lshlrev_b32_e32 v6, 2, v5
	ds_bpermute_b32 v10, v6, v8
	ds_bpermute_b32 v11, v6, v9
	s_lshl_b64 s[2:3], s[4:5], 2
	s_add_u32 s2, s6, s2
	s_addc_u32 s3, s7, s3
	s_and_b64 s[0:1], vcc, s[0:1]
	s_waitcnt lgkmcnt(0)
	v_pk_add_f32 v[8:9], v[8:9], v[10:11]
	v_lshlrev_b32_e32 v5, 2, v12
	scratch_store_dwordx2 off, v[8:9], off
	s_and_saveexec_b64 s[4:5], s[0:1]
	s_cbranch_execz .LBB179_6
; %bb.5:
	scratch_load_dword v7, v5, off
	s_waitcnt vmcnt(0)
	global_store_dword v5, v7, s[2:3]
.LBB179_6:
	s_or_b64 exec, exec, s[4:5]
	scratch_load_dwordx2 v[8:9], off, off offset:8
	s_waitcnt vmcnt(0)
	ds_bpermute_b32 v10, v0, v8
	ds_bpermute_b32 v11, v0, v9
	s_waitcnt lgkmcnt(0)
	v_pk_add_f32 v[8:9], v[8:9], v[10:11]
	ds_bpermute_b32 v10, v1, v8
	ds_bpermute_b32 v11, v1, v9
	s_waitcnt lgkmcnt(0)
	v_pk_add_f32 v[8:9], v[8:9], v[10:11]
	;; [unrolled: 4-line block ×6, first 2 shown]
	scratch_store_dwordx2 off, v[8:9], off offset:8
	s_and_saveexec_b64 s[4:5], s[0:1]
	s_cbranch_execz .LBB179_8
; %bb.7:
	scratch_load_dword v7, v5, off offset:8
	v_add_u32_e32 v8, s10, v12
	v_mov_b32_e32 v9, 0
	v_lshl_add_u64 v[8:9], v[8:9], 2, s[2:3]
	s_waitcnt vmcnt(0)
	global_store_dword v[8:9], v7, off
.LBB179_8:
	s_or_b64 exec, exec, s[4:5]
	scratch_load_dwordx2 v[8:9], off, off offset:16
	s_waitcnt vmcnt(0)
	ds_bpermute_b32 v10, v0, v8
	ds_bpermute_b32 v11, v0, v9
	s_waitcnt lgkmcnt(0)
	v_pk_add_f32 v[8:9], v[8:9], v[10:11]
	ds_bpermute_b32 v10, v1, v8
	ds_bpermute_b32 v11, v1, v9
	s_waitcnt lgkmcnt(0)
	v_pk_add_f32 v[8:9], v[8:9], v[10:11]
	;; [unrolled: 4-line block ×6, first 2 shown]
	scratch_store_dwordx2 off, v[8:9], off offset:16
	s_and_saveexec_b64 s[4:5], s[0:1]
	s_cbranch_execz .LBB179_10
; %bb.9:
	scratch_load_dword v7, v5, off offset:16
	v_lshl_or_b32 v8, s10, 1, v12
	v_mov_b32_e32 v9, 0
	v_lshl_add_u64 v[8:9], v[8:9], 2, s[2:3]
	s_waitcnt vmcnt(0)
	global_store_dword v[8:9], v7, off
.LBB179_10:
	s_or_b64 exec, exec, s[4:5]
	scratch_load_dwordx2 v[8:9], off, off offset:24
	s_waitcnt vmcnt(0)
	ds_bpermute_b32 v10, v0, v8
	ds_bpermute_b32 v11, v0, v9
	s_waitcnt lgkmcnt(0)
	v_pk_add_f32 v[8:9], v[8:9], v[10:11]
	ds_bpermute_b32 v10, v1, v8
	ds_bpermute_b32 v11, v1, v9
	s_waitcnt lgkmcnt(0)
	v_pk_add_f32 v[8:9], v[8:9], v[10:11]
	;; [unrolled: 4-line block ×6, first 2 shown]
	scratch_store_dwordx2 off, v[8:9], off offset:24
	s_and_saveexec_b64 s[4:5], s[0:1]
	s_cbranch_execz .LBB179_12
; %bb.11:
	scratch_load_dword v7, v5, off offset:24
	v_mad_u64_u32 v[8:9], s[6:7], s10, 3, v[12:13]
	v_mov_b32_e32 v9, 0
	v_lshl_add_u64 v[8:9], v[8:9], 2, s[2:3]
	s_waitcnt vmcnt(0)
	global_store_dword v[8:9], v7, off
.LBB179_12:
	s_or_b64 exec, exec, s[4:5]
	scratch_load_dwordx2 v[8:9], off, off offset:32
	s_waitcnt vmcnt(0)
	ds_bpermute_b32 v10, v0, v8
	ds_bpermute_b32 v11, v0, v9
	s_waitcnt lgkmcnt(0)
	v_pk_add_f32 v[8:9], v[8:9], v[10:11]
	ds_bpermute_b32 v10, v1, v8
	ds_bpermute_b32 v11, v1, v9
	s_waitcnt lgkmcnt(0)
	v_pk_add_f32 v[8:9], v[8:9], v[10:11]
	;; [unrolled: 4-line block ×6, first 2 shown]
	scratch_store_dwordx2 off, v[8:9], off offset:32
	s_and_saveexec_b64 s[4:5], s[0:1]
	s_cbranch_execz .LBB179_14
; %bb.13:
	scratch_load_dword v7, v5, off offset:32
	v_lshl_or_b32 v8, s10, 2, v12
	v_mov_b32_e32 v9, 0
	v_lshl_add_u64 v[8:9], v[8:9], 2, s[2:3]
	s_waitcnt vmcnt(0)
	global_store_dword v[8:9], v7, off
.LBB179_14:
	s_or_b64 exec, exec, s[4:5]
	scratch_load_dwordx2 v[8:9], off, off offset:40
	s_waitcnt vmcnt(0)
	ds_bpermute_b32 v10, v0, v8
	ds_bpermute_b32 v11, v0, v9
	s_waitcnt lgkmcnt(0)
	v_pk_add_f32 v[8:9], v[8:9], v[10:11]
	ds_bpermute_b32 v10, v1, v8
	ds_bpermute_b32 v11, v1, v9
	s_waitcnt lgkmcnt(0)
	v_pk_add_f32 v[8:9], v[8:9], v[10:11]
	;; [unrolled: 4-line block ×6, first 2 shown]
	scratch_store_dwordx2 off, v[8:9], off offset:40
	s_and_saveexec_b64 s[4:5], s[0:1]
	s_cbranch_execz .LBB179_16
; %bb.15:
	scratch_load_dword v7, v5, off offset:40
	v_mad_u64_u32 v[8:9], s[6:7], s10, 5, v[12:13]
	v_mov_b32_e32 v9, 0
	v_lshl_add_u64 v[8:9], v[8:9], 2, s[2:3]
	s_waitcnt vmcnt(0)
	global_store_dword v[8:9], v7, off
.LBB179_16:
	s_or_b64 exec, exec, s[4:5]
	scratch_load_dwordx2 v[8:9], off, off offset:48
	s_waitcnt vmcnt(0)
	ds_bpermute_b32 v10, v0, v8
	ds_bpermute_b32 v11, v0, v9
	s_waitcnt lgkmcnt(0)
	v_pk_add_f32 v[8:9], v[8:9], v[10:11]
	ds_bpermute_b32 v10, v1, v8
	ds_bpermute_b32 v11, v1, v9
	s_waitcnt lgkmcnt(0)
	v_pk_add_f32 v[8:9], v[8:9], v[10:11]
	;; [unrolled: 4-line block ×6, first 2 shown]
	scratch_store_dwordx2 off, v[8:9], off offset:48
	s_and_saveexec_b64 s[4:5], s[0:1]
	s_cbranch_execz .LBB179_18
; %bb.17:
	scratch_load_dword v7, v5, off offset:48
	s_mul_i32 s6, s10, 6
	v_or_b32_e32 v8, s6, v12
	v_mov_b32_e32 v9, 0
	v_lshl_add_u64 v[8:9], v[8:9], 2, s[2:3]
	s_waitcnt vmcnt(0)
	global_store_dword v[8:9], v7, off
.LBB179_18:
	s_or_b64 exec, exec, s[4:5]
	scratch_load_dwordx2 v[8:9], off, off offset:56
	s_waitcnt vmcnt(0)
	ds_bpermute_b32 v10, v0, v8
	ds_bpermute_b32 v11, v0, v9
	s_waitcnt lgkmcnt(0)
	v_pk_add_f32 v[8:9], v[8:9], v[10:11]
	ds_bpermute_b32 v0, v1, v8
	ds_bpermute_b32 v1, v1, v9
	s_waitcnt lgkmcnt(0)
	v_pk_add_f32 v[0:1], v[8:9], v[0:1]
	;; [unrolled: 4-line block ×6, first 2 shown]
	scratch_store_dwordx2 off, v[0:1], off offset:56
	s_and_b64 exec, exec, s[0:1]
	s_cbranch_execz .LBB179_20
; %bb.19:
	scratch_load_dword v2, v5, off offset:56
	v_mad_u64_u32 v[0:1], s[0:1], s10, 7, v[12:13]
	v_mov_b32_e32 v1, 0
	v_lshl_add_u64 v[0:1], v[0:1], 2, s[2:3]
	s_waitcnt vmcnt(0)
	global_store_dword v[0:1], v2, off
.LBB179_20:
	s_endpgm
	.section	.rodata,"a",@progbits
	.p2align	6, 0x0
	.amdhsa_kernel _ZL13mul_mat_vec_qIL9ggml_type17ELi8ELb0ELb0EEvPKvS2_PKi31ggml_cuda_mm_fusion_args_devicePfj15HIP_vector_typeIjLj3EEjjjS8_jjjS8_jjjj
		.amdhsa_group_segment_fixed_size 0
		.amdhsa_private_segment_fixed_size 80
		.amdhsa_kernarg_size 144
		.amdhsa_user_sgpr_count 2
		.amdhsa_user_sgpr_dispatch_ptr 0
		.amdhsa_user_sgpr_queue_ptr 0
		.amdhsa_user_sgpr_kernarg_segment_ptr 1
		.amdhsa_user_sgpr_dispatch_id 0
		.amdhsa_user_sgpr_kernarg_preload_length 0
		.amdhsa_user_sgpr_kernarg_preload_offset 0
		.amdhsa_user_sgpr_private_segment_size 0
		.amdhsa_uses_dynamic_stack 0
		.amdhsa_enable_private_segment 1
		.amdhsa_system_sgpr_workgroup_id_x 1
		.amdhsa_system_sgpr_workgroup_id_y 1
		.amdhsa_system_sgpr_workgroup_id_z 1
		.amdhsa_system_sgpr_workgroup_info 0
		.amdhsa_system_vgpr_workitem_id 1
		.amdhsa_next_free_vgpr 68
		.amdhsa_next_free_sgpr 36
		.amdhsa_accum_offset 68
		.amdhsa_reserve_vcc 1
		.amdhsa_float_round_mode_32 0
		.amdhsa_float_round_mode_16_64 0
		.amdhsa_float_denorm_mode_32 3
		.amdhsa_float_denorm_mode_16_64 3
		.amdhsa_dx10_clamp 1
		.amdhsa_ieee_mode 1
		.amdhsa_fp16_overflow 0
		.amdhsa_tg_split 0
		.amdhsa_exception_fp_ieee_invalid_op 0
		.amdhsa_exception_fp_denorm_src 0
		.amdhsa_exception_fp_ieee_div_zero 0
		.amdhsa_exception_fp_ieee_overflow 0
		.amdhsa_exception_fp_ieee_underflow 0
		.amdhsa_exception_fp_ieee_inexact 0
		.amdhsa_exception_int_div_zero 0
	.end_amdhsa_kernel
	.section	.text._ZL13mul_mat_vec_qIL9ggml_type17ELi8ELb0ELb0EEvPKvS2_PKi31ggml_cuda_mm_fusion_args_devicePfj15HIP_vector_typeIjLj3EEjjjS8_jjjS8_jjjj,"axG",@progbits,_ZL13mul_mat_vec_qIL9ggml_type17ELi8ELb0ELb0EEvPKvS2_PKi31ggml_cuda_mm_fusion_args_devicePfj15HIP_vector_typeIjLj3EEjjjS8_jjjS8_jjjj,comdat
.Lfunc_end179:
	.size	_ZL13mul_mat_vec_qIL9ggml_type17ELi8ELb0ELb0EEvPKvS2_PKi31ggml_cuda_mm_fusion_args_devicePfj15HIP_vector_typeIjLj3EEjjjS8_jjjS8_jjjj, .Lfunc_end179-_ZL13mul_mat_vec_qIL9ggml_type17ELi8ELb0ELb0EEvPKvS2_PKi31ggml_cuda_mm_fusion_args_devicePfj15HIP_vector_typeIjLj3EEjjjS8_jjjS8_jjjj
                                        ; -- End function
	.section	.AMDGPU.csdata,"",@progbits
; Kernel info:
; codeLenInByte = 18284
; NumSgprs: 42
; NumVgprs: 68
; NumAgprs: 0
; TotalNumVgprs: 68
; ScratchSize: 80
; MemoryBound: 0
; FloatMode: 240
; IeeeMode: 1
; LDSByteSize: 0 bytes/workgroup (compile time only)
; SGPRBlocks: 5
; VGPRBlocks: 8
; NumSGPRsForWavesPerEU: 42
; NumVGPRsForWavesPerEU: 68
; AccumOffset: 68
; Occupancy: 7
; WaveLimiterHint : 0
; COMPUTE_PGM_RSRC2:SCRATCH_EN: 1
; COMPUTE_PGM_RSRC2:USER_SGPR: 2
; COMPUTE_PGM_RSRC2:TRAP_HANDLER: 0
; COMPUTE_PGM_RSRC2:TGID_X_EN: 1
; COMPUTE_PGM_RSRC2:TGID_Y_EN: 1
; COMPUTE_PGM_RSRC2:TGID_Z_EN: 1
; COMPUTE_PGM_RSRC2:TIDIG_COMP_CNT: 1
; COMPUTE_PGM_RSRC3_GFX90A:ACCUM_OFFSET: 16
; COMPUTE_PGM_RSRC3_GFX90A:TG_SPLIT: 0
	.section	.text._ZL17mul_mat_vec_q_moeIL9ggml_type22ELi2EEvPKvS2_PKiPfj15HIP_vector_typeIjLj3EEjjjjjjjjj,"axG",@progbits,_ZL17mul_mat_vec_q_moeIL9ggml_type22ELi2EEvPKvS2_PKiPfj15HIP_vector_typeIjLj3EEjjjjjjjjj,comdat
	.globl	_ZL17mul_mat_vec_q_moeIL9ggml_type22ELi2EEvPKvS2_PKiPfj15HIP_vector_typeIjLj3EEjjjjjjjjj ; -- Begin function _ZL17mul_mat_vec_q_moeIL9ggml_type22ELi2EEvPKvS2_PKiPfj15HIP_vector_typeIjLj3EEjjjjjjjjj
	.p2align	8
	.type	_ZL17mul_mat_vec_q_moeIL9ggml_type22ELi2EEvPKvS2_PKiPfj15HIP_vector_typeIjLj3EEjjjjjjjjj,@function
_ZL17mul_mat_vec_q_moeIL9ggml_type22ELi2EEvPKvS2_PKiPfj15HIP_vector_typeIjLj3EEjjjjjjjjj: ; @_ZL17mul_mat_vec_q_moeIL9ggml_type22ELi2EEvPKvS2_PKiPfj15HIP_vector_typeIjLj3EEjjjjjjjjj
; %bb.0:
	s_load_dwordx8 s[4:11], s[0:1], 0x30
	v_bfe_u32 v18, v0, 10, 10
	s_waitcnt lgkmcnt(0)
	v_cmp_gt_u32_e32 vcc, s11, v18
	s_and_saveexec_b64 s[12:13], vcc
	s_cbranch_execz .LBB180_7
; %bb.1:
	s_load_dword s11, s[0:1], 0x20
	s_load_dword s20, s[0:1], 0x50
	s_load_dwordx8 s[12:19], s[0:1], 0x0
	v_and_b32_e32 v19, 0x3ff, v0
	v_lshrrev_b32_e32 v20, 3, v19
	s_waitcnt lgkmcnt(0)
	s_lshr_b32 s11, s11, 8
	s_lshl_b32 s2, s2, 1
	v_cmp_gt_u32_e32 vcc, s11, v20
	v_mov_b32_e32 v11, 0
	v_mov_b32_e32 v10, 0
	s_and_saveexec_b64 s[24:25], vcc
	s_cbranch_execz .LBB180_5
; %bb.2:
	v_mul_lo_u32 v2, v18, s20
	v_mov_b32_e32 v0, s16
	v_mov_b32_e32 v1, s17
	v_add_u32_e32 v8, s3, v2
	v_mov_b32_e32 v9, 0
	v_lshl_add_u64 v[0:1], v[8:9], 2, v[0:1]
	global_load_dword v3, v[0:1], off
	s_load_dwordx4 s[20:23], s[0:1], 0x24
	v_mul_lo_u32 v0, v18, s6
	s_add_i32 s26, s2, 1
	s_waitcnt lgkmcnt(0)
	s_mul_i32 s23, s2, s5
	v_lshrrev_b32_e32 v2, 3, v19
	s_mul_hi_u32 s20, s20, s3
	s_add_i32 s20, s3, s20
	s_lshr_b32 s20, s20, s21
	s_mul_i32 s20, s20, s22
	s_movk_i32 s28, 0x120
	s_mul_i32 s5, s5, s26
	v_mad_u64_u32 v[0:1], s[26:27], v0, 36, 0
	s_sub_i32 s20, s3, s20
	v_mad_u64_u32 v[0:1], s[26:27], v2, s28, v[0:1]
	s_mul_i32 s20, s20, s9
	v_and_b32_e32 v8, 7, v19
	v_mad_u64_u32 v[0:1], s[20:21], s20, 36, v[0:1]
	v_mad_u64_u32 v[0:1], s[20:21], v8, 36, v[0:1]
	v_lshl_add_u64 v[0:1], v[0:1], 0, s[14:15]
	v_lshlrev_b32_e32 v2, 1, v8
	v_lshl_add_u64 v[16:17], v[0:1], 0, 16
	s_mov_b64 s[0:1], 0
	s_movk_i32 s6, 0x52
	v_mov_b64_e32 v[12:13], s[12:13]
	s_movk_i32 s16, 0x300
	s_movk_i32 s17, 0xff00
	s_mov_b64 s[12:13], 0x900
	v_mov_b32_e32 v21, 5
	v_mov_b32_e32 v22, 1
	;; [unrolled: 1-line block ×5, first 2 shown]
	v_lshlrev_b32_e32 v14, 1, v2
	v_mov_b32_e32 v11, v9
	s_waitcnt vmcnt(0)
	v_mul_lo_u32 v0, v3, s8
	v_add_u32_e32 v24, s23, v0
	v_add_u32_e32 v25, s5, v0
.LBB180_3:                              ; =>This Inner Loop Header: Depth=1
	v_add_u32_e32 v26, v24, v20
	v_add_u32_e32 v27, v25, v20
	v_mad_i64_i32 v[34:35], s[14:15], v26, s6, v[12:13]
	v_mad_i64_i32 v[26:27], s[14:15], v27, s6, v[12:13]
	v_lshl_add_u64 v[36:37], v[34:35], 0, v[14:15]
	global_load_dwordx4 v[0:3], v[16:17], off offset:-16
	global_load_dwordx4 v[4:7], v[16:17], off
	global_load_dword v28, v[16:17], off offset:16
	v_lshl_add_u64 v[38:39], v[34:35], 0, v[8:9]
	v_lshl_add_u64 v[40:41], v[26:27], 0, v[14:15]
	;; [unrolled: 1-line block ×3, first 2 shown]
	global_load_dword v33, v[36:37], off offset:2
	global_load_dword v44, v[36:37], off offset:34
	global_load_ubyte v45, v[38:39], off offset:66
	global_load_dword v46, v[40:41], off offset:2
	global_load_ubyte v47, v[42:43], off offset:66
	;; [unrolled: 2-line block ×3, first 2 shown]
	global_load_ushort v50, v[34:35], off
	global_load_ushort v51, v[26:27], off
	global_load_ubyte v52, v[42:43], off offset:74
	v_add_u32_e32 v20, 8, v20
	s_getpc_b64 s[8:9]
	s_add_u32 s8, s8, _ZL9iq2s_grid@rel32@lo+4
	s_addc_u32 s9, s9, _ZL9iq2s_grid@rel32@hi+12
	v_cmp_le_u32_e32 vcc, s11, v20
	s_or_b64 s[0:1], vcc, s[0:1]
	v_mov_b32_e32 v29, 0
	v_mov_b32_e32 v30, 0
	v_mov_b32_e32 v31, 0
	v_mov_b32_e32 v32, 0
	v_lshl_add_u64 v[16:17], v[16:17], 0, s[12:13]
	s_waitcnt vmcnt(9)
	v_and_b32_e32 v37, 0xff, v33
	v_lshrrev_b16_e32 v34, 8, v33
	s_waitcnt vmcnt(7)
	v_lshlrev_b32_e32 v38, 8, v45
	v_lshrrev_b32_e32 v35, 24, v33
	v_lshrrev_b32_e32 v36, 16, v44
	v_lshlrev_b32_sdwa v39, v21, v44 dst_sel:DWORD dst_unused:UNUSED_PAD src0_sel:DWORD src1_sel:BYTE_0
	v_bfe_u32 v41, v44, 1, 7
	v_bfe_u32 v54, v44, 5, 3
	v_lshlrev_b32_e32 v56, 6, v45
	v_bfe_u32 v33, v33, 16, 8
	v_lshlrev_b32_e32 v59, 4, v45
	v_lshlrev_b32_e32 v45, 2, v45
	v_and_or_b32 v37, v38, s16, v37
	v_bfe_u32 v42, v44, 3, 1
	v_bfe_i32 v38, v41, 0, 1
	v_lshrrev_b16_e32 v39, 7, v39
	v_bfe_i32 v41, v54, 0, 1
	v_and_or_b32 v34, v56, s16, v34
	v_and_or_b32 v33, v59, s16, v33
	v_and_b32_e32 v59, 1, v36
	v_bfe_u32 v97, v36, 1, 7
	v_bfe_u32 v98, v36, 5, 3
	;; [unrolled: 1-line block ×3, first 2 shown]
	v_and_or_b32 v35, v45, s16, v35
	v_lshlrev_b16_e32 v36, 7, v36
	v_lshlrev_b32_e32 v113, 3, v37
	v_bfe_u32 v55, v44, 7, 1
	v_cmp_ne_u16_e32 vcc, 0, v42
	v_bfe_i32 v114, v39, 0, 1
	v_lshlrev_b16_e32 v115, 8, v38
	v_lshlrev_b16_e32 v116, 8, v41
	v_lshlrev_b32_e32 v41, 3, v34
	v_lshlrev_b32_e32 v33, 3, v33
	;; [unrolled: 1-line block ×3, first 2 shown]
	v_ashrrev_i16_e32 v118, 15, v36
	global_load_dwordx2 v[34:35], v113, s[8:9]
	global_load_dwordx2 v[36:37], v41, s[8:9]
	;; [unrolled: 1-line block ×3, first 2 shown]
	v_and_b32_e32 v40, 1, v44
	v_lshlrev_b32_sdwa v43, v22, v44 dst_sel:DWORD dst_unused:UNUSED_PAD src0_sel:DWORD src1_sel:BYTE_0
	v_cndmask_b32_e64 v42, 0, -1, vcc
	v_cmp_ne_u16_e32 vcc, 0, v55
	v_sub_u16_e32 v40, 0, v40
	v_lshrrev_b16_e32 v43, 7, v43
	v_cndmask_b32_e64 v55, 0, -1, vcc
	v_lshlrev_b16_e32 v42, 8, v42
	v_bfe_i32 v53, v44, 4, 1
	v_bfe_i32 v43, v43, 0, 1
	v_lshlrev_b16_e32 v55, 8, v55
	v_or_b32_sdwa v33, v40, v115 dst_sel:DWORD dst_unused:UNUSED_PAD src0_sel:BYTE_0 src1_sel:DWORD
	v_or_b32_sdwa v41, v114, v42 dst_sel:WORD_1 dst_unused:UNUSED_PAD src0_sel:BYTE_0 src1_sel:DWORD
	v_lshlrev_b16_e32 v119, 8, v40
	v_or_b32_sdwa v40, v53, v116 dst_sel:DWORD dst_unused:UNUSED_PAD src0_sel:BYTE_0 src1_sel:DWORD
	v_or_b32_sdwa v33, v33, v41 dst_sel:DWORD dst_unused:UNUSED_PAD src0_sel:WORD_0 src1_sel:DWORD
	v_or_b32_sdwa v41, v43, v55 dst_sel:WORD_1 dst_unused:UNUSED_PAD src0_sel:BYTE_0 src1_sel:DWORD
	v_lshlrev_b16_e32 v109, 8, v53
	v_or_b32_sdwa v53, v40, v41 dst_sel:DWORD dst_unused:UNUSED_PAD src0_sel:WORD_0 src1_sel:DWORD
	global_load_dwordx2 v[40:41], v117, s[8:9]
	v_bfe_u32 v61, v44, 19, 1
	v_bfe_u32 v66, v44, 27, 1
	v_cmp_ne_u16_e32 vcc, 0, v61
	v_lshrrev_b32_e32 v65, 31, v44
	s_waitcnt vmcnt(8)
	v_bfe_u32 v73, v48, 3, 1
	v_cndmask_b32_e64 v61, 0, -1, vcc
	v_cmp_ne_u16_e32 vcc, 0, v66
	v_bfe_u32 v70, v48, 7, 1
	v_bfe_u32 v84, v48, 19, 1
	v_cndmask_b32_e64 v66, 0, -1, vcc
	v_cmp_ne_u16_e32 vcc, 0, v65
	v_bfe_u32 v90, v48, 27, 1
	v_lshrrev_b16_e32 v57, 8, v44
	v_cndmask_b32_e64 v65, 0, -1, vcc
	v_cmp_ne_u16_e32 vcc, 0, v73
	v_lshrrev_b32_e32 v89, 31, v48
	v_lshlrev_b16_e32 v58, 7, v44
	v_cndmask_b32_e64 v73, 0, -1, vcc
	v_cmp_ne_u16_e32 vcc, 0, v70
	v_bfe_u32 v93, v57, 3, 1
	v_lshlrev_b32_e32 v54, 5, v57
	v_cndmask_b32_e64 v70, 0, -1, vcc
	v_cmp_ne_u16_e32 vcc, 0, v84
	v_ashrrev_i16_e32 v56, 15, v58
	v_lshrrev_b32_e32 v58, 1, v57
	v_cndmask_b32_e64 v84, 0, -1, vcc
	v_cmp_ne_u16_e32 vcc, 0, v90
	v_lshrrev_b32_e32 v96, 5, v57
	v_lshlrev_b32_e32 v94, 1, v57
	v_cndmask_b32_e64 v90, 0, -1, vcc
	v_cmp_ne_u16_e32 vcc, 0, v89
	v_bfe_i32 v95, v57, 4, 1
	v_lshrrev_b32_e32 v57, 7, v57
	v_cndmask_b32_e64 v89, 0, -1, vcc
	v_cmp_ne_u16_e32 vcc, 0, v93
	v_bfe_i32 v58, v58, 0, 1
	v_lshrrev_b16_e32 v54, 7, v54
	v_bfe_i32 v96, v96, 0, 1
	v_cndmask_b32_e64 v93, 0, -1, vcc
	v_lshlrev_b32_sdwa v60, v21, v44 dst_sel:DWORD dst_unused:UNUSED_PAD src0_sel:DWORD src1_sel:BYTE_2
	v_cmp_ne_u16_e32 vcc, 0, v57
	v_bfe_i32 v54, v54, 0, 1
	v_lshlrev_b16_e32 v58, 8, v58
	v_lshlrev_b16_e32 v96, 8, v96
	;; [unrolled: 1-line block ×3, first 2 shown]
	v_lshlrev_b32_sdwa v62, v22, v44 dst_sel:DWORD dst_unused:UNUSED_PAD src0_sel:DWORD src1_sel:BYTE_2
	v_lshrrev_b16_e32 v60, 7, v60
	v_bfe_i32 v97, v97, 0, 1
	v_cndmask_b32_e64 v57, 0, -1, vcc
	v_cmp_ne_u16_e32 vcc, 0, v99
	v_lshlrev_b16_e32 v120, 8, v56
	v_lshlrev_b16_e32 v121, 8, v95
	v_lshrrev_b32_e32 v64, 24, v44
	v_lshrrev_b32_e32 v67, 25, v44
	v_lshrrev_b16_e32 v62, 7, v62
	v_sub_u16_e32 v59, 0, v59
	v_bfe_i32 v60, v60, 0, 1
	s_waitcnt vmcnt(3)
	v_xor_b32_e32 v53, v35, v53
	v_or_b32_sdwa v35, v56, v58 dst_sel:DWORD dst_unused:UNUSED_PAD src0_sel:BYTE_0 src1_sel:DWORD
	v_or_b32_sdwa v56, v95, v96 dst_sel:DWORD dst_unused:UNUSED_PAD src0_sel:BYTE_0 src1_sel:DWORD
	v_or_b32_sdwa v95, v54, v93 dst_sel:WORD_1 dst_unused:UNUSED_PAD src0_sel:BYTE_0 src1_sel:DWORD
	v_bfe_i32 v98, v98, 0, 1
	v_lshlrev_b16_e32 v61, 8, v61
	v_cndmask_b32_e64 v99, 0, -1, vcc
	v_lshlrev_b16_e32 v97, 8, v97
	v_or_b32_sdwa v35, v35, v95 dst_sel:DWORD dst_unused:UNUSED_PAD src0_sel:WORD_0 src1_sel:DWORD
	v_bfe_i32 v63, v44, 20, 1
	v_lshrrev_b32_e32 v44, 29, v44
	v_and_b32_e32 v68, 0xff, v46
	v_lshlrev_b32_e32 v69, 8, v47
	v_lshrrev_b16_e32 v71, 8, v46
	v_lshlrev_b32_e32 v72, 6, v47
	v_and_b32_e32 v74, 1, v48
	v_lshlrev_b32_sdwa v76, v21, v48 dst_sel:DWORD dst_unused:UNUSED_PAD src0_sel:DWORD src1_sel:BYTE_0
	v_lshlrev_b32_sdwa v78, v22, v48 dst_sel:DWORD dst_unused:UNUSED_PAD src0_sel:DWORD src1_sel:BYTE_0
	v_lshrrev_b16_e32 v80, 8, v48
	v_bfe_i32 v45, v67, 0, 1
	v_lshlrev_b32_e32 v67, 5, v64
	v_lshlrev_b32_e32 v100, 1, v64
	v_lshrrev_b16_e32 v94, 7, v94
	v_bfe_i32 v62, v62, 0, 1
	v_lshlrev_b16_e32 v98, 8, v98
	v_xor_b32_e32 v33, v34, v33
	v_or_b32_sdwa v34, v60, v61 dst_sel:WORD_1 dst_unused:UNUSED_PAD src0_sel:BYTE_0 src1_sel:DWORD
	v_lshlrev_b16_e32 v99, 8, v99
	s_waitcnt vmcnt(2)
	v_xor_b32_e32 v113, v36, v35
	v_or_b32_sdwa v35, v59, v97 dst_sel:DWORD dst_unused:UNUSED_PAD src0_sel:BYTE_0 src1_sel:DWORD
	v_bfe_u32 v75, v48, 1, 7
	v_bfe_u32 v77, v48, 5, 3
	v_bfe_i32 v44, v44, 0, 1
	v_and_or_b32 v68, v69, s16, v68
	v_and_or_b32 v69, v72, s16, v71
	v_sub_u16_e32 v71, 0, v74
	v_lshrrev_b16_e32 v74, 7, v76
	v_lshrrev_b16_e32 v76, 7, v78
	v_bfe_u32 v78, v80, 3, 1
	v_lshrrev_b16_e32 v67, 7, v67
	v_lshrrev_b16_e32 v100, 7, v100
	v_bfe_i32 v94, v94, 0, 1
	v_lshlrev_b16_e32 v57, 8, v57
	v_or_b32_sdwa v36, v63, v98 dst_sel:DWORD dst_unused:UNUSED_PAD src0_sel:BYTE_0 src1_sel:DWORD
	v_or_b32_sdwa v34, v35, v34 dst_sel:DWORD dst_unused:UNUSED_PAD src0_sel:WORD_0 src1_sel:DWORD
	v_or_b32_sdwa v35, v62, v99 dst_sel:WORD_1 dst_unused:UNUSED_PAD src0_sel:BYTE_0 src1_sel:DWORD
	v_lshrrev_b32_e32 v92, 24, v48
	v_bfe_i32 v64, v64, 4, 1
	v_bfe_i32 v72, v75, 0, 1
	;; [unrolled: 1-line block ×3, first 2 shown]
	v_lshrrev_b32_e32 v77, 7, v80
	v_lshrrev_b32_e32 v101, 1, v80
	v_lshlrev_b32_e32 v102, 5, v80
	v_lshlrev_b16_e32 v45, 8, v45
	v_lshlrev_b16_e32 v44, 8, v44
	v_lshlrev_b16_e32 v66, 8, v66
	v_lshlrev_b16_e32 v65, 8, v65
	v_cmp_ne_u16_e32 vcc, 0, v78
	v_bfe_i32 v67, v67, 0, 1
	v_or_b32_sdwa v95, v94, v57 dst_sel:WORD_1 dst_unused:UNUSED_PAD src0_sel:BYTE_0 src1_sel:DWORD
	v_bfe_i32 v100, v100, 0, 1
	v_or_b32_sdwa v35, v36, v35 dst_sel:DWORD dst_unused:UNUSED_PAD src0_sel:WORD_0 src1_sel:DWORD
	v_lshlrev_b16_e32 v81, 7, v48
	v_bfe_u32 v82, v46, 16, 8
	v_lshlrev_b32_e32 v83, 4, v47
	v_lshrrev_b32_e32 v85, 16, v48
	v_lshlrev_b32_e32 v103, 1, v80
	v_bfe_i32 v104, v80, 4, 1
	v_lshrrev_b32_e32 v80, 5, v80
	v_lshlrev_b32_e32 v108, 1, v92
	v_bfe_i32 v101, v101, 0, 1
	v_lshrrev_b16_e32 v102, 7, v102
	v_cndmask_b32_e64 v78, 0, -1, vcc
	v_cmp_ne_u16_e32 vcc, 0, v77
	v_lshlrev_b16_e32 v122, 8, v64
	v_or_b32_sdwa v56, v56, v95 dst_sel:DWORD dst_unused:UNUSED_PAD src0_sel:WORD_0 src1_sel:DWORD
	v_or_b32_sdwa v95, v118, v45 dst_sel:DWORD dst_unused:UNUSED_PAD src0_sel:BYTE_0 src1_sel:DWORD
	v_or_b32_sdwa v64, v64, v44 dst_sel:DWORD dst_unused:UNUSED_PAD src0_sel:BYTE_0 src1_sel:DWORD
	s_waitcnt vmcnt(1)
	v_xor_b32_e32 v127, v38, v34
	v_xor_b32_e32 v128, v39, v35
	v_or_b32_sdwa v34, v67, v66 dst_sel:WORD_1 dst_unused:UNUSED_PAD src0_sel:BYTE_0 src1_sel:DWORD
	v_or_b32_sdwa v35, v100, v65 dst_sel:WORD_1 dst_unused:UNUSED_PAD src0_sel:BYTE_0 src1_sel:DWORD
	v_lshlrev_b32_sdwa v86, v21, v48 dst_sel:DWORD dst_unused:UNUSED_PAD src0_sel:DWORD src1_sel:BYTE_2
	v_ashrrev_i16_e32 v81, 15, v81
	v_and_or_b32 v82, v83, s16, v82
	v_bfe_u32 v83, v85, 7, 1
	v_bfe_u32 v106, v85, 1, 7
	v_bfe_i32 v74, v74, 0, 1
	v_lshlrev_b16_e32 v72, 8, v72
	v_lshlrev_b16_e32 v73, 8, v73
	v_bfe_i32 v80, v80, 0, 1
	v_lshrrev_b16_e32 v103, 7, v103
	v_cndmask_b32_e64 v77, 0, -1, vcc
	v_lshrrev_b16_e32 v108, 7, v108
	v_bfe_i32 v102, v102, 0, 1
	v_lshlrev_b16_e32 v101, 8, v101
	v_lshlrev_b16_e32 v78, 8, v78
	v_or_b32_sdwa v34, v95, v34 dst_sel:DWORD dst_unused:UNUSED_PAD src0_sel:WORD_0 src1_sel:DWORD
	v_or_b32_sdwa v35, v64, v35 dst_sel:DWORD dst_unused:UNUSED_PAD src0_sel:WORD_0 src1_sel:DWORD
	v_lshlrev_b32_sdwa v87, v22, v48 dst_sel:DWORD dst_unused:UNUSED_PAD src0_sel:DWORD src1_sel:BYTE_2
	v_lshrrev_b32_e32 v46, 24, v46
	v_lshlrev_b32_e32 v47, 2, v47
	v_lshrrev_b32_e32 v91, 25, v48
	v_lshrrev_b16_e32 v86, 7, v86
	v_and_b32_e32 v105, 1, v85
	v_bfe_u32 v107, v85, 5, 3
	v_lshlrev_b32_e32 v68, 3, v68
	v_lshlrev_b32_e32 v69, 3, v69
	v_bfe_i32 v106, v106, 0, 1
	v_cmp_ne_u16_e32 vcc, 0, v83
	v_lshlrev_b16_e32 v123, 8, v71
	v_or_b32_sdwa v71, v71, v72 dst_sel:DWORD dst_unused:UNUSED_PAD src0_sel:BYTE_0 src1_sel:DWORD
	v_or_b32_sdwa v117, v74, v73 dst_sel:WORD_1 dst_unused:UNUSED_PAD src0_sel:BYTE_0 src1_sel:DWORD
	v_bfe_i32 v103, v103, 0, 1
	v_lshlrev_b16_e32 v80, 8, v80
	v_lshlrev_b16_e32 v77, 8, v77
	v_bfe_i32 v95, v108, 0, 1
	s_waitcnt vmcnt(0)
	v_xor_b32_e32 v108, v40, v34
	v_xor_b32_e32 v130, v41, v35
	v_or_b32_sdwa v40, v81, v101 dst_sel:DWORD dst_unused:UNUSED_PAD src0_sel:BYTE_0 src1_sel:DWORD
	v_or_b32_sdwa v41, v102, v78 dst_sel:WORD_1 dst_unused:UNUSED_PAD src0_sel:BYTE_0 src1_sel:DWORD
	v_bfe_i32 v79, v48, 4, 1
	v_lshrrev_b16_e32 v87, 7, v87
	v_and_or_b32 v46, v47, s16, v46
	v_lshlrev_b16_e32 v47, 7, v85
	v_bfe_i32 v85, v91, 0, 1
	v_lshlrev_b32_e32 v91, 5, v92
	v_bfe_i32 v76, v76, 0, 1
	v_lshlrev_b16_e32 v75, 8, v75
	v_lshlrev_b16_e32 v70, 8, v70
	v_sub_u16_e32 v105, 0, v105
	v_bfe_i32 v86, v86, 0, 1
	v_lshlrev_b16_e32 v84, 8, v84
	v_bfe_i32 v107, v107, 0, 1
	v_cndmask_b32_e64 v83, 0, -1, vcc
	v_xor_b32_e32 v56, v37, v56
	v_lshlrev_b16_e32 v106, 8, v106
	global_load_dwordx2 v[34:35], v68, s[8:9]
	global_load_dwordx2 v[36:37], v69, s[8:9]
	v_or_b32_sdwa v68, v71, v117 dst_sel:DWORD dst_unused:UNUSED_PAD src0_sel:WORD_0 src1_sel:DWORD
	v_or_b32_sdwa v69, v104, v80 dst_sel:DWORD dst_unused:UNUSED_PAD src0_sel:BYTE_0 src1_sel:DWORD
	v_or_b32_sdwa v71, v40, v41 dst_sel:DWORD dst_unused:UNUSED_PAD src0_sel:WORD_0 src1_sel:DWORD
	v_or_b32_sdwa v40, v103, v77 dst_sel:WORD_1 dst_unused:UNUSED_PAD src0_sel:BYTE_0 src1_sel:DWORD
	v_bfe_i32 v88, v48, 20, 1
	v_lshrrev_b32_e32 v48, 29, v48
	v_lshlrev_b16_e32 v110, 8, v63
	v_lshlrev_b16_e32 v111, 8, v79
	v_bfe_i32 v87, v87, 0, 1
	v_lshrrev_b16_e32 v91, 7, v91
	v_or_b32_sdwa v79, v79, v75 dst_sel:DWORD dst_unused:UNUSED_PAD src0_sel:BYTE_0 src1_sel:DWORD
	v_or_b32_sdwa v63, v76, v70 dst_sel:WORD_1 dst_unused:UNUSED_PAD src0_sel:BYTE_0 src1_sel:DWORD
	v_or_b32_sdwa v129, v86, v84 dst_sel:WORD_1 dst_unused:UNUSED_PAD src0_sel:BYTE_0 src1_sel:DWORD
	v_lshlrev_b16_e32 v107, 8, v107
	v_lshlrev_b16_e32 v83, 8, v83
	v_or_b32_sdwa v69, v69, v40 dst_sel:DWORD dst_unused:UNUSED_PAD src0_sel:WORD_0 src1_sel:DWORD
	v_or_b32_sdwa v40, v105, v106 dst_sel:DWORD dst_unused:UNUSED_PAD src0_sel:BYTE_0 src1_sel:DWORD
	v_bfe_i32 v48, v48, 0, 1
	v_ashrrev_i16_e32 v47, 15, v47
	v_lshlrev_b16_e32 v85, 8, v85
	v_lshlrev_b16_e32 v90, 8, v90
	v_bfe_i32 v91, v91, 0, 1
	v_or_b32_sdwa v63, v79, v63 dst_sel:DWORD dst_unused:UNUSED_PAD src0_sel:WORD_0 src1_sel:DWORD
	v_or_b32_sdwa v41, v88, v107 dst_sel:DWORD dst_unused:UNUSED_PAD src0_sel:BYTE_0 src1_sel:DWORD
	v_or_b32_sdwa v79, v40, v129 dst_sel:DWORD dst_unused:UNUSED_PAD src0_sel:WORD_0 src1_sel:DWORD
	v_or_b32_sdwa v40, v87, v83 dst_sel:WORD_1 dst_unused:UNUSED_PAD src0_sel:BYTE_0 src1_sel:DWORD
	v_bfe_i32 v92, v92, 4, 1
	v_lshlrev_b16_e32 v48, 8, v48
	v_lshlrev_b16_e32 v89, 8, v89
	;; [unrolled: 1-line block ×3, first 2 shown]
	v_or_b32_sdwa v64, v47, v85 dst_sel:DWORD dst_unused:UNUSED_PAD src0_sel:BYTE_0 src1_sel:DWORD
	v_or_b32_sdwa v81, v41, v40 dst_sel:DWORD dst_unused:UNUSED_PAD src0_sel:WORD_0 src1_sel:DWORD
	v_or_b32_sdwa v40, v91, v90 dst_sel:WORD_1 dst_unused:UNUSED_PAD src0_sel:BYTE_0 src1_sel:DWORD
	v_lshlrev_b32_e32 v82, 3, v82
	v_lshlrev_b32_e32 v46, 3, v46
	v_lshlrev_b16_e32 v126, 8, v92
	v_or_b32_sdwa v92, v92, v48 dst_sel:DWORD dst_unused:UNUSED_PAD src0_sel:BYTE_0 src1_sel:DWORD
	v_or_b32_sdwa v64, v64, v40 dst_sel:DWORD dst_unused:UNUSED_PAD src0_sel:WORD_0 src1_sel:DWORD
	v_or_b32_sdwa v40, v95, v89 dst_sel:WORD_1 dst_unused:UNUSED_PAD src0_sel:BYTE_0 src1_sel:DWORD
	global_load_dwordx2 v[38:39], v82, s[8:9]
	v_or_b32_sdwa v82, v92, v40 dst_sel:DWORD dst_unused:UNUSED_PAD src0_sel:WORD_0 src1_sel:DWORD
	global_load_dwordx2 v[40:41], v46, s[8:9]
	v_lshlrev_b16_e32 v46, 8, v114
	v_lshlrev_b16_e32 v125, 8, v104
	v_lshlrev_b16_e32 v43, 8, v43
	v_lshlrev_b16_e32 v92, 8, v105
	v_lshlrev_b16_e32 v54, 8, v54
	v_lshlrev_b16_e32 v94, 8, v94
	v_and_b32_sdwa v104, v113, s17 dst_sel:DWORD dst_unused:UNUSED_PAD src0_sel:WORD_1 src1_sel:DWORD
	v_lshlrev_b16_sdwa v105, v23, v113 dst_sel:DWORD dst_unused:UNUSED_PAD src0_sel:DWORD src1_sel:WORD_1
	v_lshlrev_b16_e32 v112, 8, v88
	v_lshlrev_b16_e32 v59, 8, v59
	;; [unrolled: 1-line block ×5, first 2 shown]
	v_and_b32_e32 v114, 0xffffff00, v127
	v_sub_i16 v93, v104, v93 clamp
	v_and_b32_e32 v104, 0xffffff00, v108
	v_sub_i16 v54, v105, v54 clamp
	v_lshlrev_b16_e32 v105, 8, v108
	v_and_b32_e32 v118, 0xffffff00, v130
	v_lshlrev_b16_e32 v74, 8, v74
	v_lshlrev_b16_e32 v76, 8, v76
	;; [unrolled: 1-line block ×4, first 2 shown]
	v_sub_i16 v97, v114, v97 clamp
	v_sub_i16 v88, v105, v88 clamp
	;; [unrolled: 1-line block ×3, first 2 shown]
	v_lshlrev_b16_e32 v62, 8, v62
	v_lshlrev_b16_e32 v86, 8, v86
	;; [unrolled: 1-line block ×6, first 2 shown]
	v_lshlrev_b16_sdwa v117, v23, v128 dst_sel:DWORD dst_unused:UNUSED_PAD src0_sel:DWORD src1_sel:WORD_1
	v_sub_i16 v62, v117, v62 clamp
	v_sub_i16 v45, v104, v45 clamp
	v_lshlrev_b16_e32 v102, 8, v102
	s_waitcnt vmcnt(3)
	v_xor_b32_e32 v34, v34, v68
	v_xor_b32_e32 v35, v35, v63
	v_and_b32_e32 v63, 0xffffff00, v33
	v_and_b32_sdwa v68, v33, s17 dst_sel:DWORD dst_unused:UNUSED_PAD src0_sel:WORD_1 src1_sel:DWORD
	s_waitcnt vmcnt(2)
	v_xor_b32_e32 v36, v36, v71
	v_xor_b32_e32 v37, v37, v69
	v_and_b32_e32 v69, 0xffffff00, v53
	v_lshlrev_b16_e32 v71, 8, v53
	v_sub_i16 v42, v68, v42 clamp
	v_lshlrev_b16_e32 v68, 8, v56
	v_sub_i16 v63, v63, v115 clamp
	v_sub_i16 v71, v71, v109 clamp
	v_lshlrev_b16_e32 v109, 8, v127
	v_lshlrev_b16_sdwa v115, v23, v127 dst_sel:DWORD dst_unused:UNUSED_PAD src0_sel:DWORD src1_sel:WORD_1
	v_sub_i16 v69, v69, v116 clamp
	v_and_b32_sdwa v116, v128, s17 dst_sel:DWORD dst_unused:UNUSED_PAD src0_sel:WORD_1 src1_sel:DWORD
	v_and_b32_e32 v114, 0xffffff00, v34
	v_sub_i16 v59, v109, v59 clamp
	v_lshlrev_b16_e32 v109, 8, v34
	v_sub_i16 v60, v115, v60 clamp
	v_and_b32_e32 v115, 0xffffff00, v35
	v_and_b32_e32 v105, 0xffffff00, v37
	v_sub_i16 v68, v68, v121 clamp
	v_sub_i16 v99, v116, v99 clamp
	;; [unrolled: 1-line block ×4, first 2 shown]
	v_and_b32_e32 v116, 0xffffff00, v36
	v_and_b32_sdwa v104, v36, s17 dst_sel:DWORD dst_unused:UNUSED_PAD src0_sel:WORD_1 src1_sel:DWORD
	v_sub_i16 v109, v109, v123 clamp
	v_and_b32_e32 v63, 0xffffff00, v63
	v_and_b32_e32 v42, 0xffffff00, v42
	;; [unrolled: 1-line block ×4, first 2 shown]
	v_lshlrev_b16_e32 v117, 8, v36
	v_lshlrev_b16_sdwa v36, v23, v36 dst_sel:DWORD dst_unused:UNUSED_PAD src0_sel:DWORD src1_sel:WORD_1
	v_sub_i16 v101, v116, v101 clamp
	v_sub_i16 v78, v104, v78 clamp
	v_and_b32_e32 v75, 0xffffff00, v75
	v_sub_i16 v116, v117, v124 clamp
	v_sub_i16 v36, v36, v102 clamp
	;; [unrolled: 1-line block ×3, first 2 shown]
	s_waitcnt vmcnt(1)
	v_xor_b32_e32 v38, v38, v79
	v_xor_b32_e32 v39, v39, v81
	s_waitcnt vmcnt(0)
	v_xor_b32_e32 v40, v40, v64
	v_lshlrev_b16_e32 v64, 8, v33
	v_lshlrev_b16_sdwa v33, v23, v33 dst_sel:DWORD dst_unused:UNUSED_PAD src0_sel:DWORD src1_sel:WORD_1
	v_xor_b32_e32 v41, v41, v82
	v_and_b32_sdwa v79, v53, s17 dst_sel:DWORD dst_unused:UNUSED_PAD src0_sel:WORD_1 src1_sel:DWORD
	v_lshlrev_b16_sdwa v53, v23, v53 dst_sel:DWORD dst_unused:UNUSED_PAD src0_sel:DWORD src1_sel:WORD_1
	v_and_b32_e32 v81, 0xffffff00, v113
	v_lshlrev_b16_e32 v82, 8, v113
	v_and_b32_e32 v113, 0xffffff00, v56
	v_sub_i16 v33, v33, v46 clamp
	v_and_b32_sdwa v46, v56, s17 dst_sel:DWORD dst_unused:UNUSED_PAD src0_sel:WORD_1 src1_sel:DWORD
	v_lshlrev_b16_sdwa v56, v23, v56 dst_sel:DWORD dst_unused:UNUSED_PAD src0_sel:DWORD src1_sel:WORD_1
	v_sub_i16 v55, v79, v55 clamp
	v_and_b32_sdwa v79, v127, s17 dst_sel:DWORD dst_unused:UNUSED_PAD src0_sel:WORD_1 src1_sel:DWORD
	v_sub_i16 v43, v53, v43 clamp
	v_and_b32_e32 v53, 0xffffff00, v128
	v_sub_i16 v58, v81, v58 clamp
	v_lshlrev_b16_e32 v81, 8, v128
	v_sub_i16 v96, v113, v96 clamp
	v_and_b32_sdwa v113, v108, s17 dst_sel:DWORD dst_unused:UNUSED_PAD src0_sel:WORD_1 src1_sel:DWORD
	v_lshlrev_b16_sdwa v108, v23, v108 dst_sel:DWORD dst_unused:UNUSED_PAD src0_sel:DWORD src1_sel:WORD_1
	v_sub_i16 v56, v56, v94 clamp
	v_and_b32_sdwa v94, v130, s17 dst_sel:DWORD dst_unused:UNUSED_PAD src0_sel:WORD_1 src1_sel:DWORD
	v_sub_i16 v64, v64, v119 clamp
	v_lshlrev_b16_sdwa v119, v23, v130 dst_sel:DWORD dst_unused:UNUSED_PAD src0_sel:DWORD src1_sel:WORD_1
	v_sub_i16 v61, v79, v61 clamp
	v_and_b32_sdwa v79, v34, s17 dst_sel:DWORD dst_unused:UNUSED_PAD src0_sel:WORD_1 src1_sel:DWORD
	v_lshlrev_b16_sdwa v34, v23, v34 dst_sel:DWORD dst_unused:UNUSED_PAD src0_sel:DWORD src1_sel:WORD_1
	v_sub_i16 v53, v53, v98 clamp
	v_lshlrev_b16_e32 v98, 8, v35
	v_sub_i16 v81, v81, v110 clamp
	v_and_b32_sdwa v110, v35, s17 dst_sel:DWORD dst_unused:UNUSED_PAD src0_sel:WORD_1 src1_sel:DWORD
	v_lshlrev_b16_sdwa v35, v23, v35 dst_sel:DWORD dst_unused:UNUSED_PAD src0_sel:DWORD src1_sel:WORD_1
	v_sub_i16 v66, v113, v66 clamp
	v_lshlrev_b16_e32 v113, 8, v37
	v_sub_i16 v67, v108, v67 clamp
	v_and_b32_sdwa v108, v37, s17 dst_sel:DWORD dst_unused:UNUSED_PAD src0_sel:WORD_1 src1_sel:DWORD
	v_lshlrev_b16_sdwa v37, v23, v37 dst_sel:DWORD dst_unused:UNUSED_PAD src0_sel:DWORD src1_sel:WORD_1
	v_and_b32_e32 v118, 0xffffff00, v38
	v_sub_i16 v65, v94, v65 clamp
	v_and_b32_sdwa v94, v38, s17 dst_sel:DWORD dst_unused:UNUSED_PAD src0_sel:WORD_1 src1_sel:DWORD
	v_sub_i16 v82, v82, v120 clamp
	v_sub_i16 v46, v46, v57 clamp
	v_lshlrev_b16_e32 v120, 8, v38
	v_lshlrev_b16_sdwa v38, v23, v38 dst_sel:DWORD dst_unused:UNUSED_PAD src0_sel:DWORD src1_sel:WORD_1
	v_sub_i16 v100, v119, v100 clamp
	v_and_b32_e32 v119, 0xffffff00, v39
	v_lshlrev_b16_e32 v114, 8, v39
	v_and_b32_sdwa v121, v39, s17 dst_sel:DWORD dst_unused:UNUSED_PAD src0_sel:WORD_1 src1_sel:DWORD
	v_lshlrev_b16_sdwa v39, v23, v39 dst_sel:DWORD dst_unused:UNUSED_PAD src0_sel:DWORD src1_sel:WORD_1
	v_sub_i16 v73, v79, v73 clamp
	v_and_b32_e32 v79, 0xffffff00, v40
	v_sub_i16 v34, v34, v74 clamp
	v_lshlrev_b16_e32 v74, 8, v40
	v_and_b32_sdwa v115, v40, s17 dst_sel:DWORD dst_unused:UNUSED_PAD src0_sel:WORD_1 src1_sel:DWORD
	v_lshlrev_b16_sdwa v40, v23, v40 dst_sel:DWORD dst_unused:UNUSED_PAD src0_sel:DWORD src1_sel:WORD_1
	v_sub_i16 v98, v98, v111 clamp
	v_and_b32_e32 v111, 0xffffff00, v41
	v_sub_i16 v70, v110, v70 clamp
	v_lshlrev_b16_e32 v110, 8, v41
	v_sub_i16 v35, v35, v76 clamp
	v_and_b32_sdwa v76, v41, s17 dst_sel:DWORD dst_unused:UNUSED_PAD src0_sel:WORD_1 src1_sel:DWORD
	v_lshlrev_b16_sdwa v41, v23, v41 dst_sel:DWORD dst_unused:UNUSED_PAD src0_sel:DWORD src1_sel:WORD_1
	v_sub_i16 v37, v37, v103 clamp
	v_sub_i16 v103, v118, v106 clamp
	v_sub_i16 v84, v94, v84 clamp
	v_sub_i16 v92, v120, v92 clamp
	v_sub_i16 v38, v38, v86 clamp
	v_sub_i16 v86, v119, v107 clamp
	v_sub_i16 v83, v121, v83 clamp
	v_sub_i16 v39, v39, v87 clamp
	v_sub_i16 v47, v74, v47 clamp
	v_sub_i16 v74, v115, v90 clamp
	v_sub_i16 v40, v40, v91 clamp
	v_sub_i16 v41, v41, v95 clamp
	v_and_b32_e32 v55, 0xffffff00, v55
	v_and_b32_e32 v58, 0xffffff00, v58
	;; [unrolled: 1-line block ×11, first 2 shown]
	v_lshlrev_b16_e32 v57, 8, v130
	v_sub_i16 v94, v114, v112 clamp
	v_sub_i16 v79, v79, v85 clamp
	;; [unrolled: 1-line block ×3, first 2 shown]
	v_and_b32_e32 v89, 0xffffff00, v96
	v_and_b32_e32 v53, 0xffffff00, v53
	;; [unrolled: 1-line block ×5, first 2 shown]
	v_or_b32_sdwa v63, v64, v63 dst_sel:DWORD dst_unused:UNUSED_PAD src0_sel:BYTE_1 src1_sel:DWORD
	v_or_b32_sdwa v33, v33, v42 dst_sel:WORD_1 dst_unused:UNUSED_PAD src0_sel:BYTE_1 src1_sel:DWORD
	v_or_b32_sdwa v42, v71, v69 dst_sel:DWORD dst_unused:UNUSED_PAD src0_sel:BYTE_1 src1_sel:DWORD
	v_or_b32_sdwa v43, v43, v55 dst_sel:WORD_1 dst_unused:UNUSED_PAD src0_sel:BYTE_1 src1_sel:DWORD
	;; [unrolled: 2-line block ×3, first 2 shown]
	v_or_b32_sdwa v46, v56, v46 dst_sel:WORD_1 dst_unused:UNUSED_PAD src0_sel:BYTE_1 src1_sel:DWORD
	v_or_b32_sdwa v56, v59, v90 dst_sel:DWORD dst_unused:UNUSED_PAD src0_sel:BYTE_1 src1_sel:DWORD
	v_or_b32_sdwa v59, v60, v61 dst_sel:WORD_1 dst_unused:UNUSED_PAD src0_sel:BYTE_1 src1_sel:DWORD
	v_or_b32_sdwa v60, v62, v91 dst_sel:WORD_1 dst_unused:UNUSED_PAD src0_sel:BYTE_1 src1_sel:DWORD
	;; [unrolled: 1-line block ×3, first 2 shown]
	v_or_b32_sdwa v62, v109, v72 dst_sel:DWORD dst_unused:UNUSED_PAD src0_sel:BYTE_1 src1_sel:DWORD
	v_or_b32_sdwa v34, v34, v73 dst_sel:WORD_1 dst_unused:UNUSED_PAD src0_sel:BYTE_1 src1_sel:DWORD
	v_or_b32_sdwa v67, v92, v95 dst_sel:DWORD dst_unused:UNUSED_PAD src0_sel:BYTE_1 src1_sel:DWORD
	v_or_b32_sdwa v38, v38, v84 dst_sel:WORD_1 dst_unused:UNUSED_PAD src0_sel:BYTE_1 src1_sel:DWORD
	v_sub_i16 v57, v57, v122 clamp
	v_sub_i16 v77, v108, v77 clamp
	v_sub_i16 v48, v111, v48 clamp
	v_and_b32_e32 v45, 0xffffff00, v45
	v_and_b32_e32 v44, 0xffffff00, v44
	;; [unrolled: 1-line block ×7, first 2 shown]
	v_or_b32_sdwa v58, v68, v89 dst_sel:DWORD dst_unused:UNUSED_PAD src0_sel:BYTE_1 src1_sel:DWORD
	v_or_b32_sdwa v53, v81, v53 dst_sel:DWORD dst_unused:UNUSED_PAD src0_sel:BYTE_1 src1_sel:DWORD
	v_or_b32_sdwa v64, v98, v75 dst_sel:DWORD dst_unused:UNUSED_PAD src0_sel:BYTE_1 src1_sel:DWORD
	v_or_b32_sdwa v35, v35, v70 dst_sel:WORD_1 dst_unused:UNUSED_PAD src0_sel:BYTE_1 src1_sel:DWORD
	v_or_b32_sdwa v68, v94, v86 dst_sel:DWORD dst_unused:UNUSED_PAD src0_sel:BYTE_1 src1_sel:DWORD
	v_or_b32_sdwa v39, v39, v83 dst_sel:WORD_1 dst_unused:UNUSED_PAD src0_sel:BYTE_1 src1_sel:DWORD
	v_or_b32_sdwa v33, v63, v33 dst_sel:DWORD dst_unused:UNUSED_PAD src0_sel:WORD_0 src1_sel:DWORD
	v_or_b32_sdwa v42, v42, v43 dst_sel:DWORD dst_unused:UNUSED_PAD src0_sel:WORD_0 src1_sel:DWORD
	;; [unrolled: 1-line block ×6, first 2 shown]
	v_sub_i16 v102, v113, v125 clamp
	v_sub_i16 v85, v110, v126 clamp
	v_and_b32_e32 v80, 0xffffff00, v80
	v_and_b32_e32 v77, 0xffffff00, v77
	;; [unrolled: 1-line block ×4, first 2 shown]
	v_or_b32_sdwa v45, v88, v45 dst_sel:DWORD dst_unused:UNUSED_PAD src0_sel:BYTE_1 src1_sel:DWORD
	v_or_b32_sdwa v44, v57, v44 dst_sel:DWORD dst_unused:UNUSED_PAD src0_sel:BYTE_1 src1_sel:DWORD
	v_or_b32_sdwa v57, v100, v65 dst_sel:WORD_1 dst_unused:UNUSED_PAD src0_sel:BYTE_1 src1_sel:DWORD
	v_or_b32_sdwa v65, v116, v93 dst_sel:DWORD dst_unused:UNUSED_PAD src0_sel:BYTE_1 src1_sel:DWORD
	v_or_b32_sdwa v36, v36, v78 dst_sel:WORD_1 dst_unused:UNUSED_PAD src0_sel:BYTE_1 src1_sel:DWORD
	;; [unrolled: 2-line block ×3, first 2 shown]
	v_or_b32_sdwa v53, v53, v60 dst_sel:DWORD dst_unused:UNUSED_PAD src0_sel:WORD_0 src1_sel:DWORD
	v_or_b32_sdwa v35, v64, v35 dst_sel:DWORD dst_unused:UNUSED_PAD src0_sel:WORD_0 src1_sel:DWORD
	;; [unrolled: 1-line block ×3, first 2 shown]
	v_dot4c_i32_i8_e32 v29, v33, v1
	v_dot4c_i32_i8_e32 v30, v54, v5
	;; [unrolled: 1-line block ×4, first 2 shown]
	v_or_b32_sdwa v66, v102, v80 dst_sel:DWORD dst_unused:UNUSED_PAD src0_sel:BYTE_1 src1_sel:DWORD
	v_or_b32_sdwa v37, v37, v77 dst_sel:WORD_1 dst_unused:UNUSED_PAD src0_sel:BYTE_1 src1_sel:DWORD
	v_or_b32_sdwa v48, v85, v48 dst_sel:DWORD dst_unused:UNUSED_PAD src0_sel:BYTE_1 src1_sel:DWORD
	v_or_b32_sdwa v41, v41, v76 dst_sel:WORD_1 dst_unused:UNUSED_PAD src0_sel:BYTE_1 src1_sel:DWORD
	v_or_b32_sdwa v45, v45, v61 dst_sel:DWORD dst_unused:UNUSED_PAD src0_sel:WORD_0 src1_sel:DWORD
	v_or_b32_sdwa v36, v65, v36 dst_sel:DWORD dst_unused:UNUSED_PAD src0_sel:WORD_0 src1_sel:DWORD
	;; [unrolled: 1-line block ×3, first 2 shown]
	v_dot4c_i32_i8_e32 v29, v42, v2
	v_dot4c_i32_i8_e32 v30, v53, v6
	;; [unrolled: 1-line block ×4, first 2 shown]
	v_or_b32_sdwa v46, v58, v46 dst_sel:DWORD dst_unused:UNUSED_PAD src0_sel:WORD_0 src1_sel:DWORD
	v_or_b32_sdwa v44, v44, v57 dst_sel:DWORD dst_unused:UNUSED_PAD src0_sel:WORD_0 src1_sel:DWORD
	;; [unrolled: 1-line block ×4, first 2 shown]
	v_dot4c_i32_i8_e32 v29, v43, v3
	v_dot4c_i32_i8_e32 v30, v45, v7
	;; [unrolled: 1-line block ×8, first 2 shown]
	v_cvt_f32_f16_e32 v26, v50
	v_add_u32_e32 v3, v30, v29
	v_lshrrev_b32_e32 v7, 31, v3
	v_add_u32_e32 v6, v32, v31
	v_lshrrev_b32_e32 v28, 31, v6
	v_cvt_f32_f16_e32 v27, v51
	v_lshrrev_b32_e32 v50, 4, v49
	v_and_b32_e32 v49, 15, v49
	v_lshrrev_b32_e32 v51, 4, v52
	v_and_b32_e32 v52, 15, v52
	v_add_u32_e32 v3, v3, v7
	v_add_u32_e32 v6, v6, v28
	v_mul_lo_u32 v1, v29, v49
	v_mul_lo_u32 v2, v30, v50
	v_mul_lo_u32 v4, v31, v52
	v_mul_lo_u32 v5, v32, v51
	v_ashrrev_i32_e32 v3, 1, v3
	v_ashrrev_i32_e32 v6, 1, v6
	v_add3_u32 v1, v2, v1, v3
	v_add3_u32 v2, v5, v4, v6
	v_ashrrev_i32_e32 v3, 31, v1
	v_ashrrev_i32_e32 v4, 31, v2
	v_lshrrev_b32_e32 v3, 30, v3
	v_lshrrev_b32_e32 v4, 30, v4
	v_add_u32_e32 v1, v1, v3
	v_add_u32_e32 v2, v2, v4
	v_cvt_f32_f16_e32 v0, v0
	v_ashrrev_i32_e32 v1, 2, v1
	v_ashrrev_i32_e32 v2, 2, v2
	v_cvt_f32_i32_e32 v1, v1
	v_cvt_f32_i32_e32 v2, v2
	v_mul_f32_e32 v3, v26, v0
	v_mul_f32_e32 v0, v27, v0
	v_fmac_f32_e32 v10, v3, v1
	v_fmac_f32_e32 v11, v0, v2
	s_andn2_b64 exec, exec, s[0:1]
	s_cbranch_execnz .LBB180_3
; %bb.4:
	s_or_b64 exec, exec, s[0:1]
.LBB180_5:
	s_or_b64 exec, exec, s[24:25]
	v_mbcnt_lo_u32_b32 v0, -1, 0
	v_mbcnt_hi_u32_b32 v4, -1, v0
	v_and_b32_e32 v0, 64, v4
	v_add_u32_e32 v5, 64, v0
	v_xor_b32_e32 v0, 32, v4
	v_cmp_lt_i32_e32 vcc, v0, v5
	v_xor_b32_e32 v2, 16, v4
	v_xor_b32_e32 v6, 8, v4
	v_cndmask_b32_e32 v0, v4, v0, vcc
	v_lshlrev_b32_e32 v1, 2, v0
	ds_bpermute_b32 v0, v1, v10
	ds_bpermute_b32 v1, v1, v11
	v_cmp_lt_i32_e32 vcc, v2, v5
	s_waitcnt lgkmcnt(0)
	v_pk_add_f32 v[0:1], v[10:11], v[0:1]
	v_cndmask_b32_e32 v2, v4, v2, vcc
	v_lshlrev_b32_e32 v3, 2, v2
	ds_bpermute_b32 v2, v3, v0
	ds_bpermute_b32 v3, v3, v1
	v_cmp_lt_i32_e32 vcc, v6, v5
	s_waitcnt lgkmcnt(0)
	v_pk_add_f32 v[0:1], v[0:1], v[2:3]
	v_cndmask_b32_e32 v6, v4, v6, vcc
	v_lshlrev_b32_e32 v6, 2, v6
	ds_bpermute_b32 v2, v6, v0
	ds_bpermute_b32 v3, v6, v1
	v_xor_b32_e32 v6, 4, v4
	v_cmp_lt_i32_e32 vcc, v6, v5
	s_waitcnt lgkmcnt(0)
	v_pk_add_f32 v[0:1], v[0:1], v[2:3]
	v_cndmask_b32_e32 v6, v4, v6, vcc
	v_lshlrev_b32_e32 v6, 2, v6
	ds_bpermute_b32 v2, v6, v0
	ds_bpermute_b32 v3, v6, v1
	v_xor_b32_e32 v6, 2, v4
	;; [unrolled: 8-line block ×3, first 2 shown]
	v_cmp_lt_i32_e32 vcc, v6, v5
	s_waitcnt lgkmcnt(0)
	v_pk_add_f32 v[0:1], v[0:1], v[2:3]
	v_cndmask_b32_e32 v4, v4, v6, vcc
	v_lshlrev_b32_e32 v4, 2, v4
	ds_bpermute_b32 v2, v4, v0
	ds_bpermute_b32 v3, v4, v1
	v_add_u32_e32 v4, s2, v19
	v_cmp_gt_u32_e32 vcc, 2, v19
	v_cmp_gt_u32_e64 s[0:1], s4, v4
	s_and_b64 s[0:1], vcc, s[0:1]
	s_and_b64 exec, exec, s[0:1]
	s_cbranch_execz .LBB180_7
; %bb.6:
	v_cmp_eq_u32_e32 vcc, 1, v19
	s_mul_i32 s3, s3, s10
	v_mov_b32_e32 v4, s18
	s_waitcnt lgkmcnt(0)
	v_cndmask_b32_e32 v2, v2, v3, vcc
	v_cndmask_b32_e32 v0, v0, v1, vcc
	v_add_f32_e32 v2, v0, v2
	v_mul_lo_u32 v0, v18, s7
	v_or_b32_e32 v1, s2, v19
	v_mov_b32_e32 v5, s19
	v_add3_u32 v0, v1, v0, s3
	v_mov_b32_e32 v1, 0
	v_lshl_add_u64 v[0:1], v[0:1], 2, v[4:5]
	global_store_dword v[0:1], v2, off
.LBB180_7:
	s_endpgm
	.section	.rodata,"a",@progbits
	.p2align	6, 0x0
	.amdhsa_kernel _ZL17mul_mat_vec_q_moeIL9ggml_type22ELi2EEvPKvS2_PKiPfj15HIP_vector_typeIjLj3EEjjjjjjjjj
		.amdhsa_group_segment_fixed_size 0
		.amdhsa_private_segment_fixed_size 0
		.amdhsa_kernarg_size 84
		.amdhsa_user_sgpr_count 2
		.amdhsa_user_sgpr_dispatch_ptr 0
		.amdhsa_user_sgpr_queue_ptr 0
		.amdhsa_user_sgpr_kernarg_segment_ptr 1
		.amdhsa_user_sgpr_dispatch_id 0
		.amdhsa_user_sgpr_kernarg_preload_length 0
		.amdhsa_user_sgpr_kernarg_preload_offset 0
		.amdhsa_user_sgpr_private_segment_size 0
		.amdhsa_uses_dynamic_stack 0
		.amdhsa_enable_private_segment 0
		.amdhsa_system_sgpr_workgroup_id_x 1
		.amdhsa_system_sgpr_workgroup_id_y 1
		.amdhsa_system_sgpr_workgroup_id_z 0
		.amdhsa_system_sgpr_workgroup_info 0
		.amdhsa_system_vgpr_workitem_id 1
		.amdhsa_next_free_vgpr 131
		.amdhsa_next_free_sgpr 29
		.amdhsa_accum_offset 132
		.amdhsa_reserve_vcc 1
		.amdhsa_float_round_mode_32 0
		.amdhsa_float_round_mode_16_64 0
		.amdhsa_float_denorm_mode_32 3
		.amdhsa_float_denorm_mode_16_64 3
		.amdhsa_dx10_clamp 1
		.amdhsa_ieee_mode 1
		.amdhsa_fp16_overflow 0
		.amdhsa_tg_split 0
		.amdhsa_exception_fp_ieee_invalid_op 0
		.amdhsa_exception_fp_denorm_src 0
		.amdhsa_exception_fp_ieee_div_zero 0
		.amdhsa_exception_fp_ieee_overflow 0
		.amdhsa_exception_fp_ieee_underflow 0
		.amdhsa_exception_fp_ieee_inexact 0
		.amdhsa_exception_int_div_zero 0
	.end_amdhsa_kernel
	.section	.text._ZL17mul_mat_vec_q_moeIL9ggml_type22ELi2EEvPKvS2_PKiPfj15HIP_vector_typeIjLj3EEjjjjjjjjj,"axG",@progbits,_ZL17mul_mat_vec_q_moeIL9ggml_type22ELi2EEvPKvS2_PKiPfj15HIP_vector_typeIjLj3EEjjjjjjjjj,comdat
.Lfunc_end180:
	.size	_ZL17mul_mat_vec_q_moeIL9ggml_type22ELi2EEvPKvS2_PKiPfj15HIP_vector_typeIjLj3EEjjjjjjjjj, .Lfunc_end180-_ZL17mul_mat_vec_q_moeIL9ggml_type22ELi2EEvPKvS2_PKiPfj15HIP_vector_typeIjLj3EEjjjjjjjjj
                                        ; -- End function
	.section	.AMDGPU.csdata,"",@progbits
; Kernel info:
; codeLenInByte = 4732
; NumSgprs: 35
; NumVgprs: 131
; NumAgprs: 0
; TotalNumVgprs: 131
; ScratchSize: 0
; MemoryBound: 0
; FloatMode: 240
; IeeeMode: 1
; LDSByteSize: 0 bytes/workgroup (compile time only)
; SGPRBlocks: 4
; VGPRBlocks: 16
; NumSGPRsForWavesPerEU: 35
; NumVGPRsForWavesPerEU: 131
; AccumOffset: 132
; Occupancy: 3
; WaveLimiterHint : 1
; COMPUTE_PGM_RSRC2:SCRATCH_EN: 0
; COMPUTE_PGM_RSRC2:USER_SGPR: 2
; COMPUTE_PGM_RSRC2:TRAP_HANDLER: 0
; COMPUTE_PGM_RSRC2:TGID_X_EN: 1
; COMPUTE_PGM_RSRC2:TGID_Y_EN: 1
; COMPUTE_PGM_RSRC2:TGID_Z_EN: 0
; COMPUTE_PGM_RSRC2:TIDIG_COMP_CNT: 1
; COMPUTE_PGM_RSRC3_GFX90A:ACCUM_OFFSET: 32
; COMPUTE_PGM_RSRC3_GFX90A:TG_SPLIT: 0
	.section	.text._ZL13mul_mat_vec_qIL9ggml_type22ELi1ELb1ELb1EEvPKvS2_PKi31ggml_cuda_mm_fusion_args_devicePfj15HIP_vector_typeIjLj3EEjjjS8_jjjS8_jjjj,"axG",@progbits,_ZL13mul_mat_vec_qIL9ggml_type22ELi1ELb1ELb1EEvPKvS2_PKi31ggml_cuda_mm_fusion_args_devicePfj15HIP_vector_typeIjLj3EEjjjS8_jjjS8_jjjj,comdat
	.globl	_ZL13mul_mat_vec_qIL9ggml_type22ELi1ELb1ELb1EEvPKvS2_PKi31ggml_cuda_mm_fusion_args_devicePfj15HIP_vector_typeIjLj3EEjjjS8_jjjS8_jjjj ; -- Begin function _ZL13mul_mat_vec_qIL9ggml_type22ELi1ELb1ELb1EEvPKvS2_PKi31ggml_cuda_mm_fusion_args_devicePfj15HIP_vector_typeIjLj3EEjjjS8_jjjS8_jjjj
	.p2align	8
	.type	_ZL13mul_mat_vec_qIL9ggml_type22ELi1ELb1ELb1EEvPKvS2_PKi31ggml_cuda_mm_fusion_args_devicePfj15HIP_vector_typeIjLj3EEjjjS8_jjjS8_jjjj,@function
_ZL13mul_mat_vec_qIL9ggml_type22ELi1ELb1ELb1EEvPKvS2_PKi31ggml_cuda_mm_fusion_args_devicePfj15HIP_vector_typeIjLj3EEjjjS8_jjjS8_jjjj: ; @_ZL13mul_mat_vec_qIL9ggml_type22ELi1ELb1ELb1EEvPKvS2_PKi31ggml_cuda_mm_fusion_args_devicePfj15HIP_vector_typeIjLj3EEjjjS8_jjjS8_jjjj
; %bb.0:
	s_load_dwordx8 s[16:23], s[2:3], 0x0
	s_load_dwordx4 s[36:39], s[2:3], 0x20
	s_load_dwordx4 s[40:43], s[2:3], 0x40
	;; [unrolled: 1-line block ×3, first 2 shown]
	s_mov_b32 s14, s5
	s_waitcnt lgkmcnt(0)
	s_cmp_lg_u64 s[20:21], 0
	s_cselect_b64 s[8:9], -1, 0
	s_cmp_eq_u64 s[20:21], 0
	s_mov_b64 s[10:11], 0
	s_cbranch_scc1 .LBB181_5
; %bb.1:
	s_mov_b32 s15, 0
	s_lshl_b64 s[12:13], s[14:15], 2
	s_add_u32 s12, s20, s12
	s_addc_u32 s13, s21, s13
	s_load_dword s44, s[12:13], 0x0
	s_load_dword s33, s[2:3], 0x50
	;; [unrolled: 1-line block ×3, first 2 shown]
	s_andn2_b64 vcc, exec, s[10:11]
	s_cbranch_vccnz .LBB181_3
.LBB181_2:
	s_load_dwordx2 s[10:11], s[2:3], 0x5c
	s_waitcnt lgkmcnt(0)
	s_mul_hi_u32 s5, s10, s14
	s_add_i32 s5, s14, s5
	s_lshr_b32 s44, s5, s11
.LBB181_3:
	s_andn2_b64 vcc, exec, s[8:9]
	s_cbranch_vccnz .LBB181_6
; %bb.4:
	s_mul_hi_u32 s5, s41, s14
	s_add_i32 s5, s14, s5
	s_lshr_b32 s5, s5, s42
	s_mul_i32 s5, s5, s43
	s_sub_i32 s41, s14, s5
	s_waitcnt lgkmcnt(0)
	s_mov_b32 s15, s44
	s_branch .LBB181_7
.LBB181_5:
                                        ; implicit-def: $sgpr44
	s_load_dword s33, s[2:3], 0x50
	s_load_dword s45, s[2:3], 0x78
	s_branch .LBB181_2
.LBB181_6:
	s_mov_b32 s15, s14
	s_mov_b32 s41, s14
.LBB181_7:
	s_load_dword s7, s[2:3], 0x58
	s_load_dwordx4 s[28:31], s[2:3], 0x80
	s_lshl_b32 s20, s4, 1
	s_cmp_eq_u64 s[22:23], 0
	v_and_b32_e32 v34, 0x3ff, v0
	v_bfe_u32 v39, v0, 10, 10
	s_cselect_b64 s[8:9], -1, 0
	s_and_b64 vcc, exec, s[8:9]
	v_mov_b32_e32 v35, 0
	v_cmp_gt_u32_e64 s[4:5], 2, v34
	v_cmp_eq_u32_e64 s[10:11], 0, v39
	v_or_b32_e32 v1, s20, v34
	v_mov_b32_e32 v36, 0
	s_cbranch_vccnz .LBB181_11
; %bb.8:
	s_waitcnt lgkmcnt(0)
	v_cmp_gt_u32_e32 vcc, s7, v1
	s_and_b64 s[4:5], s[4:5], vcc
	s_mov_b32 s13, 0
	s_and_b64 s[10:11], s[4:5], s[10:11]
	v_mov_b32_e32 v36, 0
	s_and_saveexec_b64 s[4:5], s[10:11]
	s_cbranch_execz .LBB181_10
; %bb.9:
	s_mul_i32 s12, s6, s30
	s_lshl_b64 s[10:11], s[12:13], 2
	s_add_u32 s21, s22, s10
	s_mul_i32 s12, s15, s26
	s_addc_u32 s22, s23, s11
	s_lshl_b64 s[10:11], s[12:13], 2
	s_add_u32 s12, s21, s10
	s_addc_u32 s13, s22, s11
	s_ashr_i32 s21, s20, 31
	s_lshl_b64 s[10:11], s[20:21], 2
	s_add_u32 s10, s12, s10
	s_addc_u32 s11, s13, s11
	v_lshlrev_b32_e32 v2, 2, v34
	global_load_dword v36, v2, s[10:11]
.LBB181_10:
	s_or_b64 exec, exec, s[4:5]
.LBB181_11:
	s_cmp_lg_u64 s[36:37], 0
	s_cselect_b64 s[34:35], -1, 0
	s_cmp_eq_u64 s[36:37], 0
	s_cselect_b64 s[22:23], -1, 0
	s_cmp_lg_u64 s[38:39], 0
	s_cselect_b64 s[4:5], -1, 0
	s_and_b64 s[10:11], s[4:5], s[34:35]
	s_andn2_b64 vcc, exec, s[10:11]
	s_cbranch_vccnz .LBB181_15
; %bb.12:
	v_cmp_gt_u32_e32 vcc, 2, v34
	s_waitcnt lgkmcnt(0)
	v_cmp_gt_u32_e64 s[12:13], s7, v1
	v_cmp_eq_u32_e64 s[10:11], 0, v39
	s_and_b64 s[12:13], vcc, s[12:13]
	s_mov_b32 s43, 0
	s_and_b64 s[12:13], s[12:13], s[10:11]
	v_mov_b32_e32 v35, 0
	s_and_saveexec_b64 s[10:11], s[12:13]
	s_cbranch_execz .LBB181_14
; %bb.13:
	s_mul_i32 s42, s6, s30
	s_lshl_b64 s[12:13], s[42:43], 2
	s_add_u32 s21, s38, s12
	s_mul_i32 s42, s15, s26
	s_addc_u32 s31, s39, s13
	s_lshl_b64 s[12:13], s[42:43], 2
	s_add_u32 s15, s21, s12
	s_addc_u32 s31, s31, s13
	s_ashr_i32 s21, s20, 31
	s_lshl_b64 s[12:13], s[20:21], 2
	s_add_u32 s12, s15, s12
	s_addc_u32 s13, s31, s13
	v_lshlrev_b32_e32 v1, 2, v34
	global_load_dword v35, v1, s[12:13]
.LBB181_14:
	s_or_b64 exec, exec, s[10:11]
.LBB181_15:
	s_load_dwordx2 s[0:1], s[0:1], 0x4
	v_bfe_u32 v1, v0, 20, 10
	v_lshl_add_u32 v0, v39, 6, v34
	s_lshr_b32 s15, s40, 8
	v_lshrrev_b32_e32 v40, 3, v0
	s_waitcnt lgkmcnt(0)
	s_lshr_b32 s0, s0, 16
	v_mul_u32_u24_e32 v2, s1, v39
	s_mul_i32 s0, s0, s1
	v_mad_u32_u24 v2, s0, v34, v2
	v_add_lshl_u32 v1, v2, v1, 3
	v_add_u32_e32 v38, 0x800, v1
	v_add_u32_e32 v37, 0x400, v1
	v_cndmask_b32_e64 v1, 0, 1, s[34:35]
	v_mov_b32_e32 v44, 0
	v_cmp_gt_u32_e32 vcc, s15, v40
	v_cmp_ne_u32_e64 s[10:11], 1, v1
	v_mov_b32_e32 v41, 0
	v_mov_b32_e32 v43, 0
	;; [unrolled: 1-line block ×3, first 2 shown]
	ds_write2_b32 v38, v44, v44 offset1:1
	ds_write2_b32 v37, v44, v44 offset1:1
	s_and_saveexec_b64 s[0:1], vcc
	s_cbranch_execz .LBB181_23
; %bb.16:
	s_mul_hi_u32 s13, s27, s6
	s_add_i32 s13, s6, s13
	s_lshr_b32 s13, s13, s45
	s_mul_i32 s21, s44, s24
	s_mul_i32 s13, s13, s28
	;; [unrolled: 1-line block ×3, first 2 shown]
	s_add_i32 s27, s13, s21
	s_add_i32 s13, s20, 1
	s_mul_i32 s24, s20, s33
	s_mul_i32 s33, s33, s13
	s_mul_hi_u32 s13, s12, 36
	s_mul_i32 s12, s12, 36
	v_lshrrev_b32_e32 v3, 3, v0
	v_mov_b32_e32 v0, s12
	v_mov_b32_e32 v1, s13
	s_movk_i32 s12, 0x120
	s_mul_i32 s29, s6, s29
	v_mad_u64_u32 v[0:1], s[12:13], v3, s12, v[0:1]
	v_and_b32_e32 v8, 7, v34
	v_mad_u64_u32 v[0:1], s[12:13], s29, 36, v[0:1]
	v_mad_u64_u32 v[0:1], s[12:13], v8, 36, v[0:1]
	v_lshlrev_b32_e32 v2, 1, v8
	v_mov_b32_e32 v11, 0
	v_lshl_add_u64 v[0:1], v[0:1], 0, s[18:19]
	v_mov_b32_e32 v9, v11
	s_add_i32 s21, s27, s24
	s_add_i32 s27, s27, s33
	v_lshl_add_u64 v[12:13], v[0:1], 0, 16
	s_mov_b64 s[12:13], 0
	s_movk_i32 s28, 0x52
	v_mov_b64_e32 v[14:15], s[16:17]
	v_lshlrev_b32_e32 v10, 1, v2
	s_movk_i32 s29, 0x300
	s_movk_i32 s31, 0xff00
	s_mov_b64 s[18:19], 0x1200
	v_mov_b32_e32 v45, 5
	v_mov_b32_e32 v46, 1
	;; [unrolled: 1-line block ×7, first 2 shown]
	s_branch .LBB181_18
.LBB181_17:                             ;   in Loop: Header=BB181_18 Depth=1
	s_waitcnt vmcnt(5)
	v_bfe_u32 v58, v54, 3, 1
	v_lshlrev_b32_sdwa v55, v45, v54 dst_sel:DWORD dst_unused:UNUSED_PAD src0_sel:DWORD src1_sel:BYTE_0
	v_bfe_u32 v57, v54, 1, 7
	v_cmp_ne_u16_e32 vcc, 0, v58
	v_and_b32_e32 v56, 1, v54
	v_bfe_i32 v57, v57, 0, 1
	v_lshrrev_b16_e32 v55, 7, v55
	v_cndmask_b32_e64 v58, 0, -1, vcc
	v_sub_u16_e32 v56, 0, v56
	v_bfe_i32 v55, v55, 0, 1
	v_lshlrev_b16_e32 v57, 8, v57
	v_lshlrev_b16_e32 v58, 8, v58
	v_or_b32_sdwa v59, v56, v57 dst_sel:DWORD dst_unused:UNUSED_PAD src0_sel:BYTE_0 src1_sel:DWORD
	v_or_b32_sdwa v60, v55, v58 dst_sel:WORD_1 dst_unused:UNUSED_PAD src0_sel:BYTE_0 src1_sel:DWORD
	v_bfe_u32 v63, v54, 7, 1
	v_or_b32_sdwa v59, v59, v60 dst_sel:DWORD dst_unused:UNUSED_PAD src0_sel:WORD_0 src1_sel:DWORD
	s_waitcnt vmcnt(3)
	v_xor_b32_e32 v30, v30, v59
	v_lshlrev_b32_sdwa v60, v46, v54 dst_sel:DWORD dst_unused:UNUSED_PAD src0_sel:DWORD src1_sel:BYTE_0
	v_bfe_u32 v62, v54, 5, 3
	v_cmp_ne_u16_e32 vcc, 0, v63
	v_and_b32_e32 v59, 0xffffff00, v30
	v_bfe_i32 v62, v62, 0, 1
	v_lshrrev_b16_e32 v60, 7, v60
	v_cndmask_b32_e64 v63, 0, -1, vcc
	v_sub_i16 v57, v59, v57 clamp
	v_lshlrev_b16_e32 v59, 8, v30
	v_lshlrev_b16_e32 v56, 8, v56
	v_bfe_i32 v61, v54, 4, 1
	v_bfe_i32 v60, v60, 0, 1
	v_lshlrev_b16_e32 v62, 8, v62
	v_lshlrev_b16_e32 v63, 8, v63
	v_and_b32_e32 v57, 0xffffff00, v57
	v_sub_i16 v56, v59, v56 clamp
	v_or_b32_sdwa v64, v61, v62 dst_sel:DWORD dst_unused:UNUSED_PAD src0_sel:BYTE_0 src1_sel:DWORD
	v_or_b32_sdwa v65, v60, v63 dst_sel:WORD_1 dst_unused:UNUSED_PAD src0_sel:BYTE_0 src1_sel:DWORD
	v_or_b32_sdwa v56, v56, v57 dst_sel:DWORD dst_unused:UNUSED_PAD src0_sel:BYTE_1 src1_sel:DWORD
	v_and_b32_sdwa v57, v30, s31 dst_sel:DWORD dst_unused:UNUSED_PAD src0_sel:WORD_1 src1_sel:DWORD
	v_or_b32_sdwa v64, v64, v65 dst_sel:DWORD dst_unused:UNUSED_PAD src0_sel:WORD_0 src1_sel:DWORD
	v_sub_i16 v57, v57, v58 clamp
	v_lshlrev_b16_sdwa v30, v47, v30 dst_sel:DWORD dst_unused:UNUSED_PAD src0_sel:DWORD src1_sel:WORD_1
	v_lshlrev_b16_e32 v55, 8, v55
	v_and_b32_e32 v57, 0xffffff00, v57
	v_sub_i16 v30, v30, v55 clamp
	v_xor_b32_e32 v31, v31, v64
	v_or_b32_sdwa v30, v30, v57 dst_sel:WORD_1 dst_unused:UNUSED_PAD src0_sel:BYTE_1 src1_sel:DWORD
	v_and_b32_e32 v55, 0xffffff00, v31
	v_or_b32_sdwa v30, v56, v30 dst_sel:DWORD dst_unused:UNUSED_PAD src0_sel:WORD_0 src1_sel:DWORD
	v_sub_i16 v55, v55, v62 clamp
	v_lshlrev_b16_e32 v56, 8, v31
	v_lshlrev_b16_e32 v57, 8, v61
	v_and_b32_e32 v55, 0xffffff00, v55
	v_sub_i16 v56, v56, v57 clamp
	v_or_b32_sdwa v55, v56, v55 dst_sel:DWORD dst_unused:UNUSED_PAD src0_sel:BYTE_1 src1_sel:DWORD
	v_and_b32_sdwa v56, v31, s31 dst_sel:DWORD dst_unused:UNUSED_PAD src0_sel:WORD_1 src1_sel:DWORD
	v_sub_i16 v56, v56, v63 clamp
	v_lshlrev_b16_sdwa v31, v47, v31 dst_sel:DWORD dst_unused:UNUSED_PAD src0_sel:DWORD src1_sel:WORD_1
	v_lshlrev_b16_e32 v57, 8, v60
	v_and_b32_e32 v56, 0xffffff00, v56
	v_sub_i16 v31, v31, v57 clamp
	v_or_b32_sdwa v31, v31, v56 dst_sel:WORD_1 dst_unused:UNUSED_PAD src0_sel:BYTE_1 src1_sel:DWORD
	v_lshlrev_b16_e32 v56, 7, v54
	v_or_b32_sdwa v31, v55, v31 dst_sel:DWORD dst_unused:UNUSED_PAD src0_sel:WORD_0 src1_sel:DWORD
	v_mov_b32_e32 v55, v11
	v_dot4c_i32_i8_e32 v55, v30, v5
	v_lshrrev_b16_e32 v30, 8, v54
	v_bfe_u32 v58, v30, 3, 1
	v_dot4c_i32_i8_e32 v55, v31, v6
	v_lshlrev_b32_e32 v31, 5, v30
	v_lshrrev_b32_e32 v57, 1, v30
	v_cmp_ne_u16_e32 vcc, 0, v58
	v_bfe_i32 v57, v57, 0, 1
	v_lshrrev_b16_e32 v31, 7, v31
	v_cndmask_b32_e64 v58, 0, -1, vcc
	v_ashrrev_i16_e32 v56, 15, v56
	v_bfe_i32 v31, v31, 0, 1
	v_lshlrev_b16_e32 v57, 8, v57
	v_lshlrev_b16_e32 v58, 8, v58
	v_or_b32_sdwa v59, v56, v57 dst_sel:DWORD dst_unused:UNUSED_PAD src0_sel:BYTE_0 src1_sel:DWORD
	v_or_b32_sdwa v60, v31, v58 dst_sel:WORD_1 dst_unused:UNUSED_PAD src0_sel:BYTE_0 src1_sel:DWORD
	v_bfe_i32 v61, v30, 4, 1
	v_or_b32_sdwa v59, v59, v60 dst_sel:DWORD dst_unused:UNUSED_PAD src0_sel:WORD_0 src1_sel:DWORD
	v_lshlrev_b32_e32 v60, 1, v30
	v_lshrrev_b32_e32 v62, 5, v30
	v_lshrrev_b32_e32 v30, 7, v30
	s_waitcnt vmcnt(2)
	v_xor_b32_e32 v28, v28, v59
	v_cmp_ne_u16_e32 vcc, 0, v30
	v_and_b32_e32 v59, 0xffffff00, v28
	v_bfe_i32 v62, v62, 0, 1
	v_lshrrev_b16_e32 v60, 7, v60
	v_cndmask_b32_e64 v30, 0, -1, vcc
	v_sub_i16 v57, v59, v57 clamp
	v_lshlrev_b16_e32 v59, 8, v28
	v_lshlrev_b16_e32 v56, 8, v56
	v_bfe_i32 v60, v60, 0, 1
	v_lshlrev_b16_e32 v62, 8, v62
	v_lshlrev_b16_e32 v30, 8, v30
	v_and_b32_e32 v57, 0xffffff00, v57
	v_sub_i16 v56, v59, v56 clamp
	v_or_b32_sdwa v63, v61, v62 dst_sel:DWORD dst_unused:UNUSED_PAD src0_sel:BYTE_0 src1_sel:DWORD
	v_or_b32_sdwa v64, v60, v30 dst_sel:WORD_1 dst_unused:UNUSED_PAD src0_sel:BYTE_0 src1_sel:DWORD
	v_or_b32_sdwa v56, v56, v57 dst_sel:DWORD dst_unused:UNUSED_PAD src0_sel:BYTE_1 src1_sel:DWORD
	v_and_b32_sdwa v57, v28, s31 dst_sel:DWORD dst_unused:UNUSED_PAD src0_sel:WORD_1 src1_sel:DWORD
	v_or_b32_sdwa v63, v63, v64 dst_sel:DWORD dst_unused:UNUSED_PAD src0_sel:WORD_0 src1_sel:DWORD
	v_sub_i16 v57, v57, v58 clamp
	v_lshlrev_b16_sdwa v28, v47, v28 dst_sel:DWORD dst_unused:UNUSED_PAD src0_sel:DWORD src1_sel:WORD_1
	v_lshlrev_b16_e32 v31, 8, v31
	v_and_b32_e32 v57, 0xffffff00, v57
	v_sub_i16 v28, v28, v31 clamp
	v_xor_b32_e32 v29, v29, v63
	v_or_b32_sdwa v28, v28, v57 dst_sel:WORD_1 dst_unused:UNUSED_PAD src0_sel:BYTE_1 src1_sel:DWORD
	v_and_b32_e32 v31, 0xffffff00, v29
	v_or_b32_sdwa v28, v56, v28 dst_sel:DWORD dst_unused:UNUSED_PAD src0_sel:WORD_0 src1_sel:DWORD
	v_sub_i16 v31, v31, v62 clamp
	v_lshlrev_b16_e32 v56, 8, v29
	v_lshlrev_b16_e32 v57, 8, v61
	v_and_b32_e32 v31, 0xffffff00, v31
	v_sub_i16 v56, v56, v57 clamp
	v_or_b32_sdwa v31, v56, v31 dst_sel:DWORD dst_unused:UNUSED_PAD src0_sel:BYTE_1 src1_sel:DWORD
	v_and_b32_sdwa v56, v29, s31 dst_sel:DWORD dst_unused:UNUSED_PAD src0_sel:WORD_1 src1_sel:DWORD
	v_sub_i16 v30, v56, v30 clamp
	v_lshlrev_b16_sdwa v29, v47, v29 dst_sel:DWORD dst_unused:UNUSED_PAD src0_sel:DWORD src1_sel:WORD_1
	v_lshlrev_b16_e32 v56, 8, v60
	v_and_b32_e32 v30, 0xffffff00, v30
	v_sub_i16 v29, v29, v56 clamp
	v_or_b32_sdwa v29, v29, v30 dst_sel:WORD_1 dst_unused:UNUSED_PAD src0_sel:BYTE_1 src1_sel:DWORD
	v_lshrrev_b32_e32 v32, 16, v54
	v_or_b32_sdwa v29, v31, v29 dst_sel:DWORD dst_unused:UNUSED_PAD src0_sel:WORD_0 src1_sel:DWORD
	v_bfe_u32 v31, v54, 19, 1
	v_dot4c_i32_i8_e32 v55, v28, v7
	v_lshlrev_b32_sdwa v28, v45, v54 dst_sel:DWORD dst_unused:UNUSED_PAD src0_sel:DWORD src1_sel:BYTE_2
	v_bfe_u32 v30, v32, 1, 7
	v_cmp_ne_u16_e32 vcc, 0, v31
	v_dot4c_i32_i8_e32 v55, v29, v0
	v_and_b32_e32 v29, 1, v32
	v_bfe_i32 v30, v30, 0, 1
	v_lshrrev_b16_e32 v28, 7, v28
	v_cndmask_b32_e64 v31, 0, -1, vcc
	v_sub_u16_e32 v29, 0, v29
	v_bfe_i32 v28, v28, 0, 1
	v_lshlrev_b16_e32 v30, 8, v30
	v_lshlrev_b16_e32 v31, 8, v31
	v_or_b32_sdwa v56, v29, v30 dst_sel:DWORD dst_unused:UNUSED_PAD src0_sel:BYTE_0 src1_sel:DWORD
	v_or_b32_sdwa v57, v28, v31 dst_sel:WORD_1 dst_unused:UNUSED_PAD src0_sel:BYTE_0 src1_sel:DWORD
	v_bfe_u32 v60, v32, 7, 1
	v_or_b32_sdwa v56, v56, v57 dst_sel:DWORD dst_unused:UNUSED_PAD src0_sel:WORD_0 src1_sel:DWORD
	s_waitcnt vmcnt(1)
	v_xor_b32_e32 v26, v26, v56
	v_lshlrev_b32_sdwa v57, v46, v54 dst_sel:DWORD dst_unused:UNUSED_PAD src0_sel:DWORD src1_sel:BYTE_2
	v_bfe_u32 v59, v32, 5, 3
	v_cmp_ne_u16_e32 vcc, 0, v60
	v_and_b32_e32 v56, 0xffffff00, v26
	v_bfe_i32 v59, v59, 0, 1
	v_lshrrev_b16_e32 v57, 7, v57
	v_cndmask_b32_e64 v60, 0, -1, vcc
	v_sub_i16 v30, v56, v30 clamp
	v_lshlrev_b16_e32 v56, 8, v26
	v_lshlrev_b16_e32 v29, 8, v29
	v_bfe_i32 v58, v54, 20, 1
	v_bfe_i32 v57, v57, 0, 1
	v_lshlrev_b16_e32 v59, 8, v59
	v_lshlrev_b16_e32 v60, 8, v60
	v_and_b32_e32 v30, 0xffffff00, v30
	v_sub_i16 v29, v56, v29 clamp
	v_or_b32_sdwa v61, v58, v59 dst_sel:DWORD dst_unused:UNUSED_PAD src0_sel:BYTE_0 src1_sel:DWORD
	v_or_b32_sdwa v62, v57, v60 dst_sel:WORD_1 dst_unused:UNUSED_PAD src0_sel:BYTE_0 src1_sel:DWORD
	v_or_b32_sdwa v29, v29, v30 dst_sel:DWORD dst_unused:UNUSED_PAD src0_sel:BYTE_1 src1_sel:DWORD
	v_and_b32_sdwa v30, v26, s31 dst_sel:DWORD dst_unused:UNUSED_PAD src0_sel:WORD_1 src1_sel:DWORD
	v_or_b32_sdwa v61, v61, v62 dst_sel:DWORD dst_unused:UNUSED_PAD src0_sel:WORD_0 src1_sel:DWORD
	v_sub_i16 v30, v30, v31 clamp
	v_lshlrev_b16_sdwa v26, v47, v26 dst_sel:DWORD dst_unused:UNUSED_PAD src0_sel:DWORD src1_sel:WORD_1
	v_lshlrev_b16_e32 v28, 8, v28
	v_and_b32_e32 v30, 0xffffff00, v30
	v_sub_i16 v26, v26, v28 clamp
	v_xor_b32_e32 v27, v27, v61
	v_or_b32_sdwa v26, v26, v30 dst_sel:WORD_1 dst_unused:UNUSED_PAD src0_sel:BYTE_1 src1_sel:DWORD
	v_and_b32_e32 v28, 0xffffff00, v27
	v_or_b32_sdwa v26, v29, v26 dst_sel:DWORD dst_unused:UNUSED_PAD src0_sel:WORD_0 src1_sel:DWORD
	v_sub_i16 v28, v28, v59 clamp
	v_lshlrev_b16_e32 v29, 8, v27
	v_lshlrev_b16_e32 v30, 8, v58
	v_and_b32_e32 v28, 0xffffff00, v28
	v_sub_i16 v29, v29, v30 clamp
	v_or_b32_sdwa v28, v29, v28 dst_sel:DWORD dst_unused:UNUSED_PAD src0_sel:BYTE_1 src1_sel:DWORD
	v_and_b32_sdwa v29, v27, s31 dst_sel:DWORD dst_unused:UNUSED_PAD src0_sel:WORD_1 src1_sel:DWORD
	v_sub_i16 v29, v29, v60 clamp
	v_lshlrev_b16_sdwa v27, v47, v27 dst_sel:DWORD dst_unused:UNUSED_PAD src0_sel:DWORD src1_sel:WORD_1
	v_lshlrev_b16_e32 v30, 8, v57
	v_and_b32_e32 v29, 0xffffff00, v29
	v_sub_i16 v27, v27, v30 clamp
	v_or_b32_sdwa v27, v27, v29 dst_sel:WORD_1 dst_unused:UNUSED_PAD src0_sel:BYTE_1 src1_sel:DWORD
	v_lshrrev_b32_e32 v33, 24, v54
	v_or_b32_sdwa v27, v28, v27 dst_sel:DWORD dst_unused:UNUSED_PAD src0_sel:WORD_0 src1_sel:DWORD
	v_mov_b32_e32 v28, v11
	v_bfe_u32 v30, v54, 27, 1
	v_dot4c_i32_i8_e32 v28, v26, v1
	v_lshlrev_b32_e32 v26, 5, v33
	v_lshrrev_b32_e32 v29, 25, v54
	v_cmp_ne_u16_e32 vcc, 0, v30
	v_dot4c_i32_i8_e32 v28, v27, v2
	v_lshlrev_b16_e32 v27, 7, v32
	v_bfe_i32 v29, v29, 0, 1
	v_lshrrev_b16_e32 v26, 7, v26
	v_cndmask_b32_e64 v30, 0, -1, vcc
	v_ashrrev_i16_e32 v27, 15, v27
	v_bfe_i32 v26, v26, 0, 1
	v_lshlrev_b16_e32 v29, 8, v29
	v_lshlrev_b16_e32 v30, 8, v30
	v_or_b32_sdwa v31, v27, v29 dst_sel:DWORD dst_unused:UNUSED_PAD src0_sel:BYTE_0 src1_sel:DWORD
	v_or_b32_sdwa v32, v26, v30 dst_sel:WORD_1 dst_unused:UNUSED_PAD src0_sel:BYTE_0 src1_sel:DWORD
	v_lshrrev_b32_e32 v56, 29, v54
	v_or_b32_sdwa v31, v31, v32 dst_sel:DWORD dst_unused:UNUSED_PAD src0_sel:WORD_0 src1_sel:DWORD
	v_lshrrev_b32_e32 v54, 31, v54
	s_waitcnt vmcnt(0)
	v_xor_b32_e32 v24, v24, v31
	v_lshlrev_b32_e32 v32, 1, v33
	v_cmp_ne_u16_e32 vcc, 0, v54
	v_and_b32_e32 v31, 0xffffff00, v24
	v_bfe_i32 v56, v56, 0, 1
	v_lshrrev_b16_e32 v32, 7, v32
	v_cndmask_b32_e64 v54, 0, -1, vcc
	v_sub_i16 v29, v31, v29 clamp
	v_lshlrev_b16_e32 v31, 8, v24
	v_lshlrev_b16_e32 v27, 8, v27
	v_bfe_i32 v33, v33, 4, 1
	v_bfe_i32 v32, v32, 0, 1
	v_lshlrev_b16_e32 v56, 8, v56
	v_lshlrev_b16_e32 v54, 8, v54
	v_and_b32_e32 v29, 0xffffff00, v29
	v_sub_i16 v27, v31, v27 clamp
	v_or_b32_sdwa v57, v33, v56 dst_sel:DWORD dst_unused:UNUSED_PAD src0_sel:BYTE_0 src1_sel:DWORD
	v_or_b32_sdwa v58, v32, v54 dst_sel:WORD_1 dst_unused:UNUSED_PAD src0_sel:BYTE_0 src1_sel:DWORD
	v_or_b32_sdwa v27, v27, v29 dst_sel:DWORD dst_unused:UNUSED_PAD src0_sel:BYTE_1 src1_sel:DWORD
	v_and_b32_sdwa v29, v24, s31 dst_sel:DWORD dst_unused:UNUSED_PAD src0_sel:WORD_1 src1_sel:DWORD
	v_or_b32_sdwa v57, v57, v58 dst_sel:DWORD dst_unused:UNUSED_PAD src0_sel:WORD_0 src1_sel:DWORD
	v_sub_i16 v29, v29, v30 clamp
	v_lshlrev_b16_sdwa v24, v47, v24 dst_sel:DWORD dst_unused:UNUSED_PAD src0_sel:DWORD src1_sel:WORD_1
	v_lshlrev_b16_e32 v26, 8, v26
	v_and_b32_e32 v29, 0xffffff00, v29
	v_sub_i16 v24, v24, v26 clamp
	v_xor_b32_e32 v25, v25, v57
	v_or_b32_sdwa v24, v24, v29 dst_sel:WORD_1 dst_unused:UNUSED_PAD src0_sel:BYTE_1 src1_sel:DWORD
	v_and_b32_e32 v26, 0xffffff00, v25
	v_or_b32_sdwa v24, v27, v24 dst_sel:DWORD dst_unused:UNUSED_PAD src0_sel:WORD_0 src1_sel:DWORD
	v_sub_i16 v26, v26, v56 clamp
	v_lshlrev_b16_e32 v27, 8, v25
	v_lshlrev_b16_e32 v29, 8, v33
	v_and_b32_e32 v26, 0xffffff00, v26
	v_sub_i16 v27, v27, v29 clamp
	v_or_b32_sdwa v26, v27, v26 dst_sel:DWORD dst_unused:UNUSED_PAD src0_sel:BYTE_1 src1_sel:DWORD
	v_and_b32_sdwa v27, v25, s31 dst_sel:DWORD dst_unused:UNUSED_PAD src0_sel:WORD_1 src1_sel:DWORD
	v_sub_i16 v27, v27, v54 clamp
	v_lshlrev_b16_sdwa v25, v47, v25 dst_sel:DWORD dst_unused:UNUSED_PAD src0_sel:DWORD src1_sel:WORD_1
	v_lshlrev_b16_e32 v29, 8, v32
	v_and_b32_e32 v27, 0xffffff00, v27
	v_sub_i16 v25, v25, v29 clamp
	v_or_b32_sdwa v25, v25, v27 dst_sel:WORD_1 dst_unused:UNUSED_PAD src0_sel:BYTE_1 src1_sel:DWORD
	v_dot4c_i32_i8_e32 v28, v24, v3
	v_or_b32_sdwa v25, v26, v25 dst_sel:DWORD dst_unused:UNUSED_PAD src0_sel:WORD_0 src1_sel:DWORD
	v_dot4c_i32_i8_e32 v28, v25, v48
	v_bfe_u32 v24, v52, 4, 4
	v_bfe_u32 v31, v51, 3, 1
	;; [unrolled: 1-line block ×3, first 2 shown]
	v_add_u32_e32 v26, v28, v55
	v_mul_lo_u32 v24, v28, v24
	v_lshrrev_b32_e32 v27, 31, v26
	v_lshlrev_b32_sdwa v28, v45, v51 dst_sel:DWORD dst_unused:UNUSED_PAD src0_sel:DWORD src1_sel:BYTE_0
	v_cmp_ne_u16_e32 vcc, 0, v31
	v_and_b32_e32 v25, 15, v52
	v_add_u32_e32 v26, v26, v27
	v_and_b32_e32 v29, 1, v51
	v_bfe_i32 v30, v30, 0, 1
	v_lshrrev_b16_e32 v28, 7, v28
	v_cndmask_b32_e64 v31, 0, -1, vcc
	v_mul_lo_u32 v25, v55, v25
	v_ashrrev_i32_e32 v26, 1, v26
	v_sub_u16_e32 v29, 0, v29
	v_bfe_i32 v28, v28, 0, 1
	v_lshlrev_b16_e32 v30, 8, v30
	v_lshlrev_b16_e32 v31, 8, v31
	v_add3_u32 v24, v24, v25, v26
	v_or_b32_sdwa v32, v29, v30 dst_sel:DWORD dst_unused:UNUSED_PAD src0_sel:BYTE_0 src1_sel:DWORD
	v_or_b32_sdwa v33, v28, v31 dst_sel:WORD_1 dst_unused:UNUSED_PAD src0_sel:BYTE_0 src1_sel:DWORD
	v_ashrrev_i32_e32 v25, 31, v24
	v_or_b32_sdwa v32, v32, v33 dst_sel:DWORD dst_unused:UNUSED_PAD src0_sel:WORD_0 src1_sel:DWORD
	v_lshrrev_b32_e32 v25, 30, v25
	v_bfe_u32 v54, v51, 7, 1
	v_xor_b32_e32 v22, v22, v32
	v_add_u32_e32 v24, v24, v25
	v_cvt_f32_f16_e32 v25, v53
	v_lshlrev_b32_sdwa v33, v46, v51 dst_sel:DWORD dst_unused:UNUSED_PAD src0_sel:DWORD src1_sel:BYTE_0
	v_bfe_u32 v53, v51, 5, 3
	v_cmp_ne_u16_e32 vcc, 0, v54
	v_and_b32_e32 v32, 0xffffff00, v22
	v_bfe_i32 v53, v53, 0, 1
	v_lshrrev_b16_e32 v33, 7, v33
	v_cndmask_b32_e64 v54, 0, -1, vcc
	v_sub_i16 v30, v32, v30 clamp
	v_lshlrev_b16_e32 v32, 8, v22
	v_lshlrev_b16_e32 v29, 8, v29
	v_bfe_i32 v52, v51, 4, 1
	v_bfe_i32 v33, v33, 0, 1
	v_lshlrev_b16_e32 v53, 8, v53
	v_lshlrev_b16_e32 v54, 8, v54
	v_and_b32_e32 v30, 0xffffff00, v30
	v_sub_i16 v29, v32, v29 clamp
	v_or_b32_sdwa v55, v52, v53 dst_sel:DWORD dst_unused:UNUSED_PAD src0_sel:BYTE_0 src1_sel:DWORD
	v_or_b32_sdwa v56, v33, v54 dst_sel:WORD_1 dst_unused:UNUSED_PAD src0_sel:BYTE_0 src1_sel:DWORD
	v_or_b32_sdwa v29, v29, v30 dst_sel:DWORD dst_unused:UNUSED_PAD src0_sel:BYTE_1 src1_sel:DWORD
	v_and_b32_sdwa v30, v22, s31 dst_sel:DWORD dst_unused:UNUSED_PAD src0_sel:WORD_1 src1_sel:DWORD
	v_or_b32_sdwa v55, v55, v56 dst_sel:DWORD dst_unused:UNUSED_PAD src0_sel:WORD_0 src1_sel:DWORD
	v_sub_i16 v30, v30, v31 clamp
	v_lshlrev_b16_sdwa v22, v47, v22 dst_sel:DWORD dst_unused:UNUSED_PAD src0_sel:DWORD src1_sel:WORD_1
	v_lshlrev_b16_e32 v28, 8, v28
	v_and_b32_e32 v30, 0xffffff00, v30
	v_sub_i16 v22, v22, v28 clamp
	v_xor_b32_e32 v23, v23, v55
	v_or_b32_sdwa v22, v22, v30 dst_sel:WORD_1 dst_unused:UNUSED_PAD src0_sel:BYTE_1 src1_sel:DWORD
	v_and_b32_e32 v28, 0xffffff00, v23
	v_or_b32_sdwa v22, v29, v22 dst_sel:DWORD dst_unused:UNUSED_PAD src0_sel:WORD_0 src1_sel:DWORD
	v_sub_i16 v28, v28, v53 clamp
	v_lshlrev_b16_e32 v29, 8, v23
	v_lshlrev_b16_e32 v30, 8, v52
	v_and_b32_e32 v28, 0xffffff00, v28
	v_sub_i16 v29, v29, v30 clamp
	v_or_b32_sdwa v28, v29, v28 dst_sel:DWORD dst_unused:UNUSED_PAD src0_sel:BYTE_1 src1_sel:DWORD
	v_and_b32_sdwa v29, v23, s31 dst_sel:DWORD dst_unused:UNUSED_PAD src0_sel:WORD_1 src1_sel:DWORD
	v_sub_i16 v29, v29, v54 clamp
	v_lshlrev_b16_sdwa v23, v47, v23 dst_sel:DWORD dst_unused:UNUSED_PAD src0_sel:DWORD src1_sel:WORD_1
	v_lshlrev_b16_e32 v30, 8, v33
	v_and_b32_e32 v29, 0xffffff00, v29
	v_sub_i16 v23, v23, v30 clamp
	v_or_b32_sdwa v23, v23, v29 dst_sel:WORD_1 dst_unused:UNUSED_PAD src0_sel:BYTE_1 src1_sel:DWORD
	v_lshrrev_b32_e32 v26, 16, v51
	v_or_b32_sdwa v23, v28, v23 dst_sel:DWORD dst_unused:UNUSED_PAD src0_sel:WORD_0 src1_sel:DWORD
	v_mov_b32_e32 v28, v11
	v_dot4c_i32_i8_e32 v28, v22, v5
	v_lshrrev_b16_e32 v5, 8, v51
	v_bfe_u32 v29, v5, 3, 1
	v_dot4c_i32_i8_e32 v28, v23, v6
	v_lshlrev_b32_e32 v6, 5, v5
	v_lshrrev_b32_e32 v23, 1, v5
	v_cmp_ne_u16_e32 vcc, 0, v29
	v_lshlrev_b16_e32 v22, 7, v51
	v_bfe_i32 v23, v23, 0, 1
	v_lshrrev_b16_e32 v6, 7, v6
	v_cndmask_b32_e64 v29, 0, -1, vcc
	v_ashrrev_i16_e32 v22, 15, v22
	v_bfe_i32 v6, v6, 0, 1
	v_lshlrev_b16_e32 v23, 8, v23
	v_lshlrev_b16_e32 v29, 8, v29
	v_or_b32_sdwa v30, v22, v23 dst_sel:DWORD dst_unused:UNUSED_PAD src0_sel:BYTE_0 src1_sel:DWORD
	v_or_b32_sdwa v31, v6, v29 dst_sel:WORD_1 dst_unused:UNUSED_PAD src0_sel:BYTE_0 src1_sel:DWORD
	v_bfe_i32 v32, v5, 4, 1
	v_or_b32_sdwa v30, v30, v31 dst_sel:DWORD dst_unused:UNUSED_PAD src0_sel:WORD_0 src1_sel:DWORD
	v_lshlrev_b32_e32 v31, 1, v5
	v_lshrrev_b32_e32 v33, 5, v5
	v_lshrrev_b32_e32 v5, 7, v5
	v_xor_b32_e32 v20, v20, v30
	v_cmp_ne_u16_e32 vcc, 0, v5
	v_and_b32_e32 v30, 0xffffff00, v20
	v_bfe_i32 v33, v33, 0, 1
	v_lshrrev_b16_e32 v31, 7, v31
	v_cndmask_b32_e64 v5, 0, -1, vcc
	v_sub_i16 v23, v30, v23 clamp
	v_lshlrev_b16_e32 v30, 8, v20
	v_lshlrev_b16_e32 v22, 8, v22
	v_bfe_i32 v31, v31, 0, 1
	v_lshlrev_b16_e32 v33, 8, v33
	v_lshlrev_b16_e32 v5, 8, v5
	v_and_b32_e32 v23, 0xffffff00, v23
	v_sub_i16 v22, v30, v22 clamp
	v_or_b32_sdwa v52, v32, v33 dst_sel:DWORD dst_unused:UNUSED_PAD src0_sel:BYTE_0 src1_sel:DWORD
	v_or_b32_sdwa v53, v31, v5 dst_sel:WORD_1 dst_unused:UNUSED_PAD src0_sel:BYTE_0 src1_sel:DWORD
	v_or_b32_sdwa v22, v22, v23 dst_sel:DWORD dst_unused:UNUSED_PAD src0_sel:BYTE_1 src1_sel:DWORD
	v_and_b32_sdwa v23, v20, s31 dst_sel:DWORD dst_unused:UNUSED_PAD src0_sel:WORD_1 src1_sel:DWORD
	v_or_b32_sdwa v52, v52, v53 dst_sel:DWORD dst_unused:UNUSED_PAD src0_sel:WORD_0 src1_sel:DWORD
	v_sub_i16 v23, v23, v29 clamp
	v_lshlrev_b16_sdwa v20, v47, v20 dst_sel:DWORD dst_unused:UNUSED_PAD src0_sel:DWORD src1_sel:WORD_1
	v_lshlrev_b16_e32 v6, 8, v6
	v_and_b32_e32 v23, 0xffffff00, v23
	v_sub_i16 v6, v20, v6 clamp
	v_xor_b32_e32 v20, v21, v52
	v_or_b32_sdwa v6, v6, v23 dst_sel:WORD_1 dst_unused:UNUSED_PAD src0_sel:BYTE_1 src1_sel:DWORD
	v_and_b32_e32 v21, 0xffffff00, v20
	v_or_b32_sdwa v6, v22, v6 dst_sel:DWORD dst_unused:UNUSED_PAD src0_sel:WORD_0 src1_sel:DWORD
	v_sub_i16 v21, v21, v33 clamp
	v_lshlrev_b16_e32 v22, 8, v20
	v_lshlrev_b16_e32 v23, 8, v32
	v_and_b32_e32 v21, 0xffffff00, v21
	v_sub_i16 v22, v22, v23 clamp
	v_or_b32_sdwa v21, v22, v21 dst_sel:DWORD dst_unused:UNUSED_PAD src0_sel:BYTE_1 src1_sel:DWORD
	v_and_b32_sdwa v22, v20, s31 dst_sel:DWORD dst_unused:UNUSED_PAD src0_sel:WORD_1 src1_sel:DWORD
	v_sub_i16 v5, v22, v5 clamp
	v_lshlrev_b16_sdwa v20, v47, v20 dst_sel:DWORD dst_unused:UNUSED_PAD src0_sel:DWORD src1_sel:WORD_1
	v_lshlrev_b16_e32 v22, 8, v31
	v_and_b32_e32 v5, 0xffffff00, v5
	v_sub_i16 v20, v20, v22 clamp
	v_or_b32_sdwa v5, v20, v5 dst_sel:WORD_1 dst_unused:UNUSED_PAD src0_sel:BYTE_1 src1_sel:DWORD
	v_dot4c_i32_i8_e32 v28, v6, v7
	v_or_b32_sdwa v5, v21, v5 dst_sel:DWORD dst_unused:UNUSED_PAD src0_sel:WORD_0 src1_sel:DWORD
	v_bfe_u32 v7, v51, 19, 1
	v_dot4c_i32_i8_e32 v28, v5, v0
	v_lshlrev_b32_sdwa v0, v45, v51 dst_sel:DWORD dst_unused:UNUSED_PAD src0_sel:DWORD src1_sel:BYTE_2
	v_bfe_u32 v6, v26, 1, 7
	v_cmp_ne_u16_e32 vcc, 0, v7
	v_and_b32_e32 v5, 1, v26
	v_bfe_i32 v6, v6, 0, 1
	v_lshrrev_b16_e32 v0, 7, v0
	v_cndmask_b32_e64 v7, 0, -1, vcc
	v_sub_u16_e32 v5, 0, v5
	v_bfe_i32 v0, v0, 0, 1
	v_lshlrev_b16_e32 v6, 8, v6
	v_lshlrev_b16_e32 v7, 8, v7
	v_or_b32_sdwa v20, v5, v6 dst_sel:DWORD dst_unused:UNUSED_PAD src0_sel:BYTE_0 src1_sel:DWORD
	v_or_b32_sdwa v21, v0, v7 dst_sel:WORD_1 dst_unused:UNUSED_PAD src0_sel:BYTE_0 src1_sel:DWORD
	v_bfe_u32 v29, v26, 7, 1
	v_or_b32_sdwa v20, v20, v21 dst_sel:DWORD dst_unused:UNUSED_PAD src0_sel:WORD_0 src1_sel:DWORD
	v_xor_b32_e32 v18, v18, v20
	v_and_b32_e32 v20, 0xffffff00, v18
	v_sub_i16 v6, v20, v6 clamp
	v_lshlrev_b16_e32 v20, 8, v18
	v_lshlrev_b16_e32 v5, 8, v5
	v_lshlrev_b32_sdwa v21, v46, v51 dst_sel:DWORD dst_unused:UNUSED_PAD src0_sel:DWORD src1_sel:BYTE_2
	v_bfe_u32 v23, v26, 5, 3
	v_cmp_ne_u16_e32 vcc, 0, v29
	v_and_b32_e32 v6, 0xffffff00, v6
	v_sub_i16 v5, v20, v5 clamp
	v_bfe_i32 v23, v23, 0, 1
	v_lshrrev_b16_e32 v21, 7, v21
	v_cndmask_b32_e64 v29, 0, -1, vcc
	v_or_b32_sdwa v5, v5, v6 dst_sel:DWORD dst_unused:UNUSED_PAD src0_sel:BYTE_1 src1_sel:DWORD
	v_and_b32_sdwa v6, v18, s31 dst_sel:DWORD dst_unused:UNUSED_PAD src0_sel:WORD_1 src1_sel:DWORD
	v_bfe_i32 v22, v51, 20, 1
	v_bfe_i32 v21, v21, 0, 1
	v_lshlrev_b16_e32 v23, 8, v23
	v_lshlrev_b16_e32 v29, 8, v29
	v_sub_i16 v6, v6, v7 clamp
	v_lshlrev_b16_sdwa v7, v47, v18 dst_sel:DWORD dst_unused:UNUSED_PAD src0_sel:DWORD src1_sel:WORD_1
	v_lshlrev_b16_e32 v0, 8, v0
	v_or_b32_sdwa v30, v22, v23 dst_sel:DWORD dst_unused:UNUSED_PAD src0_sel:BYTE_0 src1_sel:DWORD
	v_or_b32_sdwa v31, v21, v29 dst_sel:WORD_1 dst_unused:UNUSED_PAD src0_sel:BYTE_0 src1_sel:DWORD
	v_and_b32_e32 v6, 0xffffff00, v6
	v_sub_i16 v0, v7, v0 clamp
	v_or_b32_sdwa v30, v30, v31 dst_sel:DWORD dst_unused:UNUSED_PAD src0_sel:WORD_0 src1_sel:DWORD
	v_or_b32_sdwa v0, v0, v6 dst_sel:WORD_1 dst_unused:UNUSED_PAD src0_sel:BYTE_1 src1_sel:DWORD
	v_lshlrev_b16_e32 v18, 8, v22
	v_or_b32_sdwa v0, v5, v0 dst_sel:DWORD dst_unused:UNUSED_PAD src0_sel:WORD_0 src1_sel:DWORD
	v_xor_b32_e32 v5, v19, v30
	v_and_b32_e32 v6, 0xffffff00, v5
	v_sub_i16 v6, v6, v23 clamp
	v_lshlrev_b16_e32 v7, 8, v5
	v_and_b32_e32 v6, 0xffffff00, v6
	v_sub_i16 v7, v7, v18 clamp
	v_or_b32_sdwa v6, v7, v6 dst_sel:DWORD dst_unused:UNUSED_PAD src0_sel:BYTE_1 src1_sel:DWORD
	v_and_b32_sdwa v7, v5, s31 dst_sel:DWORD dst_unused:UNUSED_PAD src0_sel:WORD_1 src1_sel:DWORD
	v_sub_i16 v7, v7, v29 clamp
	v_lshlrev_b16_sdwa v5, v47, v5 dst_sel:DWORD dst_unused:UNUSED_PAD src0_sel:DWORD src1_sel:WORD_1
	v_lshlrev_b16_e32 v18, 8, v21
	v_and_b32_e32 v7, 0xffffff00, v7
	v_sub_i16 v5, v5, v18 clamp
	v_or_b32_sdwa v5, v5, v7 dst_sel:WORD_1 dst_unused:UNUSED_PAD src0_sel:BYTE_1 src1_sel:DWORD
	v_lshrrev_b32_e32 v27, 24, v51
	v_or_b32_sdwa v5, v6, v5 dst_sel:DWORD dst_unused:UNUSED_PAD src0_sel:WORD_0 src1_sel:DWORD
	v_mov_b32_e32 v6, v11
	v_dot4c_i32_i8_e32 v6, v0, v1
	v_dot4c_i32_i8_e32 v6, v5, v2
	v_bfe_u32 v5, v51, 27, 1
	v_lshlrev_b32_e32 v0, 5, v27
	v_lshrrev_b32_e32 v2, 25, v51
	v_cmp_ne_u16_e32 vcc, 0, v5
	v_lshlrev_b16_e32 v1, 7, v26
	v_bfe_i32 v2, v2, 0, 1
	v_lshrrev_b16_e32 v0, 7, v0
	v_cndmask_b32_e64 v5, 0, -1, vcc
	v_ashrrev_i16_e32 v1, 15, v1
	v_bfe_i32 v0, v0, 0, 1
	v_lshlrev_b16_e32 v2, 8, v2
	v_lshlrev_b16_e32 v5, 8, v5
	v_or_b32_sdwa v7, v1, v2 dst_sel:DWORD dst_unused:UNUSED_PAD src0_sel:BYTE_0 src1_sel:DWORD
	v_or_b32_sdwa v18, v0, v5 dst_sel:WORD_1 dst_unused:UNUSED_PAD src0_sel:BYTE_0 src1_sel:DWORD
	v_lshrrev_b32_e32 v21, 31, v51
	v_or_b32_sdwa v7, v7, v18 dst_sel:DWORD dst_unused:UNUSED_PAD src0_sel:WORD_0 src1_sel:DWORD
	v_xor_b32_e32 v7, v16, v7
	v_and_b32_e32 v16, 0xffffff00, v7
	v_sub_i16 v2, v16, v2 clamp
	v_lshlrev_b16_e32 v16, 8, v7
	v_lshlrev_b16_e32 v1, 8, v1
	v_lshlrev_b32_e32 v18, 1, v27
	v_lshrrev_b32_e32 v20, 29, v51
	v_cmp_ne_u16_e32 vcc, 0, v21
	v_and_b32_e32 v2, 0xffffff00, v2
	v_sub_i16 v1, v16, v1 clamp
	v_bfe_i32 v20, v20, 0, 1
	v_lshrrev_b16_e32 v18, 7, v18
	v_cndmask_b32_e64 v21, 0, -1, vcc
	v_or_b32_sdwa v1, v1, v2 dst_sel:DWORD dst_unused:UNUSED_PAD src0_sel:BYTE_1 src1_sel:DWORD
	v_and_b32_sdwa v2, v7, s31 dst_sel:DWORD dst_unused:UNUSED_PAD src0_sel:WORD_1 src1_sel:DWORD
	v_bfe_i32 v19, v27, 4, 1
	v_bfe_i32 v18, v18, 0, 1
	v_lshlrev_b16_e32 v20, 8, v20
	v_lshlrev_b16_e32 v21, 8, v21
	v_sub_i16 v2, v2, v5 clamp
	v_lshlrev_b16_sdwa v5, v47, v7 dst_sel:DWORD dst_unused:UNUSED_PAD src0_sel:DWORD src1_sel:WORD_1
	v_lshlrev_b16_e32 v0, 8, v0
	v_or_b32_sdwa v22, v19, v20 dst_sel:DWORD dst_unused:UNUSED_PAD src0_sel:BYTE_0 src1_sel:DWORD
	v_or_b32_sdwa v23, v18, v21 dst_sel:WORD_1 dst_unused:UNUSED_PAD src0_sel:BYTE_0 src1_sel:DWORD
	v_and_b32_e32 v2, 0xffffff00, v2
	v_sub_i16 v0, v5, v0 clamp
	v_or_b32_sdwa v22, v22, v23 dst_sel:DWORD dst_unused:UNUSED_PAD src0_sel:WORD_0 src1_sel:DWORD
	v_or_b32_sdwa v0, v0, v2 dst_sel:WORD_1 dst_unused:UNUSED_PAD src0_sel:BYTE_1 src1_sel:DWORD
	v_lshlrev_b16_e32 v7, 8, v19
	v_or_b32_sdwa v0, v1, v0 dst_sel:DWORD dst_unused:UNUSED_PAD src0_sel:WORD_0 src1_sel:DWORD
	v_xor_b32_e32 v1, v17, v22
	v_and_b32_e32 v2, 0xffffff00, v1
	v_sub_i16 v2, v2, v20 clamp
	v_lshlrev_b16_e32 v5, 8, v1
	v_and_b32_e32 v2, 0xffffff00, v2
	v_sub_i16 v5, v5, v7 clamp
	v_or_b32_sdwa v2, v5, v2 dst_sel:DWORD dst_unused:UNUSED_PAD src0_sel:BYTE_1 src1_sel:DWORD
	v_and_b32_sdwa v5, v1, s31 dst_sel:DWORD dst_unused:UNUSED_PAD src0_sel:WORD_1 src1_sel:DWORD
	v_sub_i16 v5, v5, v21 clamp
	v_lshlrev_b16_sdwa v1, v47, v1 dst_sel:DWORD dst_unused:UNUSED_PAD src0_sel:DWORD src1_sel:WORD_1
	v_lshlrev_b16_e32 v7, 8, v18
	v_and_b32_e32 v5, 0xffffff00, v5
	v_sub_i16 v1, v1, v7 clamp
	v_or_b32_sdwa v1, v1, v5 dst_sel:WORD_1 dst_unused:UNUSED_PAD src0_sel:BYTE_1 src1_sel:DWORD
	v_dot4c_i32_i8_e32 v6, v0, v3
	v_or_b32_sdwa v1, v2, v1 dst_sel:DWORD dst_unused:UNUSED_PAD src0_sel:WORD_0 src1_sel:DWORD
	v_dot4c_i32_i8_e32 v6, v1, v48
	v_bfe_u32 v0, v49, 4, 4
	v_and_b32_e32 v1, 15, v49
	v_mul_lo_u32 v1, v28, v1
	v_add_u32_e32 v2, v6, v28
	v_lshrrev_b32_e32 v3, 31, v2
	v_add_u32_e32 v2, v2, v3
	v_mul_lo_u32 v0, v6, v0
	v_ashrrev_i32_e32 v2, 1, v2
	v_add3_u32 v0, v0, v1, v2
	v_ashrrev_i32_e32 v1, 31, v0
	v_lshrrev_b32_e32 v1, 30, v1
	v_add_u32_e32 v0, v0, v1
	v_ashrrev_i32_e32 v24, 2, v24
	v_ashrrev_i32_e32 v0, 2, v0
	v_cvt_f32_f16_e32 v1, v50
	v_cvt_f32_i32_e32 v24, v24
	v_cvt_f32_i32_e32 v0, v0
	v_add_u32_e32 v40, 16, v40
	v_mul_f32_e32 v2, v25, v4
	v_mul_f32_e32 v1, v1, v4
	v_cmp_le_u32_e32 vcc, s15, v40
	v_fmac_f32_e32 v41, v2, v24
	v_fmac_f32_e32 v44, v1, v0
	s_or_b64 s[12:13], vcc, s[12:13]
	v_lshl_add_u64 v[12:13], v[12:13], 0, s[18:19]
	s_andn2_b64 exec, exec, s[12:13]
	s_cbranch_execz .LBB181_22
.LBB181_18:                             ; =>This Inner Loop Header: Depth=1
	v_add_u32_e32 v24, s21, v40
	v_mad_i64_i32 v[16:17], s[24:25], v24, s28, v[14:15]
	v_lshl_add_u64 v[18:19], v[16:17], 0, v[10:11]
	global_load_dword v22, v[18:19], off offset:2
	v_lshl_add_u64 v[20:21], v[16:17], 0, v[8:9]
	global_load_ubyte v23, v[20:21], off offset:66
	global_load_dwordx4 v[4:7], v[12:13], off offset:-16
	global_load_dwordx4 v[0:3], v[12:13], off
	global_load_dword v48, v[12:13], off offset:16
	global_load_ubyte v49, v[20:21], off offset:74
	global_load_dword v51, v[18:19], off offset:34
	global_load_ushort v50, v[16:17], off
	s_getpc_b64 s[24:25]
	s_add_u32 s24, s24, _ZL9iq2s_grid@rel32@lo+4
	s_addc_u32 s25, s25, _ZL9iq2s_grid@rel32@hi+12
	s_and_b64 vcc, exec, s[10:11]
	s_waitcnt vmcnt(6)
	v_lshlrev_b32_e32 v19, 8, v23
	v_and_b32_e32 v18, 0xff, v22
	v_lshrrev_b16_e32 v16, 8, v22
	v_lshrrev_b32_e32 v17, 24, v22
	v_lshlrev_b32_e32 v20, 6, v23
	v_bfe_u32 v21, v22, 16, 8
	v_lshlrev_b32_e32 v22, 4, v23
	v_lshlrev_b32_e32 v23, 2, v23
	v_and_or_b32 v18, v19, s29, v18
	v_and_or_b32 v16, v20, s29, v16
	;; [unrolled: 1-line block ×4, first 2 shown]
	v_lshlrev_b32_e32 v25, 3, v18
	v_lshlrev_b32_e32 v26, 3, v16
	;; [unrolled: 1-line block ×4, first 2 shown]
	global_load_dwordx2 v[22:23], v25, s[24:25]
	global_load_dwordx2 v[20:21], v26, s[24:25]
	;; [unrolled: 1-line block ×4, first 2 shown]
	s_waitcnt vmcnt(9)
	v_cvt_f32_f16_e32 v4, v4
	s_cbranch_vccnz .LBB181_20
; %bb.19:                               ;   in Loop: Header=BB181_18 Depth=1
	v_mov_b64_e32 v[26:27], s[36:37]
	v_mad_i64_i32 v[24:25], s[34:35], v24, s28, v[26:27]
	v_lshl_add_u64 v[26:27], v[24:25], 0, v[10:11]
	global_load_dword v30, v[26:27], off offset:2
	v_lshl_add_u64 v[28:29], v[24:25], 0, v[8:9]
	global_load_ubyte v33, v[28:29], off offset:66
	global_load_dword v52, v[26:27], off offset:34
	s_waitcnt vmcnt(2)
	v_and_b32_e32 v26, 0xff, v30
	s_waitcnt vmcnt(1)
	v_lshlrev_b32_e32 v27, 8, v33
	v_and_or_b32 v26, v27, s29, v26
	s_waitcnt vmcnt(0)
	v_lshlrev_b32_sdwa v27, v45, v52 dst_sel:DWORD dst_unused:UNUSED_PAD src0_sel:DWORD src1_sel:BYTE_0
	v_lshrrev_b16_e32 v27, 7, v27
	v_bfe_i32 v56, v27, 0, 1
	v_bfe_u32 v27, v52, 3, 1
	v_bfe_u32 v55, v52, 1, 7
	v_cmp_ne_u16_e32 vcc, 0, v27
	global_load_ubyte v28, v[28:29], off offset:74
	v_bfe_i32 v55, v55, 0, 1
	global_load_ushort v24, v[24:25], off
	v_and_b32_e32 v29, 1, v52
	v_cndmask_b32_e64 v27, 0, -1, vcc
	v_sub_u16_e32 v29, 0, v29
	v_lshlrev_b16_e32 v55, 8, v55
	v_lshlrev_b16_e32 v58, 8, v27
	v_or_b32_sdwa v57, v29, v55 dst_sel:DWORD dst_unused:UNUSED_PAD src0_sel:BYTE_0 src1_sel:DWORD
	v_or_b32_sdwa v27, v56, v58 dst_sel:WORD_1 dst_unused:UNUSED_PAD src0_sel:BYTE_0 src1_sel:DWORD
	v_bfe_u32 v60, v52, 5, 3
	v_or_b32_sdwa v57, v57, v27 dst_sel:DWORD dst_unused:UNUSED_PAD src0_sel:WORD_0 src1_sel:DWORD
	v_lshlrev_b32_sdwa v27, v46, v52 dst_sel:DWORD dst_unused:UNUSED_PAD src0_sel:DWORD src1_sel:BYTE_0
	v_lshrrev_b16_e32 v27, 7, v27
	v_bfe_i32 v61, v27, 0, 1
	v_bfe_u32 v27, v52, 7, 1
	v_cmp_ne_u16_e32 vcc, 0, v27
	v_bfe_i32 v60, v60, 0, 1
	v_bfe_i32 v59, v52, 4, 1
	v_cndmask_b32_e64 v27, 0, -1, vcc
	v_lshlrev_b16_e32 v60, 8, v60
	v_lshlrev_b16_e32 v63, 8, v27
	v_lshlrev_b32_e32 v26, 3, v26
	v_or_b32_sdwa v62, v59, v60 dst_sel:DWORD dst_unused:UNUSED_PAD src0_sel:BYTE_0 src1_sel:DWORD
	v_or_b32_sdwa v27, v61, v63 dst_sel:WORD_1 dst_unused:UNUSED_PAD src0_sel:BYTE_0 src1_sel:DWORD
	v_lshlrev_b16_e32 v29, 8, v29
	v_or_b32_sdwa v62, v62, v27 dst_sel:DWORD dst_unused:UNUSED_PAD src0_sel:WORD_0 src1_sel:DWORD
	global_load_dwordx2 v[26:27], v26, s[24:25]
	v_lshlrev_b16_e32 v56, 8, v56
	v_lshrrev_b16_e32 v31, 8, v30
	v_lshrrev_b32_e32 v53, 16, v52
	v_lshrrev_b32_e32 v32, 24, v30
	;; [unrolled: 1-line block ×3, first 2 shown]
	s_waitcnt vmcnt(1)
	v_cvt_f32_f16_e32 v24, v24
	v_mul_f32_e32 v24, v4, v24
	s_waitcnt vmcnt(0)
	v_xor_b32_e32 v26, v26, v57
	v_and_b32_e32 v57, 0xffffff00, v26
	v_sub_i16 v55, v57, v55 clamp
	v_lshlrev_b16_e32 v57, 8, v26
	v_and_b32_e32 v55, 0xffffff00, v55
	v_sub_i16 v29, v57, v29 clamp
	v_or_b32_sdwa v29, v29, v55 dst_sel:DWORD dst_unused:UNUSED_PAD src0_sel:BYTE_1 src1_sel:DWORD
	v_and_b32_sdwa v55, v26, s31 dst_sel:DWORD dst_unused:UNUSED_PAD src0_sel:WORD_1 src1_sel:DWORD
	v_sub_i16 v55, v55, v58 clamp
	v_lshlrev_b16_sdwa v26, v47, v26 dst_sel:DWORD dst_unused:UNUSED_PAD src0_sel:DWORD src1_sel:WORD_1
	v_and_b32_e32 v55, 0xffffff00, v55
	v_sub_i16 v26, v26, v56 clamp
	v_or_b32_sdwa v26, v26, v55 dst_sel:WORD_1 dst_unused:UNUSED_PAD src0_sel:BYTE_1 src1_sel:DWORD
	v_xor_b32_e32 v27, v27, v62
	v_or_b32_sdwa v26, v29, v26 dst_sel:DWORD dst_unused:UNUSED_PAD src0_sel:WORD_0 src1_sel:DWORD
	v_and_b32_e32 v29, 0xffffff00, v27
	v_sub_i16 v29, v29, v60 clamp
	v_lshlrev_b16_e32 v55, 8, v27
	v_lshlrev_b16_e32 v56, 8, v59
	v_and_b32_e32 v29, 0xffffff00, v29
	v_sub_i16 v55, v55, v56 clamp
	v_or_b32_sdwa v29, v55, v29 dst_sel:DWORD dst_unused:UNUSED_PAD src0_sel:BYTE_1 src1_sel:DWORD
	v_and_b32_sdwa v55, v27, s31 dst_sel:DWORD dst_unused:UNUSED_PAD src0_sel:WORD_1 src1_sel:DWORD
	v_sub_i16 v55, v55, v63 clamp
	v_lshlrev_b16_sdwa v27, v47, v27 dst_sel:DWORD dst_unused:UNUSED_PAD src0_sel:DWORD src1_sel:WORD_1
	v_lshlrev_b16_e32 v56, 8, v61
	v_and_b32_e32 v55, 0xffffff00, v55
	v_sub_i16 v27, v27, v56 clamp
	v_or_b32_sdwa v27, v27, v55 dst_sel:WORD_1 dst_unused:UNUSED_PAD src0_sel:BYTE_1 src1_sel:DWORD
	v_lshlrev_b16_e32 v55, 7, v52
	v_or_b32_sdwa v27, v29, v27 dst_sel:DWORD dst_unused:UNUSED_PAD src0_sel:WORD_0 src1_sel:DWORD
	v_mov_b32_e32 v29, v11
	v_dot4c_i32_i8_e32 v29, v26, v5
	v_dot4c_i32_i8_e32 v29, v27, v6
	v_lshrrev_b16_e32 v27, 8, v52
	v_lshlrev_b32_e32 v26, 6, v33
	v_bfe_u32 v57, v27, 3, 1
	v_and_or_b32 v26, v26, s29, v31
	v_lshlrev_b32_e32 v31, 5, v27
	v_lshrrev_b32_e32 v56, 1, v27
	v_cmp_ne_u16_e32 vcc, 0, v57
	v_bfe_i32 v56, v56, 0, 1
	v_lshrrev_b16_e32 v31, 7, v31
	v_cndmask_b32_e64 v57, 0, -1, vcc
	v_ashrrev_i16_e32 v55, 15, v55
	v_bfe_i32 v31, v31, 0, 1
	v_lshlrev_b16_e32 v56, 8, v56
	v_lshlrev_b16_e32 v57, 8, v57
	v_or_b32_sdwa v58, v55, v56 dst_sel:DWORD dst_unused:UNUSED_PAD src0_sel:BYTE_0 src1_sel:DWORD
	v_or_b32_sdwa v59, v31, v57 dst_sel:WORD_1 dst_unused:UNUSED_PAD src0_sel:BYTE_0 src1_sel:DWORD
	v_bfe_i32 v60, v27, 4, 1
	v_or_b32_sdwa v58, v58, v59 dst_sel:DWORD dst_unused:UNUSED_PAD src0_sel:WORD_0 src1_sel:DWORD
	v_lshlrev_b32_e32 v59, 1, v27
	v_lshrrev_b32_e32 v61, 5, v27
	v_lshrrev_b32_e32 v27, 7, v27
	v_cmp_ne_u16_e32 vcc, 0, v27
	v_bfe_i32 v61, v61, 0, 1
	v_lshrrev_b16_e32 v59, 7, v59
	v_cndmask_b32_e64 v27, 0, -1, vcc
	v_bfe_i32 v59, v59, 0, 1
	v_lshlrev_b16_e32 v61, 8, v61
	v_lshlrev_b16_e32 v63, 8, v27
	v_lshlrev_b32_e32 v26, 3, v26
	v_or_b32_sdwa v62, v60, v61 dst_sel:DWORD dst_unused:UNUSED_PAD src0_sel:BYTE_0 src1_sel:DWORD
	v_or_b32_sdwa v27, v59, v63 dst_sel:WORD_1 dst_unused:UNUSED_PAD src0_sel:BYTE_0 src1_sel:DWORD
	v_lshlrev_b16_e32 v55, 8, v55
	v_or_b32_sdwa v62, v62, v27 dst_sel:DWORD dst_unused:UNUSED_PAD src0_sel:WORD_0 src1_sel:DWORD
	global_load_dwordx2 v[26:27], v26, s[24:25]
	v_lshlrev_b16_e32 v31, 8, v31
	s_waitcnt vmcnt(0)
	v_xor_b32_e32 v26, v26, v58
	v_and_b32_e32 v58, 0xffffff00, v26
	v_sub_i16 v56, v58, v56 clamp
	v_lshlrev_b16_e32 v58, 8, v26
	v_and_b32_e32 v56, 0xffffff00, v56
	v_sub_i16 v55, v58, v55 clamp
	v_or_b32_sdwa v55, v55, v56 dst_sel:DWORD dst_unused:UNUSED_PAD src0_sel:BYTE_1 src1_sel:DWORD
	v_and_b32_sdwa v56, v26, s31 dst_sel:DWORD dst_unused:UNUSED_PAD src0_sel:WORD_1 src1_sel:DWORD
	v_sub_i16 v56, v56, v57 clamp
	v_lshlrev_b16_sdwa v26, v47, v26 dst_sel:DWORD dst_unused:UNUSED_PAD src0_sel:DWORD src1_sel:WORD_1
	v_and_b32_e32 v56, 0xffffff00, v56
	v_sub_i16 v26, v26, v31 clamp
	v_xor_b32_e32 v27, v27, v62
	v_or_b32_sdwa v26, v26, v56 dst_sel:WORD_1 dst_unused:UNUSED_PAD src0_sel:BYTE_1 src1_sel:DWORD
	v_and_b32_e32 v31, 0xffffff00, v27
	v_or_b32_sdwa v26, v55, v26 dst_sel:DWORD dst_unused:UNUSED_PAD src0_sel:WORD_0 src1_sel:DWORD
	v_sub_i16 v31, v31, v61 clamp
	v_lshlrev_b16_e32 v55, 8, v27
	v_lshlrev_b16_e32 v56, 8, v60
	v_and_b32_e32 v31, 0xffffff00, v31
	v_sub_i16 v55, v55, v56 clamp
	v_or_b32_sdwa v31, v55, v31 dst_sel:DWORD dst_unused:UNUSED_PAD src0_sel:BYTE_1 src1_sel:DWORD
	v_and_b32_sdwa v55, v27, s31 dst_sel:DWORD dst_unused:UNUSED_PAD src0_sel:WORD_1 src1_sel:DWORD
	v_sub_i16 v55, v55, v63 clamp
	v_lshlrev_b16_sdwa v27, v47, v27 dst_sel:DWORD dst_unused:UNUSED_PAD src0_sel:DWORD src1_sel:WORD_1
	v_lshlrev_b16_e32 v56, 8, v59
	v_and_b32_e32 v55, 0xffffff00, v55
	v_sub_i16 v27, v27, v56 clamp
	v_or_b32_sdwa v27, v27, v55 dst_sel:WORD_1 dst_unused:UNUSED_PAD src0_sel:BYTE_1 src1_sel:DWORD
	v_dot4c_i32_i8_e32 v29, v26, v7
	v_or_b32_sdwa v27, v31, v27 dst_sel:DWORD dst_unused:UNUSED_PAD src0_sel:WORD_0 src1_sel:DWORD
	v_dot4c_i32_i8_e32 v29, v27, v0
	v_bfe_u32 v26, v30, 16, 8
	v_lshlrev_b32_e32 v27, 4, v33
	v_and_or_b32 v26, v27, s29, v26
	v_lshlrev_b32_sdwa v27, v45, v52 dst_sel:DWORD dst_unused:UNUSED_PAD src0_sel:DWORD src1_sel:BYTE_2
	v_lshrrev_b16_e32 v27, 7, v27
	v_bfe_i32 v55, v27, 0, 1
	v_bfe_u32 v27, v52, 19, 1
	v_bfe_u32 v31, v53, 1, 7
	v_cmp_ne_u16_e32 vcc, 0, v27
	v_and_b32_e32 v30, 1, v53
	v_bfe_i32 v31, v31, 0, 1
	v_cndmask_b32_e64 v27, 0, -1, vcc
	v_sub_u16_e32 v30, 0, v30
	v_lshlrev_b16_e32 v31, 8, v31
	v_lshlrev_b16_e32 v57, 8, v27
	v_or_b32_sdwa v56, v30, v31 dst_sel:DWORD dst_unused:UNUSED_PAD src0_sel:BYTE_0 src1_sel:DWORD
	v_or_b32_sdwa v27, v55, v57 dst_sel:WORD_1 dst_unused:UNUSED_PAD src0_sel:BYTE_0 src1_sel:DWORD
	v_bfe_u32 v59, v53, 5, 3
	v_or_b32_sdwa v56, v56, v27 dst_sel:DWORD dst_unused:UNUSED_PAD src0_sel:WORD_0 src1_sel:DWORD
	v_lshlrev_b32_sdwa v27, v46, v52 dst_sel:DWORD dst_unused:UNUSED_PAD src0_sel:DWORD src1_sel:BYTE_2
	v_lshrrev_b16_e32 v27, 7, v27
	v_bfe_i32 v60, v27, 0, 1
	v_bfe_u32 v27, v53, 7, 1
	v_cmp_ne_u16_e32 vcc, 0, v27
	v_bfe_i32 v59, v59, 0, 1
	v_bfe_i32 v58, v52, 20, 1
	v_cndmask_b32_e64 v27, 0, -1, vcc
	v_lshlrev_b16_e32 v59, 8, v59
	v_lshlrev_b16_e32 v62, 8, v27
	v_lshlrev_b32_e32 v26, 3, v26
	v_or_b32_sdwa v61, v58, v59 dst_sel:DWORD dst_unused:UNUSED_PAD src0_sel:BYTE_0 src1_sel:DWORD
	v_or_b32_sdwa v27, v60, v62 dst_sel:WORD_1 dst_unused:UNUSED_PAD src0_sel:BYTE_0 src1_sel:DWORD
	v_lshlrev_b16_e32 v30, 8, v30
	v_or_b32_sdwa v61, v61, v27 dst_sel:DWORD dst_unused:UNUSED_PAD src0_sel:WORD_0 src1_sel:DWORD
	global_load_dwordx2 v[26:27], v26, s[24:25]
	v_lshlrev_b16_e32 v55, 8, v55
	s_waitcnt vmcnt(0)
	v_xor_b32_e32 v26, v26, v56
	v_and_b32_e32 v56, 0xffffff00, v26
	v_sub_i16 v31, v56, v31 clamp
	v_lshlrev_b16_e32 v56, 8, v26
	v_and_b32_e32 v31, 0xffffff00, v31
	v_sub_i16 v30, v56, v30 clamp
	v_or_b32_sdwa v30, v30, v31 dst_sel:DWORD dst_unused:UNUSED_PAD src0_sel:BYTE_1 src1_sel:DWORD
	v_and_b32_sdwa v31, v26, s31 dst_sel:DWORD dst_unused:UNUSED_PAD src0_sel:WORD_1 src1_sel:DWORD
	v_sub_i16 v31, v31, v57 clamp
	v_lshlrev_b16_sdwa v26, v47, v26 dst_sel:DWORD dst_unused:UNUSED_PAD src0_sel:DWORD src1_sel:WORD_1
	v_and_b32_e32 v31, 0xffffff00, v31
	v_sub_i16 v26, v26, v55 clamp
	v_or_b32_sdwa v26, v26, v31 dst_sel:WORD_1 dst_unused:UNUSED_PAD src0_sel:BYTE_1 src1_sel:DWORD
	v_xor_b32_e32 v27, v27, v61
	v_or_b32_sdwa v26, v30, v26 dst_sel:DWORD dst_unused:UNUSED_PAD src0_sel:WORD_0 src1_sel:DWORD
	v_and_b32_e32 v30, 0xffffff00, v27
	v_sub_i16 v30, v30, v59 clamp
	v_lshlrev_b16_e32 v31, 8, v27
	v_lshlrev_b16_e32 v55, 8, v58
	v_and_b32_e32 v30, 0xffffff00, v30
	v_sub_i16 v31, v31, v55 clamp
	v_or_b32_sdwa v30, v31, v30 dst_sel:DWORD dst_unused:UNUSED_PAD src0_sel:BYTE_1 src1_sel:DWORD
	v_and_b32_sdwa v31, v27, s31 dst_sel:DWORD dst_unused:UNUSED_PAD src0_sel:WORD_1 src1_sel:DWORD
	v_sub_i16 v31, v31, v62 clamp
	v_lshlrev_b16_sdwa v27, v47, v27 dst_sel:DWORD dst_unused:UNUSED_PAD src0_sel:DWORD src1_sel:WORD_1
	v_lshlrev_b16_e32 v55, 8, v60
	v_and_b32_e32 v31, 0xffffff00, v31
	v_sub_i16 v27, v27, v55 clamp
	v_or_b32_sdwa v27, v27, v31 dst_sel:WORD_1 dst_unused:UNUSED_PAD src0_sel:BYTE_1 src1_sel:DWORD
	v_lshlrev_b16_e32 v31, 7, v53
	v_or_b32_sdwa v27, v30, v27 dst_sel:DWORD dst_unused:UNUSED_PAD src0_sel:WORD_0 src1_sel:DWORD
	v_mov_b32_e32 v30, v11
	v_dot4c_i32_i8_e32 v30, v26, v1
	v_dot4c_i32_i8_e32 v30, v27, v2
	v_lshlrev_b32_e32 v27, 5, v54
	v_lshrrev_b16_e32 v27, 7, v27
	v_lshlrev_b32_e32 v26, 2, v33
	v_bfe_i32 v33, v27, 0, 1
	v_bfe_u32 v27, v52, 27, 1
	v_and_or_b32 v26, v26, s29, v32
	v_lshrrev_b32_e32 v32, 25, v52
	v_cmp_ne_u16_e32 vcc, 0, v27
	v_bfe_i32 v32, v32, 0, 1
	v_ashrrev_i16_e32 v31, 15, v31
	v_cndmask_b32_e64 v27, 0, -1, vcc
	v_lshlrev_b16_e32 v32, 8, v32
	v_lshlrev_b16_e32 v55, 8, v27
	v_or_b32_sdwa v53, v31, v32 dst_sel:DWORD dst_unused:UNUSED_PAD src0_sel:BYTE_0 src1_sel:DWORD
	v_or_b32_sdwa v27, v33, v55 dst_sel:WORD_1 dst_unused:UNUSED_PAD src0_sel:BYTE_0 src1_sel:DWORD
	v_lshrrev_b32_e32 v56, 29, v52
	v_or_b32_sdwa v53, v53, v27 dst_sel:DWORD dst_unused:UNUSED_PAD src0_sel:WORD_0 src1_sel:DWORD
	v_lshlrev_b32_e32 v27, 1, v54
	v_lshrrev_b16_e32 v27, 7, v27
	v_bfe_i32 v57, v27, 0, 1
	v_lshrrev_b32_e32 v27, 31, v52
	v_cmp_ne_u16_e32 vcc, 0, v27
	v_bfe_i32 v56, v56, 0, 1
	v_bfe_i32 v54, v54, 4, 1
	v_cndmask_b32_e64 v27, 0, -1, vcc
	v_lshlrev_b16_e32 v52, 8, v56
	v_lshlrev_b16_e32 v58, 8, v27
	v_lshlrev_b32_e32 v26, 3, v26
	v_or_b32_sdwa v56, v54, v52 dst_sel:DWORD dst_unused:UNUSED_PAD src0_sel:BYTE_0 src1_sel:DWORD
	v_or_b32_sdwa v27, v57, v58 dst_sel:WORD_1 dst_unused:UNUSED_PAD src0_sel:BYTE_0 src1_sel:DWORD
	v_lshlrev_b16_e32 v31, 8, v31
	v_or_b32_sdwa v56, v56, v27 dst_sel:DWORD dst_unused:UNUSED_PAD src0_sel:WORD_0 src1_sel:DWORD
	global_load_dwordx2 v[26:27], v26, s[24:25]
	v_lshlrev_b16_e32 v33, 8, v33
	s_waitcnt vmcnt(0)
	v_xor_b32_e32 v26, v26, v53
	v_and_b32_e32 v53, 0xffffff00, v26
	v_sub_i16 v32, v53, v32 clamp
	v_lshlrev_b16_e32 v53, 8, v26
	v_and_b32_e32 v32, 0xffffff00, v32
	v_sub_i16 v31, v53, v31 clamp
	v_or_b32_sdwa v31, v31, v32 dst_sel:DWORD dst_unused:UNUSED_PAD src0_sel:BYTE_1 src1_sel:DWORD
	v_and_b32_sdwa v32, v26, s31 dst_sel:DWORD dst_unused:UNUSED_PAD src0_sel:WORD_1 src1_sel:DWORD
	v_sub_i16 v32, v32, v55 clamp
	v_lshlrev_b16_sdwa v26, v47, v26 dst_sel:DWORD dst_unused:UNUSED_PAD src0_sel:DWORD src1_sel:WORD_1
	v_and_b32_e32 v32, 0xffffff00, v32
	v_sub_i16 v26, v26, v33 clamp
	v_or_b32_sdwa v26, v26, v32 dst_sel:WORD_1 dst_unused:UNUSED_PAD src0_sel:BYTE_1 src1_sel:DWORD
	v_xor_b32_e32 v27, v27, v56
	v_or_b32_sdwa v26, v31, v26 dst_sel:DWORD dst_unused:UNUSED_PAD src0_sel:WORD_0 src1_sel:DWORD
	v_and_b32_e32 v31, 0xffffff00, v27
	v_sub_i16 v31, v31, v52 clamp
	v_lshlrev_b16_e32 v32, 8, v27
	v_lshlrev_b16_e32 v33, 8, v54
	v_and_b32_e32 v31, 0xffffff00, v31
	v_sub_i16 v32, v32, v33 clamp
	v_or_b32_sdwa v31, v32, v31 dst_sel:DWORD dst_unused:UNUSED_PAD src0_sel:BYTE_1 src1_sel:DWORD
	v_and_b32_sdwa v32, v27, s31 dst_sel:DWORD dst_unused:UNUSED_PAD src0_sel:WORD_1 src1_sel:DWORD
	v_sub_i16 v32, v32, v58 clamp
	v_lshlrev_b16_sdwa v27, v47, v27 dst_sel:DWORD dst_unused:UNUSED_PAD src0_sel:DWORD src1_sel:WORD_1
	v_lshlrev_b16_e32 v33, 8, v57
	v_and_b32_e32 v32, 0xffffff00, v32
	v_sub_i16 v27, v27, v33 clamp
	v_or_b32_sdwa v27, v27, v32 dst_sel:WORD_1 dst_unused:UNUSED_PAD src0_sel:BYTE_1 src1_sel:DWORD
	v_dot4c_i32_i8_e32 v30, v26, v3
	v_or_b32_sdwa v27, v31, v27 dst_sel:DWORD dst_unused:UNUSED_PAD src0_sel:WORD_0 src1_sel:DWORD
	v_dot4c_i32_i8_e32 v30, v27, v48
	v_lshrrev_b32_e32 v26, 4, v28
	v_and_b32_e32 v27, 15, v28
	v_mul_lo_u32 v27, v29, v27
	v_add_u32_e32 v28, v30, v29
	v_lshrrev_b32_e32 v29, 31, v28
	v_add_u32_e32 v28, v28, v29
	v_mul_lo_u32 v26, v30, v26
	v_ashrrev_i32_e32 v28, 1, v28
	v_add3_u32 v26, v26, v27, v28
	v_ashrrev_i32_e32 v27, 31, v26
	v_lshrrev_b32_e32 v27, 30, v27
	v_add_u32_e32 v26, v26, v27
	v_ashrrev_i32_e32 v26, 2, v26
	v_cvt_f32_i32_e32 v25, v26
	v_fmac_f32_e32 v43, v24, v25
.LBB181_20:                             ;   in Loop: Header=BB181_18 Depth=1
	v_add_u32_e32 v32, s27, v40
	v_mov_b64_e32 v[24:25], s[16:17]
	v_mad_i64_i32 v[24:25], s[34:35], v32, s28, v[24:25]
	v_lshl_add_u64 v[26:27], v[24:25], 0, v[10:11]
	global_load_dword v30, v[26:27], off offset:2
	v_lshl_add_u64 v[28:29], v[24:25], 0, v[8:9]
	global_load_ubyte v31, v[28:29], off offset:66
	global_load_ubyte v52, v[28:29], off offset:74
	global_load_dword v54, v[26:27], off offset:34
	global_load_ushort v53, v[24:25], off
	s_and_b64 vcc, exec, s[10:11]
	s_waitcnt vmcnt(3)
	v_lshlrev_b32_e32 v27, 8, v31
	v_and_b32_e32 v26, 0xff, v30
	v_lshrrev_b16_e32 v24, 8, v30
	v_lshrrev_b32_e32 v25, 24, v30
	v_lshlrev_b32_e32 v28, 6, v31
	v_bfe_u32 v29, v30, 16, 8
	v_lshlrev_b32_e32 v30, 4, v31
	v_lshlrev_b32_e32 v31, 2, v31
	v_and_or_b32 v26, v27, s29, v26
	v_and_or_b32 v24, v28, s29, v24
	;; [unrolled: 1-line block ×4, first 2 shown]
	v_lshlrev_b32_e32 v33, 3, v26
	v_lshlrev_b32_e32 v55, 3, v24
	;; [unrolled: 1-line block ×4, first 2 shown]
	global_load_dwordx2 v[30:31], v33, s[24:25]
	global_load_dwordx2 v[28:29], v55, s[24:25]
	;; [unrolled: 1-line block ×4, first 2 shown]
	s_cbranch_vccnz .LBB181_17
; %bb.21:                               ;   in Loop: Header=BB181_18 Depth=1
	v_mov_b64_e32 v[56:57], s[36:37]
	v_mad_i64_i32 v[32:33], s[24:25], v32, s28, v[56:57]
	v_lshl_add_u64 v[56:57], v[32:33], 0, v[10:11]
	global_load_dword v55, v[56:57], off offset:2
	v_lshl_add_u64 v[58:59], v[32:33], 0, v[8:9]
	global_load_ubyte v62, v[58:59], off offset:66
	global_load_dword v63, v[56:57], off offset:34
	s_getpc_b64 s[24:25]
	s_add_u32 s24, s24, _ZL9iq2s_grid@rel32@lo+4
	s_addc_u32 s25, s25, _ZL9iq2s_grid@rel32@hi+12
	global_load_ubyte v58, v[58:59], off offset:74
	s_waitcnt vmcnt(3)
	v_and_b32_e32 v56, 0xff, v55
	global_load_ushort v32, v[32:33], off
	s_waitcnt vmcnt(3)
	v_lshlrev_b32_e32 v57, 8, v62
	v_and_or_b32 v56, v57, s29, v56
	s_waitcnt vmcnt(2)
	v_lshlrev_b32_sdwa v57, v45, v63 dst_sel:DWORD dst_unused:UNUSED_PAD src0_sel:DWORD src1_sel:BYTE_0
	v_lshrrev_b16_e32 v57, 7, v57
	v_bfe_i32 v67, v57, 0, 1
	v_bfe_u32 v57, v63, 3, 1
	v_bfe_u32 v66, v63, 1, 7
	v_cmp_ne_u16_e32 vcc, 0, v57
	v_and_b32_e32 v59, 1, v63
	v_bfe_i32 v66, v66, 0, 1
	v_cndmask_b32_e64 v57, 0, -1, vcc
	v_sub_u16_e32 v59, 0, v59
	v_lshlrev_b16_e32 v66, 8, v66
	v_lshlrev_b16_e32 v69, 8, v57
	v_or_b32_sdwa v68, v59, v66 dst_sel:DWORD dst_unused:UNUSED_PAD src0_sel:BYTE_0 src1_sel:DWORD
	v_or_b32_sdwa v57, v67, v69 dst_sel:WORD_1 dst_unused:UNUSED_PAD src0_sel:BYTE_0 src1_sel:DWORD
	v_bfe_u32 v71, v63, 5, 3
	v_or_b32_sdwa v68, v68, v57 dst_sel:DWORD dst_unused:UNUSED_PAD src0_sel:WORD_0 src1_sel:DWORD
	v_lshlrev_b32_sdwa v57, v46, v63 dst_sel:DWORD dst_unused:UNUSED_PAD src0_sel:DWORD src1_sel:BYTE_0
	v_lshrrev_b16_e32 v57, 7, v57
	v_bfe_i32 v72, v57, 0, 1
	v_bfe_u32 v57, v63, 7, 1
	v_cmp_ne_u16_e32 vcc, 0, v57
	v_bfe_i32 v71, v71, 0, 1
	v_bfe_i32 v70, v63, 4, 1
	v_cndmask_b32_e64 v57, 0, -1, vcc
	v_lshlrev_b16_e32 v71, 8, v71
	v_lshlrev_b16_e32 v74, 8, v57
	v_lshlrev_b32_e32 v56, 3, v56
	v_or_b32_sdwa v73, v70, v71 dst_sel:DWORD dst_unused:UNUSED_PAD src0_sel:BYTE_0 src1_sel:DWORD
	v_or_b32_sdwa v57, v72, v74 dst_sel:WORD_1 dst_unused:UNUSED_PAD src0_sel:BYTE_0 src1_sel:DWORD
	v_lshlrev_b16_e32 v59, 8, v59
	v_or_b32_sdwa v73, v73, v57 dst_sel:DWORD dst_unused:UNUSED_PAD src0_sel:WORD_0 src1_sel:DWORD
	global_load_dwordx2 v[56:57], v56, s[24:25]
	v_lshlrev_b16_e32 v67, 8, v67
	v_lshrrev_b16_e32 v60, 8, v55
	v_lshrrev_b32_e32 v61, 24, v55
	v_bfe_u32 v55, v55, 16, 8
	v_lshrrev_b32_e32 v64, 16, v63
	v_lshrrev_b32_e32 v65, 24, v63
	s_waitcnt vmcnt(1)
	v_cvt_f32_f16_e32 v32, v32
	v_mul_f32_e32 v32, v4, v32
	s_waitcnt vmcnt(0)
	v_xor_b32_e32 v56, v56, v68
	v_and_b32_e32 v68, 0xffffff00, v56
	v_sub_i16 v66, v68, v66 clamp
	v_lshlrev_b16_e32 v68, 8, v56
	v_and_b32_e32 v66, 0xffffff00, v66
	v_sub_i16 v59, v68, v59 clamp
	v_or_b32_sdwa v59, v59, v66 dst_sel:DWORD dst_unused:UNUSED_PAD src0_sel:BYTE_1 src1_sel:DWORD
	v_and_b32_sdwa v66, v56, s31 dst_sel:DWORD dst_unused:UNUSED_PAD src0_sel:WORD_1 src1_sel:DWORD
	v_sub_i16 v66, v66, v69 clamp
	v_lshlrev_b16_sdwa v56, v47, v56 dst_sel:DWORD dst_unused:UNUSED_PAD src0_sel:DWORD src1_sel:WORD_1
	v_and_b32_e32 v66, 0xffffff00, v66
	v_sub_i16 v56, v56, v67 clamp
	v_or_b32_sdwa v56, v56, v66 dst_sel:WORD_1 dst_unused:UNUSED_PAD src0_sel:BYTE_1 src1_sel:DWORD
	v_xor_b32_e32 v57, v57, v73
	v_or_b32_sdwa v56, v59, v56 dst_sel:DWORD dst_unused:UNUSED_PAD src0_sel:WORD_0 src1_sel:DWORD
	v_and_b32_e32 v59, 0xffffff00, v57
	v_sub_i16 v59, v59, v71 clamp
	v_lshlrev_b16_e32 v66, 8, v57
	v_lshlrev_b16_e32 v67, 8, v70
	v_and_b32_e32 v59, 0xffffff00, v59
	v_sub_i16 v66, v66, v67 clamp
	v_or_b32_sdwa v59, v66, v59 dst_sel:DWORD dst_unused:UNUSED_PAD src0_sel:BYTE_1 src1_sel:DWORD
	v_and_b32_sdwa v66, v57, s31 dst_sel:DWORD dst_unused:UNUSED_PAD src0_sel:WORD_1 src1_sel:DWORD
	v_sub_i16 v66, v66, v74 clamp
	v_lshlrev_b16_sdwa v57, v47, v57 dst_sel:DWORD dst_unused:UNUSED_PAD src0_sel:DWORD src1_sel:WORD_1
	v_lshlrev_b16_e32 v67, 8, v72
	v_and_b32_e32 v66, 0xffffff00, v66
	v_sub_i16 v57, v57, v67 clamp
	v_or_b32_sdwa v57, v57, v66 dst_sel:WORD_1 dst_unused:UNUSED_PAD src0_sel:BYTE_1 src1_sel:DWORD
	v_lshlrev_b16_e32 v66, 7, v63
	v_or_b32_sdwa v57, v59, v57 dst_sel:DWORD dst_unused:UNUSED_PAD src0_sel:WORD_0 src1_sel:DWORD
	v_mov_b32_e32 v59, v11
	v_dot4c_i32_i8_e32 v59, v56, v5
	v_dot4c_i32_i8_e32 v59, v57, v6
	v_lshrrev_b16_e32 v57, 8, v63
	v_lshlrev_b32_e32 v56, 6, v62
	v_bfe_u32 v68, v57, 3, 1
	v_and_or_b32 v56, v56, s29, v60
	v_lshlrev_b32_e32 v60, 5, v57
	v_lshrrev_b32_e32 v67, 1, v57
	v_cmp_ne_u16_e32 vcc, 0, v68
	v_bfe_i32 v67, v67, 0, 1
	v_lshrrev_b16_e32 v60, 7, v60
	v_cndmask_b32_e64 v68, 0, -1, vcc
	v_ashrrev_i16_e32 v66, 15, v66
	v_bfe_i32 v60, v60, 0, 1
	v_lshlrev_b16_e32 v67, 8, v67
	v_lshlrev_b16_e32 v68, 8, v68
	v_or_b32_sdwa v69, v66, v67 dst_sel:DWORD dst_unused:UNUSED_PAD src0_sel:BYTE_0 src1_sel:DWORD
	v_or_b32_sdwa v70, v60, v68 dst_sel:WORD_1 dst_unused:UNUSED_PAD src0_sel:BYTE_0 src1_sel:DWORD
	v_bfe_i32 v71, v57, 4, 1
	v_or_b32_sdwa v69, v69, v70 dst_sel:DWORD dst_unused:UNUSED_PAD src0_sel:WORD_0 src1_sel:DWORD
	v_lshlrev_b32_e32 v70, 1, v57
	v_lshrrev_b32_e32 v72, 5, v57
	v_lshrrev_b32_e32 v57, 7, v57
	v_cmp_ne_u16_e32 vcc, 0, v57
	v_bfe_i32 v72, v72, 0, 1
	v_lshrrev_b16_e32 v70, 7, v70
	v_cndmask_b32_e64 v57, 0, -1, vcc
	v_bfe_i32 v70, v70, 0, 1
	v_lshlrev_b16_e32 v72, 8, v72
	v_lshlrev_b16_e32 v74, 8, v57
	v_lshlrev_b32_e32 v56, 3, v56
	v_or_b32_sdwa v73, v71, v72 dst_sel:DWORD dst_unused:UNUSED_PAD src0_sel:BYTE_0 src1_sel:DWORD
	v_or_b32_sdwa v57, v70, v74 dst_sel:WORD_1 dst_unused:UNUSED_PAD src0_sel:BYTE_0 src1_sel:DWORD
	v_lshlrev_b16_e32 v66, 8, v66
	v_or_b32_sdwa v73, v73, v57 dst_sel:DWORD dst_unused:UNUSED_PAD src0_sel:WORD_0 src1_sel:DWORD
	global_load_dwordx2 v[56:57], v56, s[24:25]
	v_lshlrev_b16_e32 v60, 8, v60
	s_waitcnt vmcnt(0)
	v_xor_b32_e32 v56, v56, v69
	v_and_b32_e32 v69, 0xffffff00, v56
	v_sub_i16 v67, v69, v67 clamp
	v_lshlrev_b16_e32 v69, 8, v56
	v_and_b32_e32 v67, 0xffffff00, v67
	v_sub_i16 v66, v69, v66 clamp
	v_or_b32_sdwa v66, v66, v67 dst_sel:DWORD dst_unused:UNUSED_PAD src0_sel:BYTE_1 src1_sel:DWORD
	v_and_b32_sdwa v67, v56, s31 dst_sel:DWORD dst_unused:UNUSED_PAD src0_sel:WORD_1 src1_sel:DWORD
	v_sub_i16 v67, v67, v68 clamp
	v_lshlrev_b16_sdwa v56, v47, v56 dst_sel:DWORD dst_unused:UNUSED_PAD src0_sel:DWORD src1_sel:WORD_1
	v_and_b32_e32 v67, 0xffffff00, v67
	v_sub_i16 v56, v56, v60 clamp
	v_xor_b32_e32 v57, v57, v73
	v_or_b32_sdwa v56, v56, v67 dst_sel:WORD_1 dst_unused:UNUSED_PAD src0_sel:BYTE_1 src1_sel:DWORD
	v_and_b32_e32 v60, 0xffffff00, v57
	v_or_b32_sdwa v56, v66, v56 dst_sel:DWORD dst_unused:UNUSED_PAD src0_sel:WORD_0 src1_sel:DWORD
	v_sub_i16 v60, v60, v72 clamp
	v_lshlrev_b16_e32 v66, 8, v57
	v_lshlrev_b16_e32 v67, 8, v71
	v_and_b32_e32 v60, 0xffffff00, v60
	v_sub_i16 v66, v66, v67 clamp
	v_or_b32_sdwa v60, v66, v60 dst_sel:DWORD dst_unused:UNUSED_PAD src0_sel:BYTE_1 src1_sel:DWORD
	v_and_b32_sdwa v66, v57, s31 dst_sel:DWORD dst_unused:UNUSED_PAD src0_sel:WORD_1 src1_sel:DWORD
	v_sub_i16 v66, v66, v74 clamp
	v_lshlrev_b16_sdwa v57, v47, v57 dst_sel:DWORD dst_unused:UNUSED_PAD src0_sel:DWORD src1_sel:WORD_1
	v_lshlrev_b16_e32 v67, 8, v70
	v_and_b32_e32 v66, 0xffffff00, v66
	v_sub_i16 v57, v57, v67 clamp
	v_dot4c_i32_i8_e32 v59, v56, v7
	v_lshlrev_b32_e32 v56, 4, v62
	v_or_b32_sdwa v57, v57, v66 dst_sel:WORD_1 dst_unused:UNUSED_PAD src0_sel:BYTE_1 src1_sel:DWORD
	v_and_or_b32 v55, v56, s29, v55
	v_lshlrev_b32_sdwa v56, v45, v63 dst_sel:DWORD dst_unused:UNUSED_PAD src0_sel:DWORD src1_sel:BYTE_2
	v_or_b32_sdwa v57, v60, v57 dst_sel:DWORD dst_unused:UNUSED_PAD src0_sel:WORD_0 src1_sel:DWORD
	v_lshrrev_b16_e32 v56, 7, v56
	v_dot4c_i32_i8_e32 v59, v57, v0
	v_and_b32_e32 v57, 1, v64
	v_bfe_i32 v66, v56, 0, 1
	v_bfe_u32 v56, v63, 19, 1
	v_sub_u16_e32 v60, 0, v57
	v_bfe_u32 v57, v64, 1, 7
	v_cmp_ne_u16_e32 vcc, 0, v56
	v_bfe_i32 v57, v57, 0, 1
	v_lshlrev_b16_e32 v67, 8, v57
	v_cndmask_b32_e64 v56, 0, -1, vcc
	v_lshlrev_b16_e32 v68, 8, v56
	v_or_b32_sdwa v57, v60, v67 dst_sel:DWORD dst_unused:UNUSED_PAD src0_sel:BYTE_0 src1_sel:DWORD
	v_or_b32_sdwa v56, v66, v68 dst_sel:WORD_1 dst_unused:UNUSED_PAD src0_sel:BYTE_0 src1_sel:DWORD
	v_bfe_i32 v70, v63, 20, 1
	v_or_b32_sdwa v69, v57, v56 dst_sel:DWORD dst_unused:UNUSED_PAD src0_sel:WORD_0 src1_sel:DWORD
	v_lshlrev_b32_sdwa v56, v46, v63 dst_sel:DWORD dst_unused:UNUSED_PAD src0_sel:DWORD src1_sel:BYTE_2
	v_lshrrev_b16_e32 v56, 7, v56
	v_bfe_i32 v71, v56, 0, 1
	v_bfe_u32 v56, v64, 7, 1
	v_bfe_u32 v57, v64, 5, 3
	v_cmp_ne_u16_e32 vcc, 0, v56
	v_bfe_i32 v57, v57, 0, 1
	v_lshlrev_b16_e32 v72, 8, v57
	v_cndmask_b32_e64 v56, 0, -1, vcc
	v_lshlrev_b16_e32 v73, 8, v56
	v_lshlrev_b32_e32 v55, 3, v55
	v_or_b32_sdwa v57, v70, v72 dst_sel:DWORD dst_unused:UNUSED_PAD src0_sel:BYTE_0 src1_sel:DWORD
	v_or_b32_sdwa v56, v71, v73 dst_sel:WORD_1 dst_unused:UNUSED_PAD src0_sel:BYTE_0 src1_sel:DWORD
	v_lshlrev_b16_e32 v60, 8, v60
	v_or_b32_sdwa v74, v57, v56 dst_sel:DWORD dst_unused:UNUSED_PAD src0_sel:WORD_0 src1_sel:DWORD
	global_load_dwordx2 v[56:57], v55, s[24:25]
	v_lshlrev_b16_e32 v66, 8, v66
	s_waitcnt vmcnt(0)
	v_xor_b32_e32 v55, v56, v69
	v_and_b32_e32 v56, 0xffffff00, v55
	v_sub_i16 v56, v56, v67 clamp
	v_lshlrev_b16_e32 v67, 8, v55
	v_and_b32_e32 v56, 0xffffff00, v56
	v_sub_i16 v60, v67, v60 clamp
	v_or_b32_sdwa v56, v60, v56 dst_sel:DWORD dst_unused:UNUSED_PAD src0_sel:BYTE_1 src1_sel:DWORD
	v_and_b32_sdwa v60, v55, s31 dst_sel:DWORD dst_unused:UNUSED_PAD src0_sel:WORD_1 src1_sel:DWORD
	v_sub_i16 v60, v60, v68 clamp
	v_lshlrev_b16_sdwa v55, v47, v55 dst_sel:DWORD dst_unused:UNUSED_PAD src0_sel:DWORD src1_sel:WORD_1
	v_and_b32_e32 v60, 0xffffff00, v60
	v_sub_i16 v55, v55, v66 clamp
	v_or_b32_sdwa v55, v55, v60 dst_sel:WORD_1 dst_unused:UNUSED_PAD src0_sel:BYTE_1 src1_sel:DWORD
	v_lshlrev_b16_e32 v66, 8, v70
	v_or_b32_sdwa v55, v56, v55 dst_sel:DWORD dst_unused:UNUSED_PAD src0_sel:WORD_0 src1_sel:DWORD
	v_xor_b32_e32 v56, v57, v74
	v_and_b32_e32 v57, 0xffffff00, v56
	v_sub_i16 v57, v57, v72 clamp
	v_lshlrev_b16_e32 v60, 8, v56
	v_and_b32_e32 v57, 0xffffff00, v57
	v_sub_i16 v60, v60, v66 clamp
	v_or_b32_sdwa v57, v60, v57 dst_sel:DWORD dst_unused:UNUSED_PAD src0_sel:BYTE_1 src1_sel:DWORD
	v_and_b32_sdwa v60, v56, s31 dst_sel:DWORD dst_unused:UNUSED_PAD src0_sel:WORD_1 src1_sel:DWORD
	v_sub_i16 v60, v60, v73 clamp
	v_lshlrev_b16_sdwa v56, v47, v56 dst_sel:DWORD dst_unused:UNUSED_PAD src0_sel:DWORD src1_sel:WORD_1
	v_lshlrev_b16_e32 v66, 8, v71
	v_and_b32_e32 v60, 0xffffff00, v60
	v_sub_i16 v56, v56, v66 clamp
	v_or_b32_sdwa v56, v56, v60 dst_sel:WORD_1 dst_unused:UNUSED_PAD src0_sel:BYTE_1 src1_sel:DWORD
	v_mov_b32_e32 v60, v11
	v_or_b32_sdwa v56, v57, v56 dst_sel:DWORD dst_unused:UNUSED_PAD src0_sel:WORD_0 src1_sel:DWORD
	v_dot4c_i32_i8_e32 v60, v55, v1
	v_dot4c_i32_i8_e32 v60, v56, v2
	v_lshlrev_b32_e32 v56, 5, v65
	v_lshrrev_b16_e32 v56, 7, v56
	v_lshlrev_b32_e32 v55, 2, v62
	v_lshlrev_b16_e32 v57, 7, v64
	v_bfe_i32 v62, v56, 0, 1
	v_bfe_u32 v56, v63, 27, 1
	v_and_or_b32 v55, v55, s29, v61
	v_ashrrev_i16_e32 v61, 15, v57
	v_lshrrev_b32_e32 v57, 25, v63
	v_cmp_ne_u16_e32 vcc, 0, v56
	v_bfe_i32 v57, v57, 0, 1
	v_lshlrev_b16_e32 v64, 8, v57
	v_cndmask_b32_e64 v56, 0, -1, vcc
	v_lshlrev_b16_e32 v66, 8, v56
	v_or_b32_sdwa v57, v61, v64 dst_sel:DWORD dst_unused:UNUSED_PAD src0_sel:BYTE_0 src1_sel:DWORD
	v_or_b32_sdwa v56, v62, v66 dst_sel:WORD_1 dst_unused:UNUSED_PAD src0_sel:BYTE_0 src1_sel:DWORD
	v_lshlrev_b32_e32 v55, 3, v55
	v_or_b32_sdwa v67, v57, v56 dst_sel:DWORD dst_unused:UNUSED_PAD src0_sel:WORD_0 src1_sel:DWORD
	v_lshlrev_b32_e32 v56, 1, v65
	v_lshrrev_b16_e32 v56, 7, v56
	v_bfe_i32 v68, v56, 0, 1
	v_lshrrev_b32_e32 v56, 31, v63
	v_lshrrev_b32_e32 v57, 29, v63
	v_cmp_ne_u16_e32 vcc, 0, v56
	v_bfe_i32 v57, v57, 0, 1
	v_bfe_i32 v65, v65, 4, 1
	v_cndmask_b32_e64 v56, 0, -1, vcc
	v_lshlrev_b16_e32 v63, 8, v57
	v_lshlrev_b16_e32 v69, 8, v56
	v_or_b32_sdwa v57, v65, v63 dst_sel:DWORD dst_unused:UNUSED_PAD src0_sel:BYTE_0 src1_sel:DWORD
	v_or_b32_sdwa v56, v68, v69 dst_sel:WORD_1 dst_unused:UNUSED_PAD src0_sel:BYTE_0 src1_sel:DWORD
	v_lshlrev_b16_e32 v61, 8, v61
	v_or_b32_sdwa v70, v57, v56 dst_sel:DWORD dst_unused:UNUSED_PAD src0_sel:WORD_0 src1_sel:DWORD
	global_load_dwordx2 v[56:57], v55, s[24:25]
	v_lshlrev_b16_e32 v62, 8, v62
	s_waitcnt vmcnt(0)
	v_xor_b32_e32 v55, v56, v67
	v_and_b32_e32 v56, 0xffffff00, v55
	v_sub_i16 v56, v56, v64 clamp
	v_lshlrev_b16_e32 v64, 8, v55
	v_and_b32_e32 v56, 0xffffff00, v56
	v_sub_i16 v61, v64, v61 clamp
	v_or_b32_sdwa v56, v61, v56 dst_sel:DWORD dst_unused:UNUSED_PAD src0_sel:BYTE_1 src1_sel:DWORD
	v_and_b32_sdwa v61, v55, s31 dst_sel:DWORD dst_unused:UNUSED_PAD src0_sel:WORD_1 src1_sel:DWORD
	v_sub_i16 v61, v61, v66 clamp
	v_lshlrev_b16_sdwa v55, v47, v55 dst_sel:DWORD dst_unused:UNUSED_PAD src0_sel:DWORD src1_sel:WORD_1
	v_and_b32_e32 v61, 0xffffff00, v61
	v_sub_i16 v55, v55, v62 clamp
	v_or_b32_sdwa v55, v55, v61 dst_sel:WORD_1 dst_unused:UNUSED_PAD src0_sel:BYTE_1 src1_sel:DWORD
	v_lshlrev_b16_e32 v62, 8, v65
	v_or_b32_sdwa v55, v56, v55 dst_sel:DWORD dst_unused:UNUSED_PAD src0_sel:WORD_0 src1_sel:DWORD
	v_xor_b32_e32 v56, v57, v70
	v_and_b32_e32 v57, 0xffffff00, v56
	v_sub_i16 v57, v57, v63 clamp
	v_lshlrev_b16_e32 v61, 8, v56
	v_and_b32_e32 v57, 0xffffff00, v57
	v_sub_i16 v61, v61, v62 clamp
	v_or_b32_sdwa v57, v61, v57 dst_sel:DWORD dst_unused:UNUSED_PAD src0_sel:BYTE_1 src1_sel:DWORD
	v_and_b32_sdwa v61, v56, s31 dst_sel:DWORD dst_unused:UNUSED_PAD src0_sel:WORD_1 src1_sel:DWORD
	v_sub_i16 v61, v61, v69 clamp
	v_lshlrev_b16_sdwa v56, v47, v56 dst_sel:DWORD dst_unused:UNUSED_PAD src0_sel:DWORD src1_sel:WORD_1
	v_lshlrev_b16_e32 v62, 8, v68
	v_and_b32_e32 v61, 0xffffff00, v61
	v_sub_i16 v56, v56, v62 clamp
	v_or_b32_sdwa v56, v56, v61 dst_sel:WORD_1 dst_unused:UNUSED_PAD src0_sel:BYTE_1 src1_sel:DWORD
	v_dot4c_i32_i8_e32 v60, v55, v3
	v_or_b32_sdwa v56, v57, v56 dst_sel:DWORD dst_unused:UNUSED_PAD src0_sel:WORD_0 src1_sel:DWORD
	v_dot4c_i32_i8_e32 v60, v56, v48
	v_lshrrev_b32_e32 v55, 4, v58
	v_and_b32_e32 v56, 15, v58
	v_mul_lo_u32 v56, v59, v56
	v_add_u32_e32 v57, v60, v59
	v_lshrrev_b32_e32 v58, 31, v57
	v_add_u32_e32 v57, v57, v58
	v_mul_lo_u32 v55, v60, v55
	v_ashrrev_i32_e32 v57, 1, v57
	v_add3_u32 v55, v55, v56, v57
	v_ashrrev_i32_e32 v56, 31, v55
	v_lshrrev_b32_e32 v56, 30, v56
	v_add_u32_e32 v55, v55, v56
	v_ashrrev_i32_e32 v55, 2, v55
	v_cvt_f32_i32_e32 v33, v55
	v_fmac_f32_e32 v42, v32, v33
	s_branch .LBB181_17
.LBB181_22:
	s_or_b64 exec, exec, s[12:13]
	ds_write2_b32 v38, v44, v41 offset1:1
	ds_write2_b32 v37, v43, v42 offset1:1
.LBB181_23:
	s_or_b64 exec, exec, s[0:1]
	s_load_dword s15, s[2:3], 0x30
	v_cmp_eq_u32_e64 s[0:1], 0, v39
	v_cmp_ne_u32_e32 vcc, 0, v39
	v_lshlrev_b32_e32 v0, 2, v34
	s_and_saveexec_b64 s[12:13], vcc
	s_cbranch_execz .LBB181_28
; %bb.24:
	v_add_u32_e32 v1, -1, v39
	v_lshl_or_b32 v1, v1, 9, v0
	s_mov_b64 s[16:17], -1
	s_and_b64 vcc, exec, s[22:23]
	ds_write_b32 v1, v44
	s_cbranch_vccz .LBB181_26
; %bb.25:
	ds_write_b32 v1, v41 offset:256
	s_mov_b64 s[16:17], 0
.LBB181_26:
	s_andn2_b64 vcc, exec, s[16:17]
	s_cbranch_vccnz .LBB181_28
; %bb.27:
	ds_write_b32 v1, v41 offset:256
	ds_write2st64_b32 v1, v43, v42 offset0:2 offset1:3
.LBB181_28:
	s_or_b64 exec, exec, s[12:13]
	s_waitcnt lgkmcnt(0)
	s_barrier
	s_and_saveexec_b64 s[12:13], s[0:1]
	s_cbranch_execz .LBB181_61
; %bb.29:
	ds_read_b32 v2, v0
	ds_read_b32 v3, v38
	s_and_b64 vcc, exec, s[10:11]
	s_cbranch_vccnz .LBB181_31
; %bb.30:
	ds_read_b32 v1, v0 offset:512
	ds_read_b32 v4, v37
	s_waitcnt lgkmcnt(0)
	v_add_f32_e32 v1, v1, v4
	ds_write_b32 v37, v1
.LBB181_31:
	v_mbcnt_lo_u32_b32 v1, -1, 0
	v_mbcnt_hi_u32_b32 v6, -1, v1
	v_and_b32_e32 v1, 64, v6
	v_add_u32_e32 v7, 64, v1
	v_xor_b32_e32 v1, 32, v6
	v_cmp_lt_i32_e32 vcc, v1, v7
	s_waitcnt lgkmcnt(0)
	v_add_f32_e32 v3, v2, v3
	v_xor_b32_e32 v2, 16, v6
	v_cndmask_b32_e32 v1, v6, v1, vcc
	v_lshlrev_b32_e32 v1, 2, v1
	ds_bpermute_b32 v4, v1, v3
	v_cmp_lt_i32_e32 vcc, v2, v7
	v_xor_b32_e32 v10, 1, v6
	s_waitcnt lgkmcnt(0)
	v_add_f32_e32 v4, v3, v4
	v_cndmask_b32_e32 v2, v6, v2, vcc
	v_lshlrev_b32_e32 v2, 2, v2
	ds_bpermute_b32 v5, v2, v4
	v_xor_b32_e32 v3, 8, v6
	v_cmp_lt_i32_e32 vcc, v3, v7
	s_waitcnt lgkmcnt(0)
	v_add_f32_e32 v5, v4, v5
	v_cndmask_b32_e32 v3, v6, v3, vcc
	v_lshlrev_b32_e32 v3, 2, v3
	ds_bpermute_b32 v8, v3, v5
	v_xor_b32_e32 v4, 4, v6
	v_cmp_lt_i32_e32 vcc, v4, v7
	;; [unrolled: 7-line block ×3, first 2 shown]
	s_waitcnt lgkmcnt(0)
	v_add_f32_e32 v8, v8, v9
	v_cndmask_b32_e32 v5, v6, v5, vcc
	v_lshlrev_b32_e32 v5, 2, v5
	ds_bpermute_b32 v9, v5, v8
	v_cmp_lt_i32_e32 vcc, v10, v7
	s_waitcnt lgkmcnt(0)
	v_add_f32_e32 v7, v8, v9
	v_cndmask_b32_e32 v6, v6, v10, vcc
	v_lshlrev_b32_e32 v6, 2, v6
	ds_bpermute_b32 v8, v6, v7
	s_and_b64 vcc, exec, s[10:11]
	s_waitcnt lgkmcnt(0)
	v_add_f32_e32 v7, v7, v8
	ds_write_b32 v38, v7
	s_cbranch_vccnz .LBB181_33
; %bb.32:
	ds_read_b32 v7, v37
	s_waitcnt lgkmcnt(0)
	ds_bpermute_b32 v8, v1, v7
	s_waitcnt lgkmcnt(0)
	v_add_f32_e32 v7, v7, v8
	ds_bpermute_b32 v8, v2, v7
	s_waitcnt lgkmcnt(0)
	v_add_f32_e32 v7, v7, v8
	;; [unrolled: 3-line block ×6, first 2 shown]
	ds_write_b32 v37, v7
.LBB181_33:
	ds_read_b32 v7, v0 offset:256
	ds_read_b32 v8, v38 offset:4
	s_and_b64 vcc, exec, s[10:11]
	s_cbranch_vccnz .LBB181_35
; %bb.34:
	ds_read_b32 v9, v0 offset:768
	ds_read_b32 v10, v37 offset:4
	s_waitcnt lgkmcnt(0)
	v_add_f32_e32 v9, v9, v10
	ds_write_b32 v37, v9 offset:4
.LBB181_35:
	s_waitcnt lgkmcnt(0)
	v_add_f32_e32 v7, v7, v8
	ds_bpermute_b32 v8, v1, v7
	s_and_b64 vcc, exec, s[10:11]
	s_waitcnt lgkmcnt(0)
	v_add_f32_e32 v7, v7, v8
	ds_bpermute_b32 v8, v2, v7
	s_waitcnt lgkmcnt(0)
	v_add_f32_e32 v7, v7, v8
	ds_bpermute_b32 v8, v3, v7
	s_waitcnt lgkmcnt(0)
	v_add_f32_e32 v7, v7, v8
	ds_bpermute_b32 v8, v4, v7
	s_waitcnt lgkmcnt(0)
	v_add_f32_e32 v7, v7, v8
	ds_bpermute_b32 v8, v5, v7
	s_waitcnt lgkmcnt(0)
	v_add_f32_e32 v7, v7, v8
	ds_bpermute_b32 v8, v6, v7
	s_waitcnt lgkmcnt(0)
	v_add_f32_e32 v7, v7, v8
	ds_write_b32 v38, v7 offset:4
	s_cbranch_vccnz .LBB181_37
; %bb.36:
	ds_read_b32 v7, v37 offset:4
	s_waitcnt lgkmcnt(0)
	ds_bpermute_b32 v1, v1, v7
	s_waitcnt lgkmcnt(0)
	v_add_f32_e32 v1, v7, v1
	ds_bpermute_b32 v2, v2, v1
	s_waitcnt lgkmcnt(0)
	v_add_f32_e32 v1, v1, v2
	;; [unrolled: 3-line block ×6, first 2 shown]
	ds_write_b32 v37, v1 offset:4
.LBB181_37:
	v_add_u32_e32 v1, s20, v34
	v_cmp_gt_u32_e32 vcc, 2, v34
	v_cmp_gt_u32_e64 s[0:1], s7, v1
	s_and_b64 s[0:1], vcc, s[0:1]
	s_and_b64 exec, exec, s[0:1]
	s_cbranch_execz .LBB181_61
; %bb.38:
	v_lshl_add_u32 v1, v34, 2, v38
	ds_read_b32 v1, v1
	s_and_b64 vcc, exec, s[10:11]
	s_waitcnt vmcnt(0) lgkmcnt(0)
	v_add_f32_e32 v2, v36, v1
	v_cndmask_b32_e64 v1, v2, v1, s[8:9]
	s_cbranch_vccnz .LBB181_60
; %bb.39:
	v_lshl_add_u32 v2, v34, 2, v37
	ds_read_b32 v2, v2
	s_cmp_lt_i32 s15, 2
	s_mov_b64 s[0:1], 0
	s_waitcnt lgkmcnt(0)
	v_add_f32_e32 v3, v35, v2
	v_cndmask_b32_e64 v2, v2, v3, s[4:5]
	s_cbranch_scc1 .LBB181_43
; %bb.40:
	s_cmp_gt_i32 s15, 2
	s_cbranch_scc0 .LBB181_44
; %bb.41:
	s_cmp_eq_u32 s15, 3
	s_cbranch_scc0 .LBB181_45
; %bb.42:
	v_max_f32_e32 v3, v2, v2
	v_min_f32_e32 v3, 0x40e00000, v3
	v_mul_f32_e32 v5, 0xbfd9db23, v3
	s_mov_b32 s4, 0x3fb8aa3b
	v_mul_f32_e32 v4, 0x3fb8aa3b, v5
	v_fma_f32 v6, v5, s4, -v4
	v_rndne_f32_e32 v7, v4
	v_fmamk_f32 v6, v5, 0x32a5705f, v6
	v_sub_f32_e32 v4, v4, v7
	v_add_f32_e32 v4, v4, v6
	v_exp_f32_e32 v6, v4
	v_cvt_i32_f32_e32 v7, v7
	s_mov_b32 s4, 0xc2ce8ed0
	v_max_f32_e32 v4, v1, v1
	v_cmp_ngt_f32_e32 vcc, s4, v5
	v_ldexp_f32 v6, v6, v7
	s_mov_b32 s4, 0x42b17218
	v_min_f32_e32 v4, 0x40e00000, v4
	v_cndmask_b32_e32 v6, 0, v6, vcc
	v_mov_b32_e32 v7, 0x7f800000
	v_cmp_nlt_f32_e32 vcc, s4, v5
	v_max_f32_e32 v4, 0xc0e00000, v4
	s_nop 0
	v_cndmask_b32_e32 v5, v7, v6, vcc
	v_pk_add_f32 v[4:5], v[4:5], 1.0 op_sel_hi:[1,0]
	s_nop 0
	v_div_scale_f32 v6, s[4:5], v5, v5, v3
	v_rcp_f32_e32 v7, v6
	s_mov_b64 s[4:5], 0
	v_fma_f32 v8, -v6, v7, 1.0
	v_fmac_f32_e32 v7, v8, v7
	v_div_scale_f32 v8, vcc, v3, v5, v3
	v_mul_f32_e32 v9, v8, v7
	v_fma_f32 v10, -v6, v9, v8
	v_fmac_f32_e32 v9, v10, v7
	v_fma_f32 v6, -v6, v9, v8
	v_div_fmas_f32 v6, v6, v7, v9
	v_div_fixup_f32 v3, v6, v5, v3
	v_mul_f32_e32 v3, v4, v3
	s_branch .LBB181_46
.LBB181_43:
                                        ; implicit-def: $vgpr3
	s_mov_b64 s[4:5], 0
	s_cbranch_execnz .LBB181_50
	s_branch .LBB181_51
.LBB181_44:
	s_mov_b64 s[8:9], -1
	s_mov_b64 s[4:5], 0
                                        ; implicit-def: $vgpr3
	s_branch .LBB181_47
.LBB181_45:
	s_mov_b64 s[4:5], -1
                                        ; implicit-def: $vgpr3
.LBB181_46:
	s_mov_b64 s[8:9], 0
.LBB181_47:
	s_and_b64 vcc, exec, s[8:9]
	s_cbranch_vccz .LBB181_49
; %bb.48:
	v_mul_f32_e32 v3, 0xbfb8aa3b, v2
	s_mov_b32 s7, 0xbfb8aa3b
	v_rndne_f32_e32 v4, v3
	v_sub_f32_e32 v5, v3, v4
	v_fma_f32 v3, v2, s7, -v3
	v_fmamk_f32 v3, v2, 0xb2a5705f, v3
	v_add_f32_e32 v3, v5, v3
	v_exp_f32_e32 v3, v3
	v_cvt_i32_f32_e32 v4, v4
	s_mov_b32 s7, 0x42ce8ed0
	v_cmp_nlt_f32_e32 vcc, s7, v2
	s_mov_b32 s7, 0xc2b17218
	v_ldexp_f32 v3, v3, v4
	v_cndmask_b32_e32 v3, 0, v3, vcc
	v_mov_b32_e32 v4, 0x7f800000
	v_cmp_ngt_f32_e32 vcc, s7, v2
	s_nop 1
	v_cndmask_b32_e32 v3, v4, v3, vcc
	v_add_f32_e32 v3, 1.0, v3
	v_div_scale_f32 v4, s[8:9], v3, v3, v2
	v_rcp_f32_e32 v5, v4
	s_nop 0
	v_fma_f32 v6, -v4, v5, 1.0
	v_fmac_f32_e32 v5, v6, v5
	v_div_scale_f32 v6, vcc, v2, v3, v2
	v_mul_f32_e32 v7, v6, v5
	v_fma_f32 v8, -v4, v7, v6
	v_fmac_f32_e32 v7, v8, v5
	v_fma_f32 v4, -v4, v7, v6
	v_div_fmas_f32 v4, v4, v5, v7
	v_div_fixup_f32 v3, v4, v3, v2
	v_mul_f32_e32 v3, v1, v3
.LBB181_49:
	s_branch .LBB181_51
.LBB181_50:
	s_cmp_lg_u32 s15, 1
	s_mov_b64 s[0:1], -1
	s_cselect_b64 s[4:5], -1, 0
                                        ; implicit-def: $vgpr3
.LBB181_51:
	s_andn2_b64 vcc, exec, s[4:5]
	s_cbranch_vccz .LBB181_53
; %bb.52:
	s_andn2_b64 vcc, exec, s[0:1]
	s_cbranch_vccz .LBB181_54
	s_branch .LBB181_59
.LBB181_53:
	v_mul_f32_e32 v3, v1, v2
	s_cbranch_execnz .LBB181_59
.LBB181_54:
	v_mul_f32_e32 v4, 0x3d372713, v2
	v_mul_f32_e32 v3, 0x3f4c422a, v2
	v_fma_f32 v4, v2, v4, 1.0
	v_mul_f32_e32 v3, v3, v4
	s_mov_b32 s0, 0x3f200000
	v_cmp_nlt_f32_e64 s[0:1], |v3|, s0
                                        ; implicit-def: $vgpr4
	s_and_saveexec_b64 s[4:5], s[0:1]
	s_xor_b64 s[0:1], exec, s[4:5]
	s_cbranch_execz .LBB181_56
; %bb.55:
	v_add_f32_e64 v4, |v3|, |v3|
	v_mul_f32_e32 v5, 0x3fb8aa3b, v4
	s_mov_b32 s4, 0x3fb8aa3b
	v_rndne_f32_e32 v6, v5
	v_sub_f32_e32 v7, v5, v6
	v_fma_f32 v5, v4, s4, -v5
	v_fmamk_f32 v5, v4, 0x32a5705f, v5
	v_add_f32_e32 v5, v7, v5
	v_exp_f32_e32 v5, v5
	v_cvt_i32_f32_e32 v6, v6
	s_mov_b32 s4, 0xc2ce8ed0
	v_cmp_ngt_f32_e32 vcc, s4, v4
	s_mov_b32 s4, 0x42b17218
	v_ldexp_f32 v5, v5, v6
	v_cndmask_b32_e32 v5, 0, v5, vcc
	v_mov_b32_e32 v6, 0x7f800000
	v_cmp_nlt_f32_e32 vcc, s4, v4
	s_nop 1
	v_cndmask_b32_e32 v4, v6, v5, vcc
	v_add_f32_e32 v4, 1.0, v4
	v_rcp_f32_e32 v4, v4
	s_nop 0
	v_fma_f32 v4, v4, -2.0, 1.0
.LBB181_56:
	s_andn2_saveexec_b64 s[0:1], s[0:1]
; %bb.57:
	v_mul_f32_e32 v4, v3, v3
	v_mov_b32_e32 v5, 0x3ca908c9
	v_fmac_f32_e32 v5, 0xbbbac73d, v4
	v_fmaak_f32 v5, v4, v5, 0xbd5c1c4e
	v_fmaak_f32 v5, v4, v5, 0x3e088382
	;; [unrolled: 1-line block ×3, first 2 shown]
	v_mul_f32_e64 v5, |v3|, v5
	v_fma_f32 v4, v4, v5, |v3|
; %bb.58:
	s_or_b64 exec, exec, s[0:1]
	s_brev_b32 s0, -2
	v_bfi_b32 v3, s0, v4, v3
	v_mul_f32_e32 v2, 0.5, v2
	v_add_f32_e32 v3, 1.0, v3
	v_mul_f32_e32 v2, v2, v3
	v_mul_f32_e32 v3, v1, v2
.LBB181_59:
	v_mov_b32_e32 v1, v3
.LBB181_60:
	s_load_dwordx2 s[0:1], s[2:3], 0x38
	s_mul_i32 s4, s14, s26
	s_mul_i32 s6, s6, s30
	s_add_i32 s2, s4, s20
	s_add_i32 s2, s2, s6
	s_mov_b32 s3, 0
	s_lshl_b64 s[2:3], s[2:3], 2
	s_waitcnt lgkmcnt(0)
	s_add_u32 s0, s0, s2
	s_addc_u32 s1, s1, s3
	global_store_dword v0, v1, s[0:1]
.LBB181_61:
	s_endpgm
	.section	.rodata,"a",@progbits
	.p2align	6, 0x0
	.amdhsa_kernel _ZL13mul_mat_vec_qIL9ggml_type22ELi1ELb1ELb1EEvPKvS2_PKi31ggml_cuda_mm_fusion_args_devicePfj15HIP_vector_typeIjLj3EEjjjS8_jjjS8_jjjj
		.amdhsa_group_segment_fixed_size 3072
		.amdhsa_private_segment_fixed_size 0
		.amdhsa_kernarg_size 144
		.amdhsa_user_sgpr_count 4
		.amdhsa_user_sgpr_dispatch_ptr 1
		.amdhsa_user_sgpr_queue_ptr 0
		.amdhsa_user_sgpr_kernarg_segment_ptr 1
		.amdhsa_user_sgpr_dispatch_id 0
		.amdhsa_user_sgpr_kernarg_preload_length 0
		.amdhsa_user_sgpr_kernarg_preload_offset 0
		.amdhsa_user_sgpr_private_segment_size 0
		.amdhsa_uses_dynamic_stack 0
		.amdhsa_enable_private_segment 0
		.amdhsa_system_sgpr_workgroup_id_x 1
		.amdhsa_system_sgpr_workgroup_id_y 1
		.amdhsa_system_sgpr_workgroup_id_z 1
		.amdhsa_system_sgpr_workgroup_info 0
		.amdhsa_system_vgpr_workitem_id 2
		.amdhsa_next_free_vgpr 75
		.amdhsa_next_free_sgpr 46
		.amdhsa_accum_offset 76
		.amdhsa_reserve_vcc 1
		.amdhsa_float_round_mode_32 0
		.amdhsa_float_round_mode_16_64 0
		.amdhsa_float_denorm_mode_32 3
		.amdhsa_float_denorm_mode_16_64 3
		.amdhsa_dx10_clamp 1
		.amdhsa_ieee_mode 1
		.amdhsa_fp16_overflow 0
		.amdhsa_tg_split 0
		.amdhsa_exception_fp_ieee_invalid_op 0
		.amdhsa_exception_fp_denorm_src 0
		.amdhsa_exception_fp_ieee_div_zero 0
		.amdhsa_exception_fp_ieee_overflow 0
		.amdhsa_exception_fp_ieee_underflow 0
		.amdhsa_exception_fp_ieee_inexact 0
		.amdhsa_exception_int_div_zero 0
	.end_amdhsa_kernel
	.section	.text._ZL13mul_mat_vec_qIL9ggml_type22ELi1ELb1ELb1EEvPKvS2_PKi31ggml_cuda_mm_fusion_args_devicePfj15HIP_vector_typeIjLj3EEjjjS8_jjjS8_jjjj,"axG",@progbits,_ZL13mul_mat_vec_qIL9ggml_type22ELi1ELb1ELb1EEvPKvS2_PKi31ggml_cuda_mm_fusion_args_devicePfj15HIP_vector_typeIjLj3EEjjjS8_jjjS8_jjjj,comdat
.Lfunc_end181:
	.size	_ZL13mul_mat_vec_qIL9ggml_type22ELi1ELb1ELb1EEvPKvS2_PKi31ggml_cuda_mm_fusion_args_devicePfj15HIP_vector_typeIjLj3EEjjjS8_jjjS8_jjjj, .Lfunc_end181-_ZL13mul_mat_vec_qIL9ggml_type22ELi1ELb1ELb1EEvPKvS2_PKi31ggml_cuda_mm_fusion_args_devicePfj15HIP_vector_typeIjLj3EEjjjS8_jjjS8_jjjj
                                        ; -- End function
	.section	.AMDGPU.csdata,"",@progbits
; Kernel info:
; codeLenInByte = 10692
; NumSgprs: 52
; NumVgprs: 75
; NumAgprs: 0
; TotalNumVgprs: 75
; ScratchSize: 0
; MemoryBound: 0
; FloatMode: 240
; IeeeMode: 1
; LDSByteSize: 3072 bytes/workgroup (compile time only)
; SGPRBlocks: 6
; VGPRBlocks: 9
; NumSGPRsForWavesPerEU: 52
; NumVGPRsForWavesPerEU: 75
; AccumOffset: 76
; Occupancy: 6
; WaveLimiterHint : 0
; COMPUTE_PGM_RSRC2:SCRATCH_EN: 0
; COMPUTE_PGM_RSRC2:USER_SGPR: 4
; COMPUTE_PGM_RSRC2:TRAP_HANDLER: 0
; COMPUTE_PGM_RSRC2:TGID_X_EN: 1
; COMPUTE_PGM_RSRC2:TGID_Y_EN: 1
; COMPUTE_PGM_RSRC2:TGID_Z_EN: 1
; COMPUTE_PGM_RSRC2:TIDIG_COMP_CNT: 2
; COMPUTE_PGM_RSRC3_GFX90A:ACCUM_OFFSET: 18
; COMPUTE_PGM_RSRC3_GFX90A:TG_SPLIT: 0
	.section	.text._ZL13mul_mat_vec_qIL9ggml_type22ELi1ELb0ELb1EEvPKvS2_PKi31ggml_cuda_mm_fusion_args_devicePfj15HIP_vector_typeIjLj3EEjjjS8_jjjS8_jjjj,"axG",@progbits,_ZL13mul_mat_vec_qIL9ggml_type22ELi1ELb0ELb1EEvPKvS2_PKi31ggml_cuda_mm_fusion_args_devicePfj15HIP_vector_typeIjLj3EEjjjS8_jjjS8_jjjj,comdat
	.globl	_ZL13mul_mat_vec_qIL9ggml_type22ELi1ELb0ELb1EEvPKvS2_PKi31ggml_cuda_mm_fusion_args_devicePfj15HIP_vector_typeIjLj3EEjjjS8_jjjS8_jjjj ; -- Begin function _ZL13mul_mat_vec_qIL9ggml_type22ELi1ELb0ELb1EEvPKvS2_PKi31ggml_cuda_mm_fusion_args_devicePfj15HIP_vector_typeIjLj3EEjjjS8_jjjS8_jjjj
	.p2align	8
	.type	_ZL13mul_mat_vec_qIL9ggml_type22ELi1ELb0ELb1EEvPKvS2_PKi31ggml_cuda_mm_fusion_args_devicePfj15HIP_vector_typeIjLj3EEjjjS8_jjjS8_jjjj,@function
_ZL13mul_mat_vec_qIL9ggml_type22ELi1ELb0ELb1EEvPKvS2_PKi31ggml_cuda_mm_fusion_args_devicePfj15HIP_vector_typeIjLj3EEjjjS8_jjjS8_jjjj: ; @_ZL13mul_mat_vec_qIL9ggml_type22ELi1ELb0ELb1EEvPKvS2_PKi31ggml_cuda_mm_fusion_args_devicePfj15HIP_vector_typeIjLj3EEjjjS8_jjjS8_jjjj
; %bb.0:
	s_load_dwordx2 s[8:9], s[2:3], 0x10
	s_load_dwordx4 s[16:19], s[2:3], 0x40
	s_mov_b32 s20, s5
	s_mov_b64 s[14:15], 0
	s_waitcnt lgkmcnt(0)
	s_cmp_lg_u64 s[8:9], 0
	s_cselect_b64 s[12:13], -1, 0
	s_cmp_eq_u64 s[8:9], 0
	s_cbranch_scc1 .LBB182_5
; %bb.1:
	s_mov_b32 s21, 0
	s_lshl_b64 s[10:11], s[20:21], 2
	s_add_u32 s8, s8, s10
	s_addc_u32 s9, s9, s11
	s_load_dword s21, s[8:9], 0x0
	s_nop 0
	s_load_dwordx4 s[8:11], s[2:3], 0x68
	s_load_dword s5, s[2:3], 0x50
	s_andn2_b64 vcc, exec, s[14:15]
	s_cbranch_vccnz .LBB182_3
.LBB182_2:
	s_load_dwordx2 s[14:15], s[2:3], 0x5c
	s_waitcnt lgkmcnt(0)
	s_mul_hi_u32 s7, s14, s20
	s_add_i32 s7, s20, s7
	s_lshr_b32 s21, s7, s15
.LBB182_3:
	s_load_dword s22, s[2:3], 0x78
	s_andn2_b64 vcc, exec, s[12:13]
	s_cbranch_vccnz .LBB182_6
; %bb.4:
	s_mul_hi_u32 s7, s17, s20
	s_add_i32 s7, s20, s7
	s_lshr_b32 s7, s7, s18
	s_mul_i32 s7, s7, s19
	s_sub_i32 s17, s20, s7
	s_branch .LBB182_7
.LBB182_5:
                                        ; implicit-def: $sgpr21
	s_load_dwordx4 s[8:11], s[2:3], 0x68
	s_load_dword s5, s[2:3], 0x50
	s_branch .LBB182_2
.LBB182_6:
	s_mov_b32 s17, s20
.LBB182_7:
	s_load_dwordx2 s[18:19], s[0:1], 0x4
	s_load_dwordx4 s[12:15], s[2:3], 0x80
	v_bfe_u32 v26, v0, 10, 10
	v_and_b32_e32 v25, 0x3ff, v0
	v_bfe_u32 v0, v0, 20, 10
	s_waitcnt lgkmcnt(0)
	s_lshr_b32 s0, s18, 16
	v_mul_u32_u24_e32 v1, s19, v26
	s_mul_i32 s0, s0, s19
	v_mad_u32_u24 v1, s0, v25, v1
	v_add_lshl_u32 v1, v1, v0, 3
	v_lshl_add_u32 v0, v26, 6, v25
	s_lshr_b32 s15, s16, 8
	v_lshrrev_b32_e32 v27, 3, v0
	v_add_u32_e32 v24, 0x200, v1
	s_lshl_b32 s7, s4, 1
	v_mov_b32_e32 v11, 0
	v_cmp_gt_u32_e32 vcc, s15, v27
	v_mov_b32_e32 v10, 0
	ds_write2_b32 v1, v11, v11 offset0:128 offset1:129
	s_and_saveexec_b64 s[0:1], vcc
	s_cbranch_execz .LBB182_11
; %bb.8:
	s_mul_i32 s4, s17, s9
	s_mul_hi_u32 s9, s11, s6
	s_add_i32 s9, s6, s9
	s_lshr_b32 s9, s9, s22
	s_mul_i32 s8, s21, s8
	s_mul_i32 s9, s9, s12
	s_add_i32 s16, s9, s8
	s_add_i32 s8, s7, 1
	s_mul_i32 s11, s7, s5
	s_mul_i32 s5, s5, s8
	s_load_dwordx4 s[24:27], s[2:3], 0x0
	s_add_i32 s11, s16, s11
	s_add_i32 s16, s16, s5
	s_mul_hi_u32 s5, s4, 36
	s_mul_i32 s4, s4, 36
	v_lshrrev_b32_e32 v3, 3, v0
	v_mov_b32_e32 v0, s4
	v_mov_b32_e32 v1, s5
	s_movk_i32 s4, 0x120
	s_mul_i32 s13, s6, s13
	v_mad_u64_u32 v[0:1], s[4:5], v3, s4, v[0:1]
	v_and_b32_e32 v8, 7, v25
	v_mad_u64_u32 v[0:1], s[4:5], s13, 36, v[0:1]
	v_mad_u64_u32 v[0:1], s[4:5], v8, 36, v[0:1]
	v_lshlrev_b32_e32 v2, 1, v8
	v_mov_b32_e32 v9, 0
	s_waitcnt lgkmcnt(0)
	v_lshl_add_u64 v[0:1], v[0:1], 0, s[26:27]
	v_lshl_add_u64 v[12:13], v[0:1], 0, 16
	s_mov_b64 s[4:5], 0
	s_movk_i32 s17, 0x52
	v_mov_b64_e32 v[14:15], s[24:25]
	v_lshlrev_b32_e32 v16, 1, v2
	v_mov_b32_e32 v17, v9
	s_movk_i32 s18, 0x300
	s_movk_i32 s19, 0xff00
	s_mov_b64 s[8:9], 0x1200
	v_mov_b32_e32 v28, 5
	v_mov_b32_e32 v29, 1
	;; [unrolled: 1-line block ×5, first 2 shown]
.LBB182_9:                              ; =>This Inner Loop Header: Depth=1
	v_add_u32_e32 v18, s11, v27
	v_mad_i64_i32 v[20:21], s[12:13], v18, s17, v[14:15]
	v_lshl_add_u64 v[22:23], v[20:21], 0, v[16:17]
	global_load_dword v34, v[12:13], off offset:16
	global_load_dwordx4 v[0:3], v[12:13], off
	global_load_dwordx4 v[4:7], v[12:13], off offset:-16
	global_load_dword v32, v[22:23], off offset:2
	v_lshl_add_u64 v[18:19], v[20:21], 0, v[8:9]
	global_load_ubyte v36, v[18:19], off offset:66
	global_load_dword v37, v[22:23], off offset:34
	s_getpc_b64 s[12:13]
	s_add_u32 s12, s12, _ZL9iq2s_grid@rel32@lo+4
	s_addc_u32 s13, s13, _ZL9iq2s_grid@rel32@hi+12
	v_lshl_add_u64 v[12:13], v[12:13], 0, s[8:9]
	s_waitcnt vmcnt(3)
	v_cvt_f32_f16_e32 v4, v4
	s_waitcnt vmcnt(2)
	v_and_b32_e32 v22, 0xff, v32
	s_waitcnt vmcnt(1)
	v_lshlrev_b32_e32 v23, 8, v36
	v_and_or_b32 v22, v23, s18, v22
	s_waitcnt vmcnt(0)
	v_lshlrev_b32_sdwa v23, v28, v37 dst_sel:DWORD dst_unused:UNUSED_PAD src0_sel:DWORD src1_sel:BYTE_0
	v_lshrrev_b16_e32 v23, 7, v23
	v_bfe_i32 v41, v23, 0, 1
	v_bfe_u32 v23, v37, 3, 1
	v_bfe_u32 v40, v37, 1, 7
	v_cmp_ne_u16_e32 vcc, 0, v23
	v_and_b32_e32 v31, 1, v37
	v_bfe_i32 v40, v40, 0, 1
	v_cndmask_b32_e64 v23, 0, -1, vcc
	v_sub_u16_e32 v31, 0, v31
	v_lshlrev_b16_e32 v40, 8, v40
	v_lshlrev_b16_e32 v43, 8, v23
	v_or_b32_sdwa v42, v31, v40 dst_sel:DWORD dst_unused:UNUSED_PAD src0_sel:BYTE_0 src1_sel:DWORD
	v_or_b32_sdwa v23, v41, v43 dst_sel:WORD_1 dst_unused:UNUSED_PAD src0_sel:BYTE_0 src1_sel:DWORD
	v_bfe_u32 v45, v37, 5, 3
	v_or_b32_sdwa v42, v42, v23 dst_sel:DWORD dst_unused:UNUSED_PAD src0_sel:WORD_0 src1_sel:DWORD
	v_lshlrev_b32_sdwa v23, v29, v37 dst_sel:DWORD dst_unused:UNUSED_PAD src0_sel:DWORD src1_sel:BYTE_0
	v_lshrrev_b16_e32 v23, 7, v23
	v_bfe_i32 v46, v23, 0, 1
	v_bfe_u32 v23, v37, 7, 1
	v_cmp_ne_u16_e32 vcc, 0, v23
	v_bfe_i32 v45, v45, 0, 1
	v_bfe_i32 v44, v37, 4, 1
	v_cndmask_b32_e64 v23, 0, -1, vcc
	v_lshlrev_b16_e32 v45, 8, v45
	v_lshlrev_b16_e32 v48, 8, v23
	v_lshlrev_b32_e32 v22, 3, v22
	v_or_b32_sdwa v47, v44, v45 dst_sel:DWORD dst_unused:UNUSED_PAD src0_sel:BYTE_0 src1_sel:DWORD
	v_or_b32_sdwa v23, v46, v48 dst_sel:WORD_1 dst_unused:UNUSED_PAD src0_sel:BYTE_0 src1_sel:DWORD
	v_lshlrev_b16_e32 v31, 8, v31
	v_or_b32_sdwa v47, v47, v23 dst_sel:DWORD dst_unused:UNUSED_PAD src0_sel:WORD_0 src1_sel:DWORD
	global_load_dwordx2 v[22:23], v22, s[12:13]
	v_lshlrev_b16_e32 v41, 8, v41
	v_lshrrev_b16_e32 v33, 8, v32
	v_lshrrev_b32_e32 v38, 16, v37
	v_lshrrev_b32_e32 v35, 24, v32
	;; [unrolled: 1-line block ×3, first 2 shown]
	s_waitcnt vmcnt(0)
	v_xor_b32_e32 v22, v22, v42
	v_and_b32_e32 v42, 0xffffff00, v22
	v_sub_i16 v40, v42, v40 clamp
	v_lshlrev_b16_e32 v42, 8, v22
	v_and_b32_e32 v40, 0xffffff00, v40
	v_sub_i16 v31, v42, v31 clamp
	v_or_b32_sdwa v31, v31, v40 dst_sel:DWORD dst_unused:UNUSED_PAD src0_sel:BYTE_1 src1_sel:DWORD
	v_and_b32_sdwa v40, v22, s19 dst_sel:DWORD dst_unused:UNUSED_PAD src0_sel:WORD_1 src1_sel:DWORD
	v_sub_i16 v40, v40, v43 clamp
	v_lshlrev_b16_sdwa v22, v30, v22 dst_sel:DWORD dst_unused:UNUSED_PAD src0_sel:DWORD src1_sel:WORD_1
	v_and_b32_e32 v40, 0xffffff00, v40
	v_sub_i16 v22, v22, v41 clamp
	v_or_b32_sdwa v22, v22, v40 dst_sel:WORD_1 dst_unused:UNUSED_PAD src0_sel:BYTE_1 src1_sel:DWORD
	v_xor_b32_e32 v23, v23, v47
	v_or_b32_sdwa v22, v31, v22 dst_sel:DWORD dst_unused:UNUSED_PAD src0_sel:WORD_0 src1_sel:DWORD
	v_and_b32_e32 v31, 0xffffff00, v23
	v_sub_i16 v31, v31, v45 clamp
	v_lshlrev_b16_e32 v40, 8, v23
	v_lshlrev_b16_e32 v41, 8, v44
	v_and_b32_e32 v31, 0xffffff00, v31
	v_sub_i16 v40, v40, v41 clamp
	v_or_b32_sdwa v31, v40, v31 dst_sel:DWORD dst_unused:UNUSED_PAD src0_sel:BYTE_1 src1_sel:DWORD
	v_and_b32_sdwa v40, v23, s19 dst_sel:DWORD dst_unused:UNUSED_PAD src0_sel:WORD_1 src1_sel:DWORD
	v_sub_i16 v40, v40, v48 clamp
	v_lshlrev_b16_sdwa v23, v30, v23 dst_sel:DWORD dst_unused:UNUSED_PAD src0_sel:DWORD src1_sel:WORD_1
	v_lshlrev_b16_e32 v41, 8, v46
	v_and_b32_e32 v40, 0xffffff00, v40
	v_sub_i16 v23, v23, v41 clamp
	v_or_b32_sdwa v23, v23, v40 dst_sel:WORD_1 dst_unused:UNUSED_PAD src0_sel:BYTE_1 src1_sel:DWORD
	v_lshlrev_b16_e32 v40, 7, v37
	v_or_b32_sdwa v23, v31, v23 dst_sel:DWORD dst_unused:UNUSED_PAD src0_sel:WORD_0 src1_sel:DWORD
	v_mov_b32_e32 v31, 0
	v_dot4c_i32_i8_e32 v31, v22, v5
	v_dot4c_i32_i8_e32 v31, v23, v6
	v_lshrrev_b16_e32 v23, 8, v37
	v_lshlrev_b32_e32 v22, 6, v36
	v_bfe_u32 v42, v23, 3, 1
	v_and_or_b32 v22, v22, s18, v33
	v_lshlrev_b32_e32 v33, 5, v23
	v_lshrrev_b32_e32 v41, 1, v23
	v_cmp_ne_u16_e32 vcc, 0, v42
	v_bfe_i32 v41, v41, 0, 1
	v_lshrrev_b16_e32 v33, 7, v33
	v_cndmask_b32_e64 v42, 0, -1, vcc
	v_ashrrev_i16_e32 v40, 15, v40
	v_bfe_i32 v33, v33, 0, 1
	v_lshlrev_b16_e32 v41, 8, v41
	v_lshlrev_b16_e32 v42, 8, v42
	v_or_b32_sdwa v43, v40, v41 dst_sel:DWORD dst_unused:UNUSED_PAD src0_sel:BYTE_0 src1_sel:DWORD
	v_or_b32_sdwa v44, v33, v42 dst_sel:WORD_1 dst_unused:UNUSED_PAD src0_sel:BYTE_0 src1_sel:DWORD
	v_bfe_i32 v45, v23, 4, 1
	v_or_b32_sdwa v43, v43, v44 dst_sel:DWORD dst_unused:UNUSED_PAD src0_sel:WORD_0 src1_sel:DWORD
	v_lshlrev_b32_e32 v44, 1, v23
	v_lshrrev_b32_e32 v46, 5, v23
	v_lshrrev_b32_e32 v23, 7, v23
	v_cmp_ne_u16_e32 vcc, 0, v23
	v_bfe_i32 v46, v46, 0, 1
	v_lshrrev_b16_e32 v44, 7, v44
	v_cndmask_b32_e64 v23, 0, -1, vcc
	v_bfe_i32 v44, v44, 0, 1
	v_lshlrev_b16_e32 v46, 8, v46
	v_lshlrev_b16_e32 v48, 8, v23
	v_lshlrev_b32_e32 v22, 3, v22
	v_or_b32_sdwa v47, v45, v46 dst_sel:DWORD dst_unused:UNUSED_PAD src0_sel:BYTE_0 src1_sel:DWORD
	v_or_b32_sdwa v23, v44, v48 dst_sel:WORD_1 dst_unused:UNUSED_PAD src0_sel:BYTE_0 src1_sel:DWORD
	v_lshlrev_b16_e32 v40, 8, v40
	v_or_b32_sdwa v47, v47, v23 dst_sel:DWORD dst_unused:UNUSED_PAD src0_sel:WORD_0 src1_sel:DWORD
	global_load_dwordx2 v[22:23], v22, s[12:13]
	v_lshlrev_b16_e32 v33, 8, v33
	s_waitcnt vmcnt(0)
	v_xor_b32_e32 v22, v22, v43
	v_and_b32_e32 v43, 0xffffff00, v22
	v_sub_i16 v41, v43, v41 clamp
	v_lshlrev_b16_e32 v43, 8, v22
	v_and_b32_e32 v41, 0xffffff00, v41
	v_sub_i16 v40, v43, v40 clamp
	v_or_b32_sdwa v40, v40, v41 dst_sel:DWORD dst_unused:UNUSED_PAD src0_sel:BYTE_1 src1_sel:DWORD
	v_and_b32_sdwa v41, v22, s19 dst_sel:DWORD dst_unused:UNUSED_PAD src0_sel:WORD_1 src1_sel:DWORD
	v_sub_i16 v41, v41, v42 clamp
	v_lshlrev_b16_sdwa v22, v30, v22 dst_sel:DWORD dst_unused:UNUSED_PAD src0_sel:DWORD src1_sel:WORD_1
	v_and_b32_e32 v41, 0xffffff00, v41
	v_sub_i16 v22, v22, v33 clamp
	v_xor_b32_e32 v23, v23, v47
	v_or_b32_sdwa v22, v22, v41 dst_sel:WORD_1 dst_unused:UNUSED_PAD src0_sel:BYTE_1 src1_sel:DWORD
	v_and_b32_e32 v33, 0xffffff00, v23
	v_or_b32_sdwa v22, v40, v22 dst_sel:DWORD dst_unused:UNUSED_PAD src0_sel:WORD_0 src1_sel:DWORD
	v_sub_i16 v33, v33, v46 clamp
	v_lshlrev_b16_e32 v40, 8, v23
	v_lshlrev_b16_e32 v41, 8, v45
	v_and_b32_e32 v33, 0xffffff00, v33
	v_sub_i16 v40, v40, v41 clamp
	v_or_b32_sdwa v33, v40, v33 dst_sel:DWORD dst_unused:UNUSED_PAD src0_sel:BYTE_1 src1_sel:DWORD
	v_and_b32_sdwa v40, v23, s19 dst_sel:DWORD dst_unused:UNUSED_PAD src0_sel:WORD_1 src1_sel:DWORD
	v_sub_i16 v40, v40, v48 clamp
	v_lshlrev_b16_sdwa v23, v30, v23 dst_sel:DWORD dst_unused:UNUSED_PAD src0_sel:DWORD src1_sel:WORD_1
	v_lshlrev_b16_e32 v41, 8, v44
	v_and_b32_e32 v40, 0xffffff00, v40
	v_sub_i16 v23, v23, v41 clamp
	v_or_b32_sdwa v23, v23, v40 dst_sel:WORD_1 dst_unused:UNUSED_PAD src0_sel:BYTE_1 src1_sel:DWORD
	v_dot4c_i32_i8_e32 v31, v22, v7
	v_or_b32_sdwa v23, v33, v23 dst_sel:DWORD dst_unused:UNUSED_PAD src0_sel:WORD_0 src1_sel:DWORD
	v_dot4c_i32_i8_e32 v31, v23, v0
	v_bfe_u32 v22, v32, 16, 8
	v_lshlrev_b32_e32 v23, 4, v36
	v_and_or_b32 v22, v23, s18, v22
	v_lshlrev_b32_sdwa v23, v28, v37 dst_sel:DWORD dst_unused:UNUSED_PAD src0_sel:DWORD src1_sel:BYTE_2
	v_lshrrev_b16_e32 v23, 7, v23
	v_bfe_i32 v40, v23, 0, 1
	v_bfe_u32 v23, v37, 19, 1
	v_bfe_u32 v33, v38, 1, 7
	v_cmp_ne_u16_e32 vcc, 0, v23
	v_and_b32_e32 v32, 1, v38
	v_bfe_i32 v33, v33, 0, 1
	v_cndmask_b32_e64 v23, 0, -1, vcc
	v_sub_u16_e32 v32, 0, v32
	v_lshlrev_b16_e32 v33, 8, v33
	v_lshlrev_b16_e32 v42, 8, v23
	v_or_b32_sdwa v41, v32, v33 dst_sel:DWORD dst_unused:UNUSED_PAD src0_sel:BYTE_0 src1_sel:DWORD
	v_or_b32_sdwa v23, v40, v42 dst_sel:WORD_1 dst_unused:UNUSED_PAD src0_sel:BYTE_0 src1_sel:DWORD
	v_bfe_u32 v44, v38, 5, 3
	v_or_b32_sdwa v41, v41, v23 dst_sel:DWORD dst_unused:UNUSED_PAD src0_sel:WORD_0 src1_sel:DWORD
	v_lshlrev_b32_sdwa v23, v29, v37 dst_sel:DWORD dst_unused:UNUSED_PAD src0_sel:DWORD src1_sel:BYTE_2
	v_lshrrev_b16_e32 v23, 7, v23
	v_bfe_i32 v45, v23, 0, 1
	v_bfe_u32 v23, v38, 7, 1
	v_cmp_ne_u16_e32 vcc, 0, v23
	v_bfe_i32 v44, v44, 0, 1
	v_bfe_i32 v43, v37, 20, 1
	v_cndmask_b32_e64 v23, 0, -1, vcc
	v_lshlrev_b16_e32 v44, 8, v44
	v_lshlrev_b16_e32 v47, 8, v23
	v_lshlrev_b32_e32 v22, 3, v22
	v_or_b32_sdwa v46, v43, v44 dst_sel:DWORD dst_unused:UNUSED_PAD src0_sel:BYTE_0 src1_sel:DWORD
	v_or_b32_sdwa v23, v45, v47 dst_sel:WORD_1 dst_unused:UNUSED_PAD src0_sel:BYTE_0 src1_sel:DWORD
	v_lshlrev_b16_e32 v32, 8, v32
	v_or_b32_sdwa v46, v46, v23 dst_sel:DWORD dst_unused:UNUSED_PAD src0_sel:WORD_0 src1_sel:DWORD
	global_load_dwordx2 v[22:23], v22, s[12:13]
	v_lshlrev_b16_e32 v40, 8, v40
	s_waitcnt vmcnt(0)
	v_xor_b32_e32 v22, v22, v41
	v_and_b32_e32 v41, 0xffffff00, v22
	v_sub_i16 v33, v41, v33 clamp
	v_lshlrev_b16_e32 v41, 8, v22
	v_and_b32_e32 v33, 0xffffff00, v33
	v_sub_i16 v32, v41, v32 clamp
	v_or_b32_sdwa v32, v32, v33 dst_sel:DWORD dst_unused:UNUSED_PAD src0_sel:BYTE_1 src1_sel:DWORD
	v_and_b32_sdwa v33, v22, s19 dst_sel:DWORD dst_unused:UNUSED_PAD src0_sel:WORD_1 src1_sel:DWORD
	v_sub_i16 v33, v33, v42 clamp
	v_lshlrev_b16_sdwa v22, v30, v22 dst_sel:DWORD dst_unused:UNUSED_PAD src0_sel:DWORD src1_sel:WORD_1
	v_and_b32_e32 v33, 0xffffff00, v33
	v_sub_i16 v22, v22, v40 clamp
	v_or_b32_sdwa v22, v22, v33 dst_sel:WORD_1 dst_unused:UNUSED_PAD src0_sel:BYTE_1 src1_sel:DWORD
	v_xor_b32_e32 v23, v23, v46
	v_or_b32_sdwa v22, v32, v22 dst_sel:DWORD dst_unused:UNUSED_PAD src0_sel:WORD_0 src1_sel:DWORD
	v_and_b32_e32 v32, 0xffffff00, v23
	v_sub_i16 v32, v32, v44 clamp
	v_lshlrev_b16_e32 v33, 8, v23
	v_lshlrev_b16_e32 v40, 8, v43
	v_and_b32_e32 v32, 0xffffff00, v32
	v_sub_i16 v33, v33, v40 clamp
	v_or_b32_sdwa v32, v33, v32 dst_sel:DWORD dst_unused:UNUSED_PAD src0_sel:BYTE_1 src1_sel:DWORD
	v_and_b32_sdwa v33, v23, s19 dst_sel:DWORD dst_unused:UNUSED_PAD src0_sel:WORD_1 src1_sel:DWORD
	v_sub_i16 v33, v33, v47 clamp
	v_lshlrev_b16_sdwa v23, v30, v23 dst_sel:DWORD dst_unused:UNUSED_PAD src0_sel:DWORD src1_sel:WORD_1
	v_lshlrev_b16_e32 v40, 8, v45
	v_and_b32_e32 v33, 0xffffff00, v33
	v_sub_i16 v23, v23, v40 clamp
	v_or_b32_sdwa v23, v23, v33 dst_sel:WORD_1 dst_unused:UNUSED_PAD src0_sel:BYTE_1 src1_sel:DWORD
	v_mov_b32_e32 v33, 0
	v_or_b32_sdwa v23, v32, v23 dst_sel:DWORD dst_unused:UNUSED_PAD src0_sel:WORD_0 src1_sel:DWORD
	v_dot4c_i32_i8_e32 v33, v22, v1
	v_dot4c_i32_i8_e32 v33, v23, v2
	v_lshlrev_b32_e32 v23, 5, v39
	v_lshrrev_b16_e32 v23, 7, v23
	v_lshlrev_b32_e32 v22, 2, v36
	v_bfe_i32 v36, v23, 0, 1
	v_bfe_u32 v23, v37, 27, 1
	v_and_or_b32 v22, v22, s18, v35
	v_lshrrev_b32_e32 v35, 25, v37
	v_cmp_ne_u16_e32 vcc, 0, v23
	v_lshlrev_b16_e32 v32, 7, v38
	v_bfe_i32 v35, v35, 0, 1
	v_cndmask_b32_e64 v23, 0, -1, vcc
	v_ashrrev_i16_e32 v32, 15, v32
	v_lshlrev_b16_e32 v35, 8, v35
	v_lshlrev_b16_e32 v40, 8, v23
	v_or_b32_sdwa v38, v32, v35 dst_sel:DWORD dst_unused:UNUSED_PAD src0_sel:BYTE_0 src1_sel:DWORD
	v_or_b32_sdwa v23, v36, v40 dst_sel:WORD_1 dst_unused:UNUSED_PAD src0_sel:BYTE_0 src1_sel:DWORD
	v_lshrrev_b32_e32 v41, 29, v37
	v_or_b32_sdwa v38, v38, v23 dst_sel:DWORD dst_unused:UNUSED_PAD src0_sel:WORD_0 src1_sel:DWORD
	v_lshlrev_b32_e32 v23, 1, v39
	v_lshrrev_b16_e32 v23, 7, v23
	v_bfe_i32 v42, v23, 0, 1
	v_lshrrev_b32_e32 v23, 31, v37
	v_cmp_ne_u16_e32 vcc, 0, v23
	v_bfe_i32 v41, v41, 0, 1
	v_bfe_i32 v39, v39, 4, 1
	v_cndmask_b32_e64 v23, 0, -1, vcc
	v_lshlrev_b16_e32 v37, 8, v41
	v_lshlrev_b16_e32 v43, 8, v23
	v_lshlrev_b32_e32 v22, 3, v22
	v_or_b32_sdwa v41, v39, v37 dst_sel:DWORD dst_unused:UNUSED_PAD src0_sel:BYTE_0 src1_sel:DWORD
	v_or_b32_sdwa v23, v42, v43 dst_sel:WORD_1 dst_unused:UNUSED_PAD src0_sel:BYTE_0 src1_sel:DWORD
	v_lshlrev_b16_e32 v32, 8, v32
	v_or_b32_sdwa v41, v41, v23 dst_sel:DWORD dst_unused:UNUSED_PAD src0_sel:WORD_0 src1_sel:DWORD
	global_load_dwordx2 v[22:23], v22, s[12:13]
	v_lshlrev_b16_e32 v36, 8, v36
	s_waitcnt vmcnt(0)
	v_xor_b32_e32 v22, v22, v38
	v_and_b32_e32 v38, 0xffffff00, v22
	v_sub_i16 v35, v38, v35 clamp
	v_lshlrev_b16_e32 v38, 8, v22
	v_and_b32_e32 v35, 0xffffff00, v35
	v_sub_i16 v32, v38, v32 clamp
	v_or_b32_sdwa v32, v32, v35 dst_sel:DWORD dst_unused:UNUSED_PAD src0_sel:BYTE_1 src1_sel:DWORD
	v_and_b32_sdwa v35, v22, s19 dst_sel:DWORD dst_unused:UNUSED_PAD src0_sel:WORD_1 src1_sel:DWORD
	v_sub_i16 v35, v35, v40 clamp
	v_lshlrev_b16_sdwa v22, v30, v22 dst_sel:DWORD dst_unused:UNUSED_PAD src0_sel:DWORD src1_sel:WORD_1
	v_and_b32_e32 v35, 0xffffff00, v35
	v_sub_i16 v22, v22, v36 clamp
	v_or_b32_sdwa v22, v22, v35 dst_sel:WORD_1 dst_unused:UNUSED_PAD src0_sel:BYTE_1 src1_sel:DWORD
	v_xor_b32_e32 v23, v23, v41
	v_or_b32_sdwa v22, v32, v22 dst_sel:DWORD dst_unused:UNUSED_PAD src0_sel:WORD_0 src1_sel:DWORD
	v_and_b32_e32 v32, 0xffffff00, v23
	v_sub_i16 v32, v32, v37 clamp
	v_lshlrev_b16_e32 v35, 8, v23
	v_lshlrev_b16_e32 v36, 8, v39
	v_and_b32_e32 v32, 0xffffff00, v32
	v_sub_i16 v35, v35, v36 clamp
	v_or_b32_sdwa v32, v35, v32 dst_sel:DWORD dst_unused:UNUSED_PAD src0_sel:BYTE_1 src1_sel:DWORD
	v_and_b32_sdwa v35, v23, s19 dst_sel:DWORD dst_unused:UNUSED_PAD src0_sel:WORD_1 src1_sel:DWORD
	v_sub_i16 v35, v35, v43 clamp
	v_lshlrev_b16_sdwa v23, v30, v23 dst_sel:DWORD dst_unused:UNUSED_PAD src0_sel:DWORD src1_sel:WORD_1
	v_lshlrev_b16_e32 v36, 8, v42
	v_and_b32_e32 v35, 0xffffff00, v35
	v_sub_i16 v23, v23, v36 clamp
	v_or_b32_sdwa v23, v23, v35 dst_sel:WORD_1 dst_unused:UNUSED_PAD src0_sel:BYTE_1 src1_sel:DWORD
	v_dot4c_i32_i8_e32 v33, v22, v3
	v_or_b32_sdwa v23, v32, v23 dst_sel:DWORD dst_unused:UNUSED_PAD src0_sel:WORD_0 src1_sel:DWORD
	global_load_ushort v32, v[20:21], off
	v_add_u32_e32 v20, s16, v27
	v_mad_i64_i32 v[20:21], s[22:23], v20, s17, v[14:15]
	v_lshl_add_u64 v[36:37], v[20:21], 0, v[16:17]
	v_dot4c_i32_i8_e32 v33, v23, v34
	global_load_dword v38, v[36:37], off offset:2
	v_lshl_add_u64 v[22:23], v[20:21], 0, v[8:9]
	global_load_ubyte v41, v[22:23], off offset:66
	global_load_dword v42, v[36:37], off offset:34
	v_add_u32_e32 v27, 16, v27
	s_waitcnt vmcnt(2)
	v_and_b32_e32 v35, 0xff, v38
	s_waitcnt vmcnt(1)
	v_lshlrev_b32_e32 v36, 8, v41
	v_and_or_b32 v35, v36, s18, v35
	s_waitcnt vmcnt(0)
	v_lshlrev_b32_sdwa v36, v28, v42 dst_sel:DWORD dst_unused:UNUSED_PAD src0_sel:DWORD src1_sel:BYTE_0
	v_lshrrev_b16_e32 v36, 7, v36
	v_and_b32_e32 v37, 1, v42
	v_bfe_i32 v46, v36, 0, 1
	v_bfe_u32 v36, v42, 3, 1
	v_sub_u16_e32 v45, 0, v37
	v_bfe_u32 v37, v42, 1, 7
	v_cmp_ne_u16_e32 vcc, 0, v36
	v_bfe_i32 v37, v37, 0, 1
	v_lshlrev_b16_e32 v47, 8, v37
	v_cndmask_b32_e64 v36, 0, -1, vcc
	v_lshlrev_b16_e32 v48, 8, v36
	v_or_b32_sdwa v37, v45, v47 dst_sel:DWORD dst_unused:UNUSED_PAD src0_sel:BYTE_0 src1_sel:DWORD
	v_or_b32_sdwa v36, v46, v48 dst_sel:WORD_1 dst_unused:UNUSED_PAD src0_sel:BYTE_0 src1_sel:DWORD
	v_bfe_i32 v50, v42, 4, 1
	v_or_b32_sdwa v49, v37, v36 dst_sel:DWORD dst_unused:UNUSED_PAD src0_sel:WORD_0 src1_sel:DWORD
	v_lshlrev_b32_sdwa v36, v29, v42 dst_sel:DWORD dst_unused:UNUSED_PAD src0_sel:DWORD src1_sel:BYTE_0
	v_lshrrev_b16_e32 v36, 7, v36
	v_bfe_i32 v51, v36, 0, 1
	v_bfe_u32 v36, v42, 7, 1
	v_bfe_u32 v37, v42, 5, 3
	v_cmp_ne_u16_e32 vcc, 0, v36
	v_bfe_i32 v37, v37, 0, 1
	v_lshlrev_b16_e32 v52, 8, v37
	v_cndmask_b32_e64 v36, 0, -1, vcc
	v_lshlrev_b16_e32 v53, 8, v36
	v_lshlrev_b32_e32 v35, 3, v35
	v_or_b32_sdwa v37, v50, v52 dst_sel:DWORD dst_unused:UNUSED_PAD src0_sel:BYTE_0 src1_sel:DWORD
	v_or_b32_sdwa v36, v51, v53 dst_sel:WORD_1 dst_unused:UNUSED_PAD src0_sel:BYTE_0 src1_sel:DWORD
	v_lshlrev_b16_e32 v45, 8, v45
	v_or_b32_sdwa v54, v37, v36 dst_sel:DWORD dst_unused:UNUSED_PAD src0_sel:WORD_0 src1_sel:DWORD
	global_load_dwordx2 v[36:37], v35, s[12:13]
	v_lshlrev_b16_e32 v46, 8, v46
	v_lshrrev_b16_e32 v39, 8, v38
	v_lshrrev_b32_e32 v43, 16, v42
	v_lshrrev_b32_e32 v40, 24, v38
	;; [unrolled: 1-line block ×3, first 2 shown]
	s_waitcnt vmcnt(0)
	v_xor_b32_e32 v35, v36, v49
	v_and_b32_e32 v36, 0xffffff00, v35
	v_sub_i16 v36, v36, v47 clamp
	v_lshlrev_b16_e32 v47, 8, v35
	v_and_b32_e32 v36, 0xffffff00, v36
	v_sub_i16 v45, v47, v45 clamp
	v_or_b32_sdwa v36, v45, v36 dst_sel:DWORD dst_unused:UNUSED_PAD src0_sel:BYTE_1 src1_sel:DWORD
	v_and_b32_sdwa v45, v35, s19 dst_sel:DWORD dst_unused:UNUSED_PAD src0_sel:WORD_1 src1_sel:DWORD
	v_sub_i16 v45, v45, v48 clamp
	v_lshlrev_b16_sdwa v35, v30, v35 dst_sel:DWORD dst_unused:UNUSED_PAD src0_sel:DWORD src1_sel:WORD_1
	v_and_b32_e32 v45, 0xffffff00, v45
	v_sub_i16 v35, v35, v46 clamp
	v_or_b32_sdwa v35, v35, v45 dst_sel:WORD_1 dst_unused:UNUSED_PAD src0_sel:BYTE_1 src1_sel:DWORD
	v_lshlrev_b16_e32 v46, 8, v50
	v_or_b32_sdwa v36, v36, v35 dst_sel:DWORD dst_unused:UNUSED_PAD src0_sel:WORD_0 src1_sel:DWORD
	v_xor_b32_e32 v35, v37, v54
	v_and_b32_e32 v37, 0xffffff00, v35
	v_sub_i16 v37, v37, v52 clamp
	v_lshlrev_b16_e32 v45, 8, v35
	v_and_b32_e32 v37, 0xffffff00, v37
	v_sub_i16 v45, v45, v46 clamp
	v_or_b32_sdwa v37, v45, v37 dst_sel:DWORD dst_unused:UNUSED_PAD src0_sel:BYTE_1 src1_sel:DWORD
	v_and_b32_sdwa v45, v35, s19 dst_sel:DWORD dst_unused:UNUSED_PAD src0_sel:WORD_1 src1_sel:DWORD
	v_sub_i16 v45, v45, v53 clamp
	v_lshlrev_b16_sdwa v35, v30, v35 dst_sel:DWORD dst_unused:UNUSED_PAD src0_sel:DWORD src1_sel:WORD_1
	v_lshlrev_b16_e32 v46, 8, v51
	v_and_b32_e32 v45, 0xffffff00, v45
	v_sub_i16 v35, v35, v46 clamp
	v_or_b32_sdwa v35, v35, v45 dst_sel:WORD_1 dst_unused:UNUSED_PAD src0_sel:BYTE_1 src1_sel:DWORD
	s_nop 0
	v_or_b32_sdwa v37, v37, v35 dst_sel:DWORD dst_unused:UNUSED_PAD src0_sel:WORD_0 src1_sel:DWORD
	v_mov_b32_e32 v35, 0
	v_dot4c_i32_i8_e32 v35, v36, v5
	v_dot4c_i32_i8_e32 v35, v37, v6
	v_lshrrev_b16_e32 v6, 8, v42
	v_lshlrev_b32_e32 v36, 5, v6
	v_lshrrev_b16_e32 v36, 7, v36
	v_lshlrev_b32_e32 v5, 6, v41
	v_lshlrev_b16_e32 v37, 7, v42
	v_bfe_i32 v45, v36, 0, 1
	v_bfe_u32 v36, v6, 3, 1
	v_and_or_b32 v5, v5, s18, v39
	v_ashrrev_i16_e32 v39, 15, v37
	v_lshrrev_b32_e32 v37, 1, v6
	v_cmp_ne_u16_e32 vcc, 0, v36
	v_bfe_i32 v37, v37, 0, 1
	v_lshlrev_b16_e32 v46, 8, v37
	v_cndmask_b32_e64 v36, 0, -1, vcc
	v_lshlrev_b16_e32 v47, 8, v36
	v_or_b32_sdwa v37, v39, v46 dst_sel:DWORD dst_unused:UNUSED_PAD src0_sel:BYTE_0 src1_sel:DWORD
	v_or_b32_sdwa v36, v45, v47 dst_sel:WORD_1 dst_unused:UNUSED_PAD src0_sel:BYTE_0 src1_sel:DWORD
	v_bfe_i32 v49, v6, 4, 1
	v_or_b32_sdwa v48, v37, v36 dst_sel:DWORD dst_unused:UNUSED_PAD src0_sel:WORD_0 src1_sel:DWORD
	v_lshlrev_b32_e32 v36, 1, v6
	v_lshrrev_b32_e32 v37, 5, v6
	v_lshrrev_b32_e32 v6, 7, v6
	v_cmp_ne_u16_e32 vcc, 0, v6
	v_bfe_i32 v37, v37, 0, 1
	v_lshrrev_b16_e32 v36, 7, v36
	v_cndmask_b32_e64 v6, 0, -1, vcc
	v_bfe_i32 v50, v36, 0, 1
	v_lshlrev_b16_e32 v51, 8, v37
	v_lshlrev_b16_e32 v6, 8, v6
	v_lshlrev_b32_e32 v5, 3, v5
	v_or_b32_sdwa v36, v49, v51 dst_sel:DWORD dst_unused:UNUSED_PAD src0_sel:BYTE_0 src1_sel:DWORD
	v_or_b32_sdwa v37, v50, v6 dst_sel:WORD_1 dst_unused:UNUSED_PAD src0_sel:BYTE_0 src1_sel:DWORD
	v_lshlrev_b16_e32 v39, 8, v39
	v_or_b32_sdwa v52, v36, v37 dst_sel:DWORD dst_unused:UNUSED_PAD src0_sel:WORD_0 src1_sel:DWORD
	global_load_dwordx2 v[36:37], v5, s[12:13]
	v_lshlrev_b16_e32 v45, 8, v45
	s_waitcnt vmcnt(0)
	v_xor_b32_e32 v5, v36, v48
	v_and_b32_e32 v36, 0xffffff00, v5
	v_sub_i16 v36, v36, v46 clamp
	v_lshlrev_b16_e32 v46, 8, v5
	v_and_b32_e32 v36, 0xffffff00, v36
	v_sub_i16 v39, v46, v39 clamp
	v_or_b32_sdwa v36, v39, v36 dst_sel:DWORD dst_unused:UNUSED_PAD src0_sel:BYTE_1 src1_sel:DWORD
	v_and_b32_sdwa v39, v5, s19 dst_sel:DWORD dst_unused:UNUSED_PAD src0_sel:WORD_1 src1_sel:DWORD
	v_sub_i16 v39, v39, v47 clamp
	v_lshlrev_b16_sdwa v5, v30, v5 dst_sel:DWORD dst_unused:UNUSED_PAD src0_sel:DWORD src1_sel:WORD_1
	v_and_b32_e32 v39, 0xffffff00, v39
	v_sub_i16 v5, v5, v45 clamp
	v_or_b32_sdwa v5, v5, v39 dst_sel:WORD_1 dst_unused:UNUSED_PAD src0_sel:BYTE_1 src1_sel:DWORD
	v_lshlrev_b16_e32 v45, 8, v49
	v_or_b32_sdwa v5, v36, v5 dst_sel:DWORD dst_unused:UNUSED_PAD src0_sel:WORD_0 src1_sel:DWORD
	v_xor_b32_e32 v36, v37, v52
	v_and_b32_e32 v37, 0xffffff00, v36
	v_sub_i16 v37, v37, v51 clamp
	v_lshlrev_b16_e32 v39, 8, v36
	v_and_b32_e32 v37, 0xffffff00, v37
	v_sub_i16 v39, v39, v45 clamp
	v_or_b32_sdwa v37, v39, v37 dst_sel:DWORD dst_unused:UNUSED_PAD src0_sel:BYTE_1 src1_sel:DWORD
	v_and_b32_sdwa v39, v36, s19 dst_sel:DWORD dst_unused:UNUSED_PAD src0_sel:WORD_1 src1_sel:DWORD
	v_sub_i16 v6, v39, v6 clamp
	v_lshlrev_b16_sdwa v36, v30, v36 dst_sel:DWORD dst_unused:UNUSED_PAD src0_sel:DWORD src1_sel:WORD_1
	v_lshlrev_b16_e32 v39, 8, v50
	v_and_b32_e32 v6, 0xffffff00, v6
	v_sub_i16 v36, v36, v39 clamp
	v_or_b32_sdwa v6, v36, v6 dst_sel:WORD_1 dst_unused:UNUSED_PAD src0_sel:BYTE_1 src1_sel:DWORD
	v_dot4c_i32_i8_e32 v35, v5, v7
	v_or_b32_sdwa v6, v37, v6 dst_sel:DWORD dst_unused:UNUSED_PAD src0_sel:WORD_0 src1_sel:DWORD
	v_dot4c_i32_i8_e32 v35, v6, v0
	v_bfe_u32 v0, v38, 16, 8
	v_lshlrev_b32_e32 v5, 4, v41
	v_and_b32_e32 v6, 1, v43
	v_bfe_u32 v7, v42, 19, 1
	v_and_or_b32 v0, v5, s18, v0
	v_lshlrev_b32_sdwa v5, v28, v42 dst_sel:DWORD dst_unused:UNUSED_PAD src0_sel:DWORD src1_sel:BYTE_2
	v_sub_u16_e32 v36, 0, v6
	v_bfe_u32 v6, v43, 1, 7
	v_cmp_ne_u16_e32 vcc, 0, v7
	v_bfe_i32 v6, v6, 0, 1
	v_lshrrev_b16_e32 v5, 7, v5
	v_cndmask_b32_e64 v7, 0, -1, vcc
	v_bfe_i32 v5, v5, 0, 1
	v_lshlrev_b16_e32 v37, 8, v6
	v_lshlrev_b16_e32 v38, 8, v7
	v_or_b32_sdwa v6, v36, v37 dst_sel:DWORD dst_unused:UNUSED_PAD src0_sel:BYTE_0 src1_sel:DWORD
	v_or_b32_sdwa v7, v5, v38 dst_sel:WORD_1 dst_unused:UNUSED_PAD src0_sel:BYTE_0 src1_sel:DWORD
	v_bfe_i32 v45, v42, 20, 1
	v_or_b32_sdwa v39, v6, v7 dst_sel:DWORD dst_unused:UNUSED_PAD src0_sel:WORD_0 src1_sel:DWORD
	v_lshlrev_b32_sdwa v6, v29, v42 dst_sel:DWORD dst_unused:UNUSED_PAD src0_sel:DWORD src1_sel:BYTE_2
	v_lshrrev_b16_e32 v6, 7, v6
	v_bfe_i32 v46, v6, 0, 1
	v_bfe_u32 v6, v43, 7, 1
	v_bfe_u32 v7, v43, 5, 3
	v_cmp_ne_u16_e32 vcc, 0, v6
	v_bfe_i32 v7, v7, 0, 1
	v_lshlrev_b16_e32 v47, 8, v7
	v_cndmask_b32_e64 v6, 0, -1, vcc
	v_lshlrev_b16_e32 v48, 8, v6
	v_lshlrev_b32_e32 v0, 3, v0
	v_or_b32_sdwa v7, v45, v47 dst_sel:DWORD dst_unused:UNUSED_PAD src0_sel:BYTE_0 src1_sel:DWORD
	v_or_b32_sdwa v6, v46, v48 dst_sel:WORD_1 dst_unused:UNUSED_PAD src0_sel:BYTE_0 src1_sel:DWORD
	v_lshlrev_b16_e32 v36, 8, v36
	v_or_b32_sdwa v49, v7, v6 dst_sel:DWORD dst_unused:UNUSED_PAD src0_sel:WORD_0 src1_sel:DWORD
	global_load_dwordx2 v[6:7], v0, s[12:13]
	v_lshlrev_b16_e32 v5, 8, v5
	s_waitcnt vmcnt(0)
	v_xor_b32_e32 v0, v6, v39
	v_and_b32_e32 v6, 0xffffff00, v0
	v_sub_i16 v6, v6, v37 clamp
	v_lshlrev_b16_e32 v37, 8, v0
	v_and_b32_e32 v6, 0xffffff00, v6
	v_sub_i16 v36, v37, v36 clamp
	v_or_b32_sdwa v6, v36, v6 dst_sel:DWORD dst_unused:UNUSED_PAD src0_sel:BYTE_1 src1_sel:DWORD
	v_and_b32_sdwa v36, v0, s19 dst_sel:DWORD dst_unused:UNUSED_PAD src0_sel:WORD_1 src1_sel:DWORD
	v_sub_i16 v36, v36, v38 clamp
	v_lshlrev_b16_sdwa v0, v30, v0 dst_sel:DWORD dst_unused:UNUSED_PAD src0_sel:DWORD src1_sel:WORD_1
	v_and_b32_e32 v36, 0xffffff00, v36
	v_sub_i16 v0, v0, v5 clamp
	v_or_b32_sdwa v0, v0, v36 dst_sel:WORD_1 dst_unused:UNUSED_PAD src0_sel:BYTE_1 src1_sel:DWORD
	v_xor_b32_e32 v5, v7, v49
	v_or_b32_sdwa v0, v6, v0 dst_sel:DWORD dst_unused:UNUSED_PAD src0_sel:WORD_0 src1_sel:DWORD
	v_and_b32_e32 v6, 0xffffff00, v5
	v_sub_i16 v6, v6, v47 clamp
	v_lshlrev_b16_e32 v7, 8, v5
	v_lshlrev_b16_e32 v36, 8, v45
	v_and_b32_e32 v6, 0xffffff00, v6
	v_sub_i16 v7, v7, v36 clamp
	v_or_b32_sdwa v6, v7, v6 dst_sel:DWORD dst_unused:UNUSED_PAD src0_sel:BYTE_1 src1_sel:DWORD
	v_and_b32_sdwa v7, v5, s19 dst_sel:DWORD dst_unused:UNUSED_PAD src0_sel:WORD_1 src1_sel:DWORD
	v_sub_i16 v7, v7, v48 clamp
	v_lshlrev_b16_sdwa v5, v30, v5 dst_sel:DWORD dst_unused:UNUSED_PAD src0_sel:DWORD src1_sel:WORD_1
	v_lshlrev_b16_e32 v36, 8, v46
	v_and_b32_e32 v7, 0xffffff00, v7
	v_sub_i16 v5, v5, v36 clamp
	v_or_b32_sdwa v5, v5, v7 dst_sel:WORD_1 dst_unused:UNUSED_PAD src0_sel:BYTE_1 src1_sel:DWORD
	v_lshrrev_b32_e32 v39, 29, v42
	v_or_b32_sdwa v6, v6, v5 dst_sel:DWORD dst_unused:UNUSED_PAD src0_sel:WORD_0 src1_sel:DWORD
	v_mov_b32_e32 v5, 0
	v_dot4c_i32_i8_e32 v5, v0, v1
	v_lshlrev_b32_e32 v1, 5, v44
	v_lshrrev_b16_e32 v1, 7, v1
	v_bfe_i32 v7, v1, 0, 1
	v_bfe_u32 v1, v42, 27, 1
	v_dot4c_i32_i8_e32 v5, v6, v2
	v_lshrrev_b32_e32 v6, 25, v42
	v_cmp_ne_u16_e32 vcc, 0, v1
	v_lshlrev_b16_e32 v2, 7, v43
	v_bfe_i32 v6, v6, 0, 1
	v_cndmask_b32_e64 v1, 0, -1, vcc
	v_ashrrev_i16_e32 v2, 15, v2
	v_lshlrev_b16_e32 v6, 8, v6
	v_lshlrev_b16_e32 v37, 8, v1
	v_or_b32_sdwa v36, v2, v6 dst_sel:DWORD dst_unused:UNUSED_PAD src0_sel:BYTE_0 src1_sel:DWORD
	v_or_b32_sdwa v1, v7, v37 dst_sel:WORD_1 dst_unused:UNUSED_PAD src0_sel:BYTE_0 src1_sel:DWORD
	v_lshlrev_b32_e32 v0, 2, v41
	v_or_b32_sdwa v36, v36, v1 dst_sel:DWORD dst_unused:UNUSED_PAD src0_sel:WORD_0 src1_sel:DWORD
	v_lshlrev_b32_e32 v1, 1, v44
	v_lshrrev_b16_e32 v1, 7, v1
	v_and_or_b32 v0, v0, s18, v40
	v_bfe_i32 v40, v1, 0, 1
	v_lshrrev_b32_e32 v1, 31, v42
	v_cmp_ne_u16_e32 vcc, 0, v1
	v_bfe_i32 v39, v39, 0, 1
	v_bfe_i32 v38, v44, 4, 1
	v_cndmask_b32_e64 v1, 0, -1, vcc
	v_lshlrev_b16_e32 v39, 8, v39
	v_lshlrev_b16_e32 v42, 8, v1
	v_lshlrev_b32_e32 v0, 3, v0
	v_or_b32_sdwa v41, v38, v39 dst_sel:DWORD dst_unused:UNUSED_PAD src0_sel:BYTE_0 src1_sel:DWORD
	v_or_b32_sdwa v1, v40, v42 dst_sel:WORD_1 dst_unused:UNUSED_PAD src0_sel:BYTE_0 src1_sel:DWORD
	v_lshlrev_b16_e32 v2, 8, v2
	v_or_b32_sdwa v41, v41, v1 dst_sel:DWORD dst_unused:UNUSED_PAD src0_sel:WORD_0 src1_sel:DWORD
	global_load_dwordx2 v[0:1], v0, s[12:13]
	v_lshlrev_b16_e32 v7, 8, v7
	v_cmp_le_u32_e32 vcc, s15, v27
	s_or_b64 s[4:5], vcc, s[4:5]
	s_waitcnt vmcnt(0)
	v_xor_b32_e32 v0, v0, v36
	v_and_b32_e32 v36, 0xffffff00, v0
	v_sub_i16 v6, v36, v6 clamp
	v_lshlrev_b16_e32 v36, 8, v0
	v_and_b32_e32 v6, 0xffffff00, v6
	v_sub_i16 v2, v36, v2 clamp
	v_or_b32_sdwa v2, v2, v6 dst_sel:DWORD dst_unused:UNUSED_PAD src0_sel:BYTE_1 src1_sel:DWORD
	v_and_b32_sdwa v6, v0, s19 dst_sel:DWORD dst_unused:UNUSED_PAD src0_sel:WORD_1 src1_sel:DWORD
	v_sub_i16 v6, v6, v37 clamp
	v_lshlrev_b16_sdwa v0, v30, v0 dst_sel:DWORD dst_unused:UNUSED_PAD src0_sel:DWORD src1_sel:WORD_1
	v_and_b32_e32 v6, 0xffffff00, v6
	v_sub_i16 v0, v0, v7 clamp
	v_or_b32_sdwa v0, v0, v6 dst_sel:WORD_1 dst_unused:UNUSED_PAD src0_sel:BYTE_1 src1_sel:DWORD
	v_xor_b32_e32 v1, v1, v41
	v_or_b32_sdwa v0, v2, v0 dst_sel:DWORD dst_unused:UNUSED_PAD src0_sel:WORD_0 src1_sel:DWORD
	v_and_b32_e32 v2, 0xffffff00, v1
	v_sub_i16 v2, v2, v39 clamp
	v_lshlrev_b16_e32 v6, 8, v1
	v_lshlrev_b16_e32 v7, 8, v38
	v_and_b32_e32 v2, 0xffffff00, v2
	v_sub_i16 v6, v6, v7 clamp
	v_or_b32_sdwa v2, v6, v2 dst_sel:DWORD dst_unused:UNUSED_PAD src0_sel:BYTE_1 src1_sel:DWORD
	v_and_b32_sdwa v6, v1, s19 dst_sel:DWORD dst_unused:UNUSED_PAD src0_sel:WORD_1 src1_sel:DWORD
	v_sub_i16 v6, v6, v42 clamp
	v_lshlrev_b16_sdwa v1, v30, v1 dst_sel:DWORD dst_unused:UNUSED_PAD src0_sel:DWORD src1_sel:WORD_1
	v_lshlrev_b16_e32 v7, 8, v40
	v_and_b32_e32 v6, 0xffffff00, v6
	v_sub_i16 v1, v1, v7 clamp
	v_or_b32_sdwa v1, v1, v6 dst_sel:WORD_1 dst_unused:UNUSED_PAD src0_sel:BYTE_1 src1_sel:DWORD
	v_dot4c_i32_i8_e32 v5, v0, v3
	v_or_b32_sdwa v1, v2, v1 dst_sel:DWORD dst_unused:UNUSED_PAD src0_sel:WORD_0 src1_sel:DWORD
	v_dot4c_i32_i8_e32 v5, v1, v34
	global_load_ushort v0, v[20:21], off
	global_load_ubyte v1, v[18:19], off offset:74
	global_load_ubyte v2, v[22:23], off offset:74
	v_add_u32_e32 v7, v33, v31
	v_lshrrev_b32_e32 v18, 31, v7
	v_add_u32_e32 v7, v7, v18
	v_ashrrev_i32_e32 v7, 1, v7
	s_waitcnt vmcnt(1)
	v_lshrrev_b32_e32 v6, 4, v1
	s_waitcnt vmcnt(0)
	v_lshrrev_b32_e32 v3, 4, v2
	v_mul_lo_u32 v3, v5, v3
	v_add_u32_e32 v5, v5, v35
	v_and_b32_e32 v1, 15, v1
	v_lshrrev_b32_e32 v18, 31, v5
	v_and_b32_e32 v2, 15, v2
	v_mul_lo_u32 v1, v31, v1
	v_mul_lo_u32 v6, v33, v6
	v_add_u32_e32 v5, v5, v18
	v_mul_lo_u32 v2, v35, v2
	v_ashrrev_i32_e32 v5, 1, v5
	v_add3_u32 v1, v6, v1, v7
	v_add3_u32 v2, v3, v2, v5
	v_ashrrev_i32_e32 v3, 31, v1
	v_lshrrev_b32_e32 v3, 30, v3
	v_add_u32_e32 v1, v1, v3
	v_ashrrev_i32_e32 v5, 2, v1
	v_ashrrev_i32_e32 v1, 31, v2
	v_lshrrev_b32_e32 v1, 30, v1
	v_add_u32_e32 v1, v2, v1
	v_ashrrev_i32_e32 v2, 2, v1
	v_cvt_f32_f16_e32 v1, v0
	v_cvt_f32_f16_e32 v0, v32
	v_cvt_f32_i32_e32 v3, v2
	v_cvt_f32_i32_e32 v2, v5
	v_pk_mul_f32 v[0:1], v[4:5], v[0:1] op_sel_hi:[0,1]
	v_pk_fma_f32 v[10:11], v[0:1], v[2:3], v[10:11]
	s_andn2_b64 exec, exec, s[4:5]
	s_cbranch_execnz .LBB182_9
; %bb.10:
	s_or_b64 exec, exec, s[4:5]
	ds_write2_b32 v24, v10, v11 offset1:1
.LBB182_11:
	s_or_b64 exec, exec, s[0:1]
	v_cmp_eq_u32_e32 vcc, 0, v26
	v_cmp_ne_u32_e64 s[0:1], 0, v26
	v_lshlrev_b32_e32 v0, 2, v25
	s_and_saveexec_b64 s[4:5], s[0:1]
	s_cbranch_execz .LBB182_13
; %bb.12:
	v_lshl_or_b32 v1, v26, 9, v0
	v_add_u32_e32 v1, 0xfffffe00, v1
	ds_write2st64_b32 v1, v10, v11 offset1:1
.LBB182_13:
	s_or_b64 exec, exec, s[4:5]
	s_waitcnt lgkmcnt(0)
	s_barrier
	s_and_saveexec_b64 s[0:1], vcc
	s_cbranch_execz .LBB182_16
; %bb.14:
	v_mbcnt_lo_u32_b32 v1, -1, 0
	v_mbcnt_hi_u32_b32 v1, -1, v1
	v_and_b32_e32 v2, 64, v1
	v_add_u32_e32 v6, 64, v2
	ds_read2st64_b32 v[2:3], v0 offset1:1
	ds_read2_b32 v[4:5], v24 offset1:1
	v_xor_b32_e32 v7, 32, v1
	v_cmp_lt_i32_e32 vcc, v7, v6
	s_load_dword s0, s[2:3], 0x58
	s_mov_b32 s5, 0
	v_cndmask_b32_e32 v7, v1, v7, vcc
	v_lshlrev_b32_e32 v7, 2, v7
	s_waitcnt lgkmcnt(0)
	v_pk_add_f32 v[2:3], v[2:3], v[4:5]
	ds_bpermute_b32 v4, v7, v2
	ds_bpermute_b32 v5, v7, v3
	v_xor_b32_e32 v7, 16, v1
	v_cmp_lt_i32_e32 vcc, v7, v6
	s_waitcnt lgkmcnt(0)
	v_pk_add_f32 v[2:3], v[2:3], v[4:5]
	v_cndmask_b32_e32 v7, v1, v7, vcc
	v_lshlrev_b32_e32 v7, 2, v7
	ds_bpermute_b32 v4, v7, v2
	ds_bpermute_b32 v5, v7, v3
	v_xor_b32_e32 v7, 8, v1
	v_cmp_lt_i32_e32 vcc, v7, v6
	s_waitcnt lgkmcnt(0)
	v_pk_add_f32 v[2:3], v[2:3], v[4:5]
	v_cndmask_b32_e32 v7, v1, v7, vcc
	v_lshlrev_b32_e32 v7, 2, v7
	;; [unrolled: 8-line block ×5, first 2 shown]
	ds_bpermute_b32 v4, v1, v2
	ds_bpermute_b32 v5, v1, v3
	v_or_b32_e32 v1, s7, v25
	v_cmp_gt_u32_e32 vcc, 2, v25
	v_cmp_gt_u32_e64 s[0:1], s0, v1
	s_and_b64 s[0:1], vcc, s[0:1]
	s_waitcnt lgkmcnt(0)
	v_pk_add_f32 v[2:3], v[2:3], v[4:5]
	ds_write2_b32 v24, v2, v3 offset1:1
	s_and_b64 exec, exec, s[0:1]
	s_cbranch_execz .LBB182_16
; %bb.15:
	s_load_dwordx2 s[0:1], s[2:3], 0x38
	s_mul_i32 s2, s20, s10
	v_add_u32_e32 v1, v24, v0
	s_add_i32 s2, s2, s7
	s_mul_i32 s6, s6, s14
	ds_read_b32 v1, v1
	s_add_i32 s4, s2, s6
	s_lshl_b64 s[2:3], s[4:5], 2
	s_waitcnt lgkmcnt(0)
	s_add_u32 s0, s0, s2
	s_addc_u32 s1, s1, s3
	global_store_dword v0, v1, s[0:1]
.LBB182_16:
	s_endpgm
	.section	.rodata,"a",@progbits
	.p2align	6, 0x0
	.amdhsa_kernel _ZL13mul_mat_vec_qIL9ggml_type22ELi1ELb0ELb1EEvPKvS2_PKi31ggml_cuda_mm_fusion_args_devicePfj15HIP_vector_typeIjLj3EEjjjS8_jjjS8_jjjj
		.amdhsa_group_segment_fixed_size 1536
		.amdhsa_private_segment_fixed_size 0
		.amdhsa_kernarg_size 144
		.amdhsa_user_sgpr_count 4
		.amdhsa_user_sgpr_dispatch_ptr 1
		.amdhsa_user_sgpr_queue_ptr 0
		.amdhsa_user_sgpr_kernarg_segment_ptr 1
		.amdhsa_user_sgpr_dispatch_id 0
		.amdhsa_user_sgpr_kernarg_preload_length 0
		.amdhsa_user_sgpr_kernarg_preload_offset 0
		.amdhsa_user_sgpr_private_segment_size 0
		.amdhsa_uses_dynamic_stack 0
		.amdhsa_enable_private_segment 0
		.amdhsa_system_sgpr_workgroup_id_x 1
		.amdhsa_system_sgpr_workgroup_id_y 1
		.amdhsa_system_sgpr_workgroup_id_z 1
		.amdhsa_system_sgpr_workgroup_info 0
		.amdhsa_system_vgpr_workitem_id 2
		.amdhsa_next_free_vgpr 55
		.amdhsa_next_free_sgpr 28
		.amdhsa_accum_offset 56
		.amdhsa_reserve_vcc 1
		.amdhsa_float_round_mode_32 0
		.amdhsa_float_round_mode_16_64 0
		.amdhsa_float_denorm_mode_32 3
		.amdhsa_float_denorm_mode_16_64 3
		.amdhsa_dx10_clamp 1
		.amdhsa_ieee_mode 1
		.amdhsa_fp16_overflow 0
		.amdhsa_tg_split 0
		.amdhsa_exception_fp_ieee_invalid_op 0
		.amdhsa_exception_fp_denorm_src 0
		.amdhsa_exception_fp_ieee_div_zero 0
		.amdhsa_exception_fp_ieee_overflow 0
		.amdhsa_exception_fp_ieee_underflow 0
		.amdhsa_exception_fp_ieee_inexact 0
		.amdhsa_exception_int_div_zero 0
	.end_amdhsa_kernel
	.section	.text._ZL13mul_mat_vec_qIL9ggml_type22ELi1ELb0ELb1EEvPKvS2_PKi31ggml_cuda_mm_fusion_args_devicePfj15HIP_vector_typeIjLj3EEjjjS8_jjjS8_jjjj,"axG",@progbits,_ZL13mul_mat_vec_qIL9ggml_type22ELi1ELb0ELb1EEvPKvS2_PKi31ggml_cuda_mm_fusion_args_devicePfj15HIP_vector_typeIjLj3EEjjjS8_jjjS8_jjjj,comdat
.Lfunc_end182:
	.size	_ZL13mul_mat_vec_qIL9ggml_type22ELi1ELb0ELb1EEvPKvS2_PKi31ggml_cuda_mm_fusion_args_devicePfj15HIP_vector_typeIjLj3EEjjjS8_jjjS8_jjjj, .Lfunc_end182-_ZL13mul_mat_vec_qIL9ggml_type22ELi1ELb0ELb1EEvPKvS2_PKi31ggml_cuda_mm_fusion_args_devicePfj15HIP_vector_typeIjLj3EEjjjS8_jjjS8_jjjj
                                        ; -- End function
	.section	.AMDGPU.csdata,"",@progbits
; Kernel info:
; codeLenInByte = 5056
; NumSgprs: 34
; NumVgprs: 55
; NumAgprs: 0
; TotalNumVgprs: 55
; ScratchSize: 0
; MemoryBound: 0
; FloatMode: 240
; IeeeMode: 1
; LDSByteSize: 1536 bytes/workgroup (compile time only)
; SGPRBlocks: 4
; VGPRBlocks: 6
; NumSGPRsForWavesPerEU: 34
; NumVGPRsForWavesPerEU: 55
; AccumOffset: 56
; Occupancy: 8
; WaveLimiterHint : 0
; COMPUTE_PGM_RSRC2:SCRATCH_EN: 0
; COMPUTE_PGM_RSRC2:USER_SGPR: 4
; COMPUTE_PGM_RSRC2:TRAP_HANDLER: 0
; COMPUTE_PGM_RSRC2:TGID_X_EN: 1
; COMPUTE_PGM_RSRC2:TGID_Y_EN: 1
; COMPUTE_PGM_RSRC2:TGID_Z_EN: 1
; COMPUTE_PGM_RSRC2:TIDIG_COMP_CNT: 2
; COMPUTE_PGM_RSRC3_GFX90A:ACCUM_OFFSET: 13
; COMPUTE_PGM_RSRC3_GFX90A:TG_SPLIT: 0
	.section	.text._ZL13mul_mat_vec_qIL9ggml_type22ELi1ELb1ELb0EEvPKvS2_PKi31ggml_cuda_mm_fusion_args_devicePfj15HIP_vector_typeIjLj3EEjjjS8_jjjS8_jjjj,"axG",@progbits,_ZL13mul_mat_vec_qIL9ggml_type22ELi1ELb1ELb0EEvPKvS2_PKi31ggml_cuda_mm_fusion_args_devicePfj15HIP_vector_typeIjLj3EEjjjS8_jjjS8_jjjj,comdat
	.globl	_ZL13mul_mat_vec_qIL9ggml_type22ELi1ELb1ELb0EEvPKvS2_PKi31ggml_cuda_mm_fusion_args_devicePfj15HIP_vector_typeIjLj3EEjjjS8_jjjS8_jjjj ; -- Begin function _ZL13mul_mat_vec_qIL9ggml_type22ELi1ELb1ELb0EEvPKvS2_PKi31ggml_cuda_mm_fusion_args_devicePfj15HIP_vector_typeIjLj3EEjjjS8_jjjS8_jjjj
	.p2align	8
	.type	_ZL13mul_mat_vec_qIL9ggml_type22ELi1ELb1ELb0EEvPKvS2_PKi31ggml_cuda_mm_fusion_args_devicePfj15HIP_vector_typeIjLj3EEjjjS8_jjjS8_jjjj,@function
_ZL13mul_mat_vec_qIL9ggml_type22ELi1ELb1ELb0EEvPKvS2_PKi31ggml_cuda_mm_fusion_args_devicePfj15HIP_vector_typeIjLj3EEjjjS8_jjjS8_jjjj: ; @_ZL13mul_mat_vec_qIL9ggml_type22ELi1ELb1ELb0EEvPKvS2_PKi31ggml_cuda_mm_fusion_args_devicePfj15HIP_vector_typeIjLj3EEjjjS8_jjjS8_jjjj
; %bb.0:
	s_load_dwordx8 s[16:23], s[0:1], 0x0
	s_load_dwordx4 s[36:39], s[0:1], 0x20
	s_load_dwordx4 s[8:11], s[0:1], 0x40
	;; [unrolled: 1-line block ×3, first 2 shown]
	s_mov_b32 s14, s3
	s_waitcnt lgkmcnt(0)
	s_cmp_lg_u64 s[20:21], 0
	s_cselect_b64 s[6:7], -1, 0
	s_cmp_eq_u64 s[20:21], 0
	s_mov_b64 s[12:13], 0
	s_cbranch_scc1 .LBB183_5
; %bb.1:
	s_mov_b32 s15, 0
	s_lshl_b64 s[28:29], s[14:15], 2
	s_add_u32 s20, s20, s28
	s_addc_u32 s21, s21, s29
	s_load_dword s5, s[20:21], 0x0
	s_load_dword s15, s[0:1], 0x50
	;; [unrolled: 1-line block ×3, first 2 shown]
	s_andn2_b64 vcc, exec, s[12:13]
	s_cbranch_vccnz .LBB183_3
.LBB183_2:
	s_load_dwordx2 s[12:13], s[0:1], 0x5c
	s_waitcnt lgkmcnt(0)
	s_mul_hi_u32 s3, s12, s14
	s_add_i32 s3, s14, s3
	s_lshr_b32 s5, s3, s13
.LBB183_3:
	s_andn2_b64 vcc, exec, s[6:7]
	s_cbranch_vccnz .LBB183_6
; %bb.4:
	s_mul_hi_u32 s3, s9, s14
	s_add_i32 s3, s14, s3
	s_lshr_b32 s3, s3, s10
	s_mul_i32 s3, s3, s11
	s_sub_i32 s34, s14, s3
	s_waitcnt lgkmcnt(0)
	s_mov_b32 s3, s5
	s_branch .LBB183_7
.LBB183_5:
                                        ; implicit-def: $sgpr5
	s_load_dword s15, s[0:1], 0x50
	s_load_dword s33, s[0:1], 0x78
	s_branch .LBB183_2
.LBB183_6:
	s_mov_b32 s3, s14
	s_mov_b32 s34, s14
.LBB183_7:
	s_load_dwordx4 s[28:31], s[0:1], 0x80
	v_bfe_u32 v30, v0, 10, 10
	v_and_b32_e32 v27, 0x3ff, v0
	s_cmp_lg_u64 s[22:23], 0
	v_or_b32_e32 v0, v30, v27
	s_cselect_b64 s[12:13], -1, 0
	v_cmp_eq_u32_e32 vcc, 0, v0
	s_mov_b32 s21, 0
	s_and_b64 s[40:41], vcc, s[12:13]
	v_mov_b32_e32 v28, 0
	s_mul_i32 s10, s3, s26
	v_lshlrev_b32_e32 v26, 2, v27
	v_mov_b32_e32 v29, 0
	s_and_saveexec_b64 s[6:7], s[40:41]
	s_cbranch_execz .LBB183_9
; %bb.8:
	s_waitcnt lgkmcnt(0)
	s_mul_i32 s20, s4, s30
	s_lshl_b64 s[40:41], s[20:21], 2
	s_add_u32 s3, s22, s40
	s_mov_b32 s11, s21
	s_addc_u32 s9, s23, s41
	s_lshl_b64 s[20:21], s[10:11], 2
	s_add_u32 s11, s3, s20
	s_addc_u32 s9, s9, s21
	s_ashr_i32 s3, s2, 31
	s_lshl_b64 s[20:21], s[2:3], 2
	s_add_u32 s20, s11, s20
	s_addc_u32 s21, s9, s21
	global_load_dword v29, v26, s[20:21]
.LBB183_9:
	s_or_b64 exec, exec, s[6:7]
	s_cmp_lg_u64 s[36:37], 0
	s_cselect_b64 s[20:21], -1, 0
	s_cmp_lg_u64 s[38:39], 0
	s_cselect_b64 s[6:7], -1, 0
	s_and_b64 s[22:23], s[6:7], s[20:21]
	s_and_b64 s[40:41], vcc, s[22:23]
	s_and_saveexec_b64 s[22:23], s[40:41]
	s_cbranch_execz .LBB183_11
; %bb.10:
	s_waitcnt lgkmcnt(0)
	s_mul_i32 s40, s4, s30
	s_mov_b32 s41, 0
	s_lshl_b64 s[42:43], s[40:41], 2
	s_add_u32 s3, s38, s42
	s_mov_b32 s11, s41
	s_addc_u32 s9, s39, s43
	s_lshl_b64 s[10:11], s[10:11], 2
	s_add_u32 s31, s3, s10
	s_addc_u32 s9, s9, s11
	s_ashr_i32 s3, s2, 31
	s_lshl_b64 s[10:11], s[2:3], 2
	s_add_u32 s10, s31, s10
	s_addc_u32 s11, s9, s11
	global_load_dword v28, v26, s[10:11]
.LBB183_11:
	s_or_b64 exec, exec, s[22:23]
	v_lshl_add_u32 v0, v30, 6, v27
	s_lshr_b32 s3, s8, 8
	v_lshrrev_b32_e32 v32, 3, v0
	v_cndmask_b32_e64 v1, 0, 1, s[20:21]
	v_cmp_gt_u32_e32 vcc, s3, v32
	v_mov_b32_e32 v33, 0
	v_cmp_ne_u32_e64 s[8:9], 1, v1
	v_mov_b32_e32 v31, 0
	s_and_saveexec_b64 s[10:11], vcc
	s_cbranch_execz .LBB183_17
; %bb.12:
	s_mul_hi_u32 s21, s27, s4
	s_add_i32 s21, s4, s21
	s_waitcnt lgkmcnt(0)
	s_lshr_b32 s21, s21, s33
	s_mul_i32 s5, s5, s24
	s_mul_i32 s21, s21, s28
	;; [unrolled: 1-line block ×4, first 2 shown]
	s_add_i32 s5, s21, s5
	s_add_i32 s5, s5, s15
	s_mul_hi_u32 s15, s20, 36
	s_mul_i32 s20, s20, 36
	v_lshrrev_b32_e32 v3, 3, v0
	v_mov_b32_e32 v0, s20
	v_mov_b32_e32 v1, s15
	s_movk_i32 s15, 0x120
	s_mul_i32 s22, s4, s29
	v_mad_u64_u32 v[0:1], s[20:21], v3, s15, v[0:1]
	v_and_b32_e32 v8, 7, v27
	v_mad_u64_u32 v[0:1], s[20:21], s22, 36, v[0:1]
	v_mad_u64_u32 v[0:1], s[20:21], v8, 36, v[0:1]
	v_lshlrev_b32_e32 v2, 1, v8
	v_mov_b32_e32 v9, 0
	v_lshl_add_u64 v[0:1], v[0:1], 0, s[18:19]
	v_lshl_add_u64 v[10:11], v[0:1], 0, 16
	s_mov_b64 s[18:19], 0
	s_movk_i32 s15, 0x52
	v_mov_b64_e32 v[12:13], s[16:17]
	v_lshlrev_b32_e32 v14, 1, v2
	v_mov_b32_e32 v15, v9
	s_movk_i32 s22, 0x300
	s_movk_i32 s23, 0xff00
	s_mov_b64 s[16:17], 0x1200
	v_mov_b32_e32 v34, 5
	v_mov_b32_e32 v35, 1
	;; [unrolled: 1-line block ×5, first 2 shown]
	s_branch .LBB183_14
.LBB183_13:                             ;   in Loop: Header=BB183_14 Depth=1
	s_waitcnt vmcnt(5)
	v_bfe_u32 v44, v40, 3, 1
	v_lshlrev_b32_sdwa v41, v34, v40 dst_sel:DWORD dst_unused:UNUSED_PAD src0_sel:DWORD src1_sel:BYTE_0
	v_bfe_u32 v43, v40, 1, 7
	v_cmp_ne_u16_e32 vcc, 0, v44
	v_and_b32_e32 v42, 1, v40
	v_bfe_i32 v43, v43, 0, 1
	v_lshrrev_b16_e32 v41, 7, v41
	v_cndmask_b32_e64 v44, 0, -1, vcc
	v_sub_u16_e32 v42, 0, v42
	v_bfe_i32 v41, v41, 0, 1
	v_lshlrev_b16_e32 v43, 8, v43
	v_lshlrev_b16_e32 v44, 8, v44
	v_or_b32_sdwa v45, v42, v43 dst_sel:DWORD dst_unused:UNUSED_PAD src0_sel:BYTE_0 src1_sel:DWORD
	v_or_b32_sdwa v46, v41, v44 dst_sel:WORD_1 dst_unused:UNUSED_PAD src0_sel:BYTE_0 src1_sel:DWORD
	v_bfe_u32 v49, v40, 7, 1
	v_or_b32_sdwa v45, v45, v46 dst_sel:DWORD dst_unused:UNUSED_PAD src0_sel:WORD_0 src1_sel:DWORD
	s_waitcnt vmcnt(3)
	v_xor_b32_e32 v22, v22, v45
	v_lshlrev_b32_sdwa v46, v35, v40 dst_sel:DWORD dst_unused:UNUSED_PAD src0_sel:DWORD src1_sel:BYTE_0
	v_bfe_u32 v48, v40, 5, 3
	v_cmp_ne_u16_e32 vcc, 0, v49
	v_and_b32_e32 v45, 0xffffff00, v22
	v_bfe_i32 v48, v48, 0, 1
	v_lshrrev_b16_e32 v46, 7, v46
	v_cndmask_b32_e64 v49, 0, -1, vcc
	v_sub_i16 v43, v45, v43 clamp
	v_lshlrev_b16_e32 v45, 8, v22
	v_lshlrev_b16_e32 v42, 8, v42
	v_bfe_i32 v47, v40, 4, 1
	v_bfe_i32 v46, v46, 0, 1
	v_lshlrev_b16_e32 v48, 8, v48
	v_lshlrev_b16_e32 v49, 8, v49
	v_and_b32_e32 v43, 0xffffff00, v43
	v_sub_i16 v42, v45, v42 clamp
	v_or_b32_sdwa v50, v47, v48 dst_sel:DWORD dst_unused:UNUSED_PAD src0_sel:BYTE_0 src1_sel:DWORD
	v_or_b32_sdwa v51, v46, v49 dst_sel:WORD_1 dst_unused:UNUSED_PAD src0_sel:BYTE_0 src1_sel:DWORD
	v_or_b32_sdwa v42, v42, v43 dst_sel:DWORD dst_unused:UNUSED_PAD src0_sel:BYTE_1 src1_sel:DWORD
	v_and_b32_sdwa v43, v22, s23 dst_sel:DWORD dst_unused:UNUSED_PAD src0_sel:WORD_1 src1_sel:DWORD
	v_or_b32_sdwa v50, v50, v51 dst_sel:DWORD dst_unused:UNUSED_PAD src0_sel:WORD_0 src1_sel:DWORD
	v_sub_i16 v43, v43, v44 clamp
	v_lshlrev_b16_sdwa v22, v36, v22 dst_sel:DWORD dst_unused:UNUSED_PAD src0_sel:DWORD src1_sel:WORD_1
	v_lshlrev_b16_e32 v41, 8, v41
	v_and_b32_e32 v43, 0xffffff00, v43
	v_sub_i16 v22, v22, v41 clamp
	v_xor_b32_e32 v23, v23, v50
	v_or_b32_sdwa v22, v22, v43 dst_sel:WORD_1 dst_unused:UNUSED_PAD src0_sel:BYTE_1 src1_sel:DWORD
	v_and_b32_e32 v41, 0xffffff00, v23
	v_or_b32_sdwa v22, v42, v22 dst_sel:DWORD dst_unused:UNUSED_PAD src0_sel:WORD_0 src1_sel:DWORD
	v_sub_i16 v41, v41, v48 clamp
	v_lshlrev_b16_e32 v42, 8, v23
	v_lshlrev_b16_e32 v43, 8, v47
	v_and_b32_e32 v41, 0xffffff00, v41
	v_sub_i16 v42, v42, v43 clamp
	v_or_b32_sdwa v41, v42, v41 dst_sel:DWORD dst_unused:UNUSED_PAD src0_sel:BYTE_1 src1_sel:DWORD
	v_and_b32_sdwa v42, v23, s23 dst_sel:DWORD dst_unused:UNUSED_PAD src0_sel:WORD_1 src1_sel:DWORD
	v_sub_i16 v42, v42, v49 clamp
	v_lshlrev_b16_sdwa v23, v36, v23 dst_sel:DWORD dst_unused:UNUSED_PAD src0_sel:DWORD src1_sel:WORD_1
	v_lshlrev_b16_e32 v43, 8, v46
	v_and_b32_e32 v42, 0xffffff00, v42
	v_sub_i16 v23, v23, v43 clamp
	v_or_b32_sdwa v23, v23, v42 dst_sel:WORD_1 dst_unused:UNUSED_PAD src0_sel:BYTE_1 src1_sel:DWORD
	v_lshrrev_b32_e32 v24, 16, v40
	v_or_b32_sdwa v23, v41, v23 dst_sel:DWORD dst_unused:UNUSED_PAD src0_sel:WORD_0 src1_sel:DWORD
	v_mov_b32_e32 v41, 0
	v_dot4c_i32_i8_e32 v41, v22, v5
	v_lshrrev_b16_e32 v5, 8, v40
	v_bfe_u32 v42, v5, 3, 1
	v_dot4c_i32_i8_e32 v41, v23, v6
	v_lshlrev_b32_e32 v6, 5, v5
	v_lshrrev_b32_e32 v23, 1, v5
	v_cmp_ne_u16_e32 vcc, 0, v42
	v_lshlrev_b16_e32 v22, 7, v40
	v_bfe_i32 v23, v23, 0, 1
	v_lshrrev_b16_e32 v6, 7, v6
	v_cndmask_b32_e64 v42, 0, -1, vcc
	v_ashrrev_i16_e32 v22, 15, v22
	v_bfe_i32 v6, v6, 0, 1
	v_lshlrev_b16_e32 v23, 8, v23
	v_lshlrev_b16_e32 v42, 8, v42
	v_or_b32_sdwa v43, v22, v23 dst_sel:DWORD dst_unused:UNUSED_PAD src0_sel:BYTE_0 src1_sel:DWORD
	v_or_b32_sdwa v44, v6, v42 dst_sel:WORD_1 dst_unused:UNUSED_PAD src0_sel:BYTE_0 src1_sel:DWORD
	v_bfe_i32 v45, v5, 4, 1
	v_or_b32_sdwa v43, v43, v44 dst_sel:DWORD dst_unused:UNUSED_PAD src0_sel:WORD_0 src1_sel:DWORD
	v_lshlrev_b32_e32 v44, 1, v5
	v_lshrrev_b32_e32 v46, 5, v5
	v_lshrrev_b32_e32 v5, 7, v5
	s_waitcnt vmcnt(2)
	v_xor_b32_e32 v20, v20, v43
	v_cmp_ne_u16_e32 vcc, 0, v5
	v_and_b32_e32 v43, 0xffffff00, v20
	v_bfe_i32 v46, v46, 0, 1
	v_lshrrev_b16_e32 v44, 7, v44
	v_cndmask_b32_e64 v5, 0, -1, vcc
	v_sub_i16 v23, v43, v23 clamp
	v_lshlrev_b16_e32 v43, 8, v20
	v_lshlrev_b16_e32 v22, 8, v22
	v_bfe_i32 v44, v44, 0, 1
	v_lshlrev_b16_e32 v46, 8, v46
	v_lshlrev_b16_e32 v5, 8, v5
	v_and_b32_e32 v23, 0xffffff00, v23
	v_sub_i16 v22, v43, v22 clamp
	v_or_b32_sdwa v47, v45, v46 dst_sel:DWORD dst_unused:UNUSED_PAD src0_sel:BYTE_0 src1_sel:DWORD
	v_or_b32_sdwa v48, v44, v5 dst_sel:WORD_1 dst_unused:UNUSED_PAD src0_sel:BYTE_0 src1_sel:DWORD
	v_or_b32_sdwa v22, v22, v23 dst_sel:DWORD dst_unused:UNUSED_PAD src0_sel:BYTE_1 src1_sel:DWORD
	v_and_b32_sdwa v23, v20, s23 dst_sel:DWORD dst_unused:UNUSED_PAD src0_sel:WORD_1 src1_sel:DWORD
	v_or_b32_sdwa v47, v47, v48 dst_sel:DWORD dst_unused:UNUSED_PAD src0_sel:WORD_0 src1_sel:DWORD
	v_sub_i16 v23, v23, v42 clamp
	v_lshlrev_b16_sdwa v20, v36, v20 dst_sel:DWORD dst_unused:UNUSED_PAD src0_sel:DWORD src1_sel:WORD_1
	v_lshlrev_b16_e32 v6, 8, v6
	v_and_b32_e32 v23, 0xffffff00, v23
	v_sub_i16 v6, v20, v6 clamp
	v_xor_b32_e32 v20, v21, v47
	v_or_b32_sdwa v6, v6, v23 dst_sel:WORD_1 dst_unused:UNUSED_PAD src0_sel:BYTE_1 src1_sel:DWORD
	v_and_b32_e32 v21, 0xffffff00, v20
	v_or_b32_sdwa v6, v22, v6 dst_sel:DWORD dst_unused:UNUSED_PAD src0_sel:WORD_0 src1_sel:DWORD
	v_sub_i16 v21, v21, v46 clamp
	v_lshlrev_b16_e32 v22, 8, v20
	v_lshlrev_b16_e32 v23, 8, v45
	v_and_b32_e32 v21, 0xffffff00, v21
	v_sub_i16 v22, v22, v23 clamp
	v_or_b32_sdwa v21, v22, v21 dst_sel:DWORD dst_unused:UNUSED_PAD src0_sel:BYTE_1 src1_sel:DWORD
	v_and_b32_sdwa v22, v20, s23 dst_sel:DWORD dst_unused:UNUSED_PAD src0_sel:WORD_1 src1_sel:DWORD
	v_sub_i16 v5, v22, v5 clamp
	v_lshlrev_b16_sdwa v20, v36, v20 dst_sel:DWORD dst_unused:UNUSED_PAD src0_sel:DWORD src1_sel:WORD_1
	v_lshlrev_b16_e32 v22, 8, v44
	v_and_b32_e32 v5, 0xffffff00, v5
	v_sub_i16 v20, v20, v22 clamp
	v_or_b32_sdwa v5, v20, v5 dst_sel:WORD_1 dst_unused:UNUSED_PAD src0_sel:BYTE_1 src1_sel:DWORD
	v_dot4c_i32_i8_e32 v41, v6, v7
	v_or_b32_sdwa v5, v21, v5 dst_sel:DWORD dst_unused:UNUSED_PAD src0_sel:WORD_0 src1_sel:DWORD
	v_bfe_u32 v7, v40, 19, 1
	v_dot4c_i32_i8_e32 v41, v5, v0
	v_lshlrev_b32_sdwa v0, v34, v40 dst_sel:DWORD dst_unused:UNUSED_PAD src0_sel:DWORD src1_sel:BYTE_2
	v_bfe_u32 v6, v24, 1, 7
	v_cmp_ne_u16_e32 vcc, 0, v7
	v_and_b32_e32 v5, 1, v24
	v_bfe_i32 v6, v6, 0, 1
	v_lshrrev_b16_e32 v0, 7, v0
	v_cndmask_b32_e64 v7, 0, -1, vcc
	v_sub_u16_e32 v5, 0, v5
	v_bfe_i32 v0, v0, 0, 1
	v_lshlrev_b16_e32 v6, 8, v6
	v_lshlrev_b16_e32 v7, 8, v7
	v_or_b32_sdwa v20, v5, v6 dst_sel:DWORD dst_unused:UNUSED_PAD src0_sel:BYTE_0 src1_sel:DWORD
	v_or_b32_sdwa v21, v0, v7 dst_sel:WORD_1 dst_unused:UNUSED_PAD src0_sel:BYTE_0 src1_sel:DWORD
	v_bfe_u32 v42, v24, 7, 1
	v_or_b32_sdwa v20, v20, v21 dst_sel:DWORD dst_unused:UNUSED_PAD src0_sel:WORD_0 src1_sel:DWORD
	s_waitcnt vmcnt(1)
	v_xor_b32_e32 v18, v18, v20
	v_and_b32_e32 v20, 0xffffff00, v18
	v_sub_i16 v6, v20, v6 clamp
	v_lshlrev_b16_e32 v20, 8, v18
	v_lshlrev_b16_e32 v5, 8, v5
	v_lshlrev_b32_sdwa v21, v35, v40 dst_sel:DWORD dst_unused:UNUSED_PAD src0_sel:DWORD src1_sel:BYTE_2
	v_bfe_u32 v23, v24, 5, 3
	v_cmp_ne_u16_e32 vcc, 0, v42
	v_and_b32_e32 v6, 0xffffff00, v6
	v_sub_i16 v5, v20, v5 clamp
	v_bfe_i32 v23, v23, 0, 1
	v_lshrrev_b16_e32 v21, 7, v21
	v_cndmask_b32_e64 v42, 0, -1, vcc
	v_or_b32_sdwa v5, v5, v6 dst_sel:DWORD dst_unused:UNUSED_PAD src0_sel:BYTE_1 src1_sel:DWORD
	v_and_b32_sdwa v6, v18, s23 dst_sel:DWORD dst_unused:UNUSED_PAD src0_sel:WORD_1 src1_sel:DWORD
	v_bfe_i32 v22, v40, 20, 1
	v_bfe_i32 v21, v21, 0, 1
	v_lshlrev_b16_e32 v23, 8, v23
	v_lshlrev_b16_e32 v42, 8, v42
	v_sub_i16 v6, v6, v7 clamp
	v_lshlrev_b16_sdwa v7, v36, v18 dst_sel:DWORD dst_unused:UNUSED_PAD src0_sel:DWORD src1_sel:WORD_1
	v_lshlrev_b16_e32 v0, 8, v0
	v_or_b32_sdwa v43, v22, v23 dst_sel:DWORD dst_unused:UNUSED_PAD src0_sel:BYTE_0 src1_sel:DWORD
	v_or_b32_sdwa v44, v21, v42 dst_sel:WORD_1 dst_unused:UNUSED_PAD src0_sel:BYTE_0 src1_sel:DWORD
	v_and_b32_e32 v6, 0xffffff00, v6
	v_sub_i16 v0, v7, v0 clamp
	v_or_b32_sdwa v43, v43, v44 dst_sel:DWORD dst_unused:UNUSED_PAD src0_sel:WORD_0 src1_sel:DWORD
	v_or_b32_sdwa v0, v0, v6 dst_sel:WORD_1 dst_unused:UNUSED_PAD src0_sel:BYTE_1 src1_sel:DWORD
	v_lshlrev_b16_e32 v18, 8, v22
	v_or_b32_sdwa v0, v5, v0 dst_sel:DWORD dst_unused:UNUSED_PAD src0_sel:WORD_0 src1_sel:DWORD
	v_xor_b32_e32 v5, v19, v43
	v_and_b32_e32 v6, 0xffffff00, v5
	v_sub_i16 v6, v6, v23 clamp
	v_lshlrev_b16_e32 v7, 8, v5
	v_and_b32_e32 v6, 0xffffff00, v6
	v_sub_i16 v7, v7, v18 clamp
	v_or_b32_sdwa v6, v7, v6 dst_sel:DWORD dst_unused:UNUSED_PAD src0_sel:BYTE_1 src1_sel:DWORD
	v_and_b32_sdwa v7, v5, s23 dst_sel:DWORD dst_unused:UNUSED_PAD src0_sel:WORD_1 src1_sel:DWORD
	v_sub_i16 v7, v7, v42 clamp
	v_lshlrev_b16_sdwa v5, v36, v5 dst_sel:DWORD dst_unused:UNUSED_PAD src0_sel:DWORD src1_sel:WORD_1
	v_lshlrev_b16_e32 v18, 8, v21
	v_and_b32_e32 v7, 0xffffff00, v7
	v_sub_i16 v5, v5, v18 clamp
	v_or_b32_sdwa v5, v5, v7 dst_sel:WORD_1 dst_unused:UNUSED_PAD src0_sel:BYTE_1 src1_sel:DWORD
	v_lshrrev_b32_e32 v25, 24, v40
	v_or_b32_sdwa v5, v6, v5 dst_sel:DWORD dst_unused:UNUSED_PAD src0_sel:WORD_0 src1_sel:DWORD
	v_mov_b32_e32 v6, 0
	v_dot4c_i32_i8_e32 v6, v0, v1
	v_dot4c_i32_i8_e32 v6, v5, v2
	v_bfe_u32 v5, v40, 27, 1
	v_lshlrev_b32_e32 v0, 5, v25
	v_lshrrev_b32_e32 v2, 25, v40
	v_cmp_ne_u16_e32 vcc, 0, v5
	v_lshlrev_b16_e32 v1, 7, v24
	v_bfe_i32 v2, v2, 0, 1
	v_lshrrev_b16_e32 v0, 7, v0
	v_cndmask_b32_e64 v5, 0, -1, vcc
	v_ashrrev_i16_e32 v1, 15, v1
	v_bfe_i32 v0, v0, 0, 1
	v_lshlrev_b16_e32 v2, 8, v2
	v_lshlrev_b16_e32 v5, 8, v5
	v_or_b32_sdwa v7, v1, v2 dst_sel:DWORD dst_unused:UNUSED_PAD src0_sel:BYTE_0 src1_sel:DWORD
	v_or_b32_sdwa v18, v0, v5 dst_sel:WORD_1 dst_unused:UNUSED_PAD src0_sel:BYTE_0 src1_sel:DWORD
	v_lshrrev_b32_e32 v21, 31, v40
	v_or_b32_sdwa v7, v7, v18 dst_sel:DWORD dst_unused:UNUSED_PAD src0_sel:WORD_0 src1_sel:DWORD
	s_waitcnt vmcnt(0)
	v_xor_b32_e32 v7, v16, v7
	v_and_b32_e32 v16, 0xffffff00, v7
	v_sub_i16 v2, v16, v2 clamp
	v_lshlrev_b16_e32 v16, 8, v7
	v_lshlrev_b16_e32 v1, 8, v1
	v_lshlrev_b32_e32 v18, 1, v25
	v_lshrrev_b32_e32 v20, 29, v40
	v_cmp_ne_u16_e32 vcc, 0, v21
	v_and_b32_e32 v2, 0xffffff00, v2
	v_sub_i16 v1, v16, v1 clamp
	v_bfe_i32 v20, v20, 0, 1
	v_lshrrev_b16_e32 v18, 7, v18
	v_cndmask_b32_e64 v21, 0, -1, vcc
	v_or_b32_sdwa v1, v1, v2 dst_sel:DWORD dst_unused:UNUSED_PAD src0_sel:BYTE_1 src1_sel:DWORD
	v_and_b32_sdwa v2, v7, s23 dst_sel:DWORD dst_unused:UNUSED_PAD src0_sel:WORD_1 src1_sel:DWORD
	v_bfe_i32 v19, v25, 4, 1
	v_bfe_i32 v18, v18, 0, 1
	v_lshlrev_b16_e32 v20, 8, v20
	v_lshlrev_b16_e32 v21, 8, v21
	v_sub_i16 v2, v2, v5 clamp
	v_lshlrev_b16_sdwa v5, v36, v7 dst_sel:DWORD dst_unused:UNUSED_PAD src0_sel:DWORD src1_sel:WORD_1
	v_lshlrev_b16_e32 v0, 8, v0
	v_or_b32_sdwa v22, v19, v20 dst_sel:DWORD dst_unused:UNUSED_PAD src0_sel:BYTE_0 src1_sel:DWORD
	v_or_b32_sdwa v23, v18, v21 dst_sel:WORD_1 dst_unused:UNUSED_PAD src0_sel:BYTE_0 src1_sel:DWORD
	v_and_b32_e32 v2, 0xffffff00, v2
	v_sub_i16 v0, v5, v0 clamp
	v_or_b32_sdwa v22, v22, v23 dst_sel:DWORD dst_unused:UNUSED_PAD src0_sel:WORD_0 src1_sel:DWORD
	v_or_b32_sdwa v0, v0, v2 dst_sel:WORD_1 dst_unused:UNUSED_PAD src0_sel:BYTE_1 src1_sel:DWORD
	v_lshlrev_b16_e32 v7, 8, v19
	v_or_b32_sdwa v0, v1, v0 dst_sel:DWORD dst_unused:UNUSED_PAD src0_sel:WORD_0 src1_sel:DWORD
	v_xor_b32_e32 v1, v17, v22
	v_and_b32_e32 v2, 0xffffff00, v1
	v_sub_i16 v2, v2, v20 clamp
	v_lshlrev_b16_e32 v5, 8, v1
	v_and_b32_e32 v2, 0xffffff00, v2
	v_sub_i16 v5, v5, v7 clamp
	v_or_b32_sdwa v2, v5, v2 dst_sel:DWORD dst_unused:UNUSED_PAD src0_sel:BYTE_1 src1_sel:DWORD
	v_and_b32_sdwa v5, v1, s23 dst_sel:DWORD dst_unused:UNUSED_PAD src0_sel:WORD_1 src1_sel:DWORD
	v_sub_i16 v5, v5, v21 clamp
	v_lshlrev_b16_sdwa v1, v36, v1 dst_sel:DWORD dst_unused:UNUSED_PAD src0_sel:DWORD src1_sel:WORD_1
	v_lshlrev_b16_e32 v7, 8, v18
	v_and_b32_e32 v5, 0xffffff00, v5
	v_sub_i16 v1, v1, v7 clamp
	v_or_b32_sdwa v1, v1, v5 dst_sel:WORD_1 dst_unused:UNUSED_PAD src0_sel:BYTE_1 src1_sel:DWORD
	v_dot4c_i32_i8_e32 v6, v0, v3
	v_or_b32_sdwa v1, v2, v1 dst_sel:DWORD dst_unused:UNUSED_PAD src0_sel:WORD_0 src1_sel:DWORD
	v_dot4c_i32_i8_e32 v6, v1, v38
	v_bfe_u32 v0, v37, 4, 4
	v_and_b32_e32 v1, 15, v37
	v_mul_lo_u32 v1, v41, v1
	v_add_u32_e32 v2, v6, v41
	v_lshrrev_b32_e32 v3, 31, v2
	v_add_u32_e32 v2, v2, v3
	v_mul_lo_u32 v0, v6, v0
	v_ashrrev_i32_e32 v2, 1, v2
	v_add3_u32 v0, v0, v1, v2
	v_ashrrev_i32_e32 v1, 31, v0
	v_lshrrev_b32_e32 v1, 30, v1
	v_add_u32_e32 v0, v0, v1
	v_ashrrev_i32_e32 v0, 2, v0
	v_cvt_f32_f16_e32 v1, v39
	v_cvt_f32_i32_e32 v0, v0
	v_add_u32_e32 v32, 16, v32
	v_cmp_le_u32_e32 vcc, s3, v32
	v_mul_f32_e32 v1, v1, v4
	v_fmac_f32_e32 v33, v1, v0
	s_or_b64 s[18:19], vcc, s[18:19]
	v_lshl_add_u64 v[10:11], v[10:11], 0, s[16:17]
	s_andn2_b64 exec, exec, s[18:19]
	s_cbranch_execz .LBB183_16
.LBB183_14:                             ; =>This Inner Loop Header: Depth=1
	v_add_u32_e32 v24, s5, v32
	v_mad_i64_i32 v[16:17], s[20:21], v24, s15, v[12:13]
	v_lshl_add_u64 v[18:19], v[16:17], 0, v[14:15]
	v_lshl_add_u64 v[20:21], v[16:17], 0, v[8:9]
	global_load_dword v22, v[18:19], off offset:2
	global_load_ubyte v23, v[20:21], off offset:66
	global_load_dwordx4 v[4:7], v[10:11], off offset:-16
	global_load_dwordx4 v[0:3], v[10:11], off
	global_load_dword v38, v[10:11], off offset:16
	global_load_ubyte v37, v[20:21], off offset:74
	global_load_dword v40, v[18:19], off offset:34
	global_load_ushort v39, v[16:17], off
	s_getpc_b64 s[20:21]
	s_add_u32 s20, s20, _ZL9iq2s_grid@rel32@lo+4
	s_addc_u32 s21, s21, _ZL9iq2s_grid@rel32@hi+12
	s_and_b64 vcc, exec, s[8:9]
	s_waitcnt vmcnt(5)
	v_cvt_f32_f16_e32 v4, v4
	v_and_b32_e32 v18, 0xff, v22
	v_lshlrev_b32_e32 v19, 8, v23
	v_lshrrev_b16_e32 v16, 8, v22
	v_lshrrev_b32_e32 v17, 24, v22
	v_lshlrev_b32_e32 v20, 6, v23
	v_bfe_u32 v21, v22, 16, 8
	v_lshlrev_b32_e32 v22, 4, v23
	v_lshlrev_b32_e32 v23, 2, v23
	v_and_or_b32 v18, v19, s22, v18
	v_and_or_b32 v16, v20, s22, v16
	;; [unrolled: 1-line block ×4, first 2 shown]
	v_lshlrev_b32_e32 v25, 3, v18
	v_lshlrev_b32_e32 v41, 3, v16
	;; [unrolled: 1-line block ×4, first 2 shown]
	global_load_dwordx2 v[22:23], v25, s[20:21]
	global_load_dwordx2 v[20:21], v41, s[20:21]
	;; [unrolled: 1-line block ×4, first 2 shown]
	s_cbranch_vccnz .LBB183_13
; %bb.15:                               ;   in Loop: Header=BB183_14 Depth=1
	v_mov_b64_e32 v[42:43], s[36:37]
	v_mad_i64_i32 v[24:25], s[24:25], v24, s15, v[42:43]
	v_lshl_add_u64 v[42:43], v[24:25], 0, v[14:15]
	global_load_dword v41, v[42:43], off offset:2
	v_lshl_add_u64 v[44:45], v[24:25], 0, v[8:9]
	global_load_ubyte v48, v[44:45], off offset:66
	global_load_dword v49, v[42:43], off offset:34
	s_waitcnt vmcnt(2)
	v_and_b32_e32 v42, 0xff, v41
	s_waitcnt vmcnt(1)
	v_lshlrev_b32_e32 v43, 8, v48
	v_and_or_b32 v42, v43, s22, v42
	s_waitcnt vmcnt(0)
	v_lshlrev_b32_sdwa v43, v34, v49 dst_sel:DWORD dst_unused:UNUSED_PAD src0_sel:DWORD src1_sel:BYTE_0
	v_lshrrev_b16_e32 v43, 7, v43
	v_bfe_i32 v53, v43, 0, 1
	v_bfe_u32 v43, v49, 3, 1
	v_bfe_u32 v52, v49, 1, 7
	v_cmp_ne_u16_e32 vcc, 0, v43
	global_load_ubyte v44, v[44:45], off offset:74
	v_bfe_i32 v52, v52, 0, 1
	global_load_ushort v24, v[24:25], off
	v_and_b32_e32 v45, 1, v49
	v_cndmask_b32_e64 v43, 0, -1, vcc
	v_sub_u16_e32 v45, 0, v45
	v_lshlrev_b16_e32 v52, 8, v52
	v_lshlrev_b16_e32 v55, 8, v43
	v_or_b32_sdwa v54, v45, v52 dst_sel:DWORD dst_unused:UNUSED_PAD src0_sel:BYTE_0 src1_sel:DWORD
	v_or_b32_sdwa v43, v53, v55 dst_sel:WORD_1 dst_unused:UNUSED_PAD src0_sel:BYTE_0 src1_sel:DWORD
	v_bfe_u32 v57, v49, 5, 3
	v_or_b32_sdwa v54, v54, v43 dst_sel:DWORD dst_unused:UNUSED_PAD src0_sel:WORD_0 src1_sel:DWORD
	v_lshlrev_b32_sdwa v43, v35, v49 dst_sel:DWORD dst_unused:UNUSED_PAD src0_sel:DWORD src1_sel:BYTE_0
	v_lshrrev_b16_e32 v43, 7, v43
	v_bfe_i32 v58, v43, 0, 1
	v_bfe_u32 v43, v49, 7, 1
	v_cmp_ne_u16_e32 vcc, 0, v43
	v_bfe_i32 v57, v57, 0, 1
	v_bfe_i32 v56, v49, 4, 1
	v_cndmask_b32_e64 v43, 0, -1, vcc
	v_lshlrev_b16_e32 v57, 8, v57
	v_lshlrev_b16_e32 v60, 8, v43
	v_lshlrev_b32_e32 v42, 3, v42
	v_or_b32_sdwa v59, v56, v57 dst_sel:DWORD dst_unused:UNUSED_PAD src0_sel:BYTE_0 src1_sel:DWORD
	v_or_b32_sdwa v43, v58, v60 dst_sel:WORD_1 dst_unused:UNUSED_PAD src0_sel:BYTE_0 src1_sel:DWORD
	v_lshlrev_b16_e32 v45, 8, v45
	v_or_b32_sdwa v59, v59, v43 dst_sel:DWORD dst_unused:UNUSED_PAD src0_sel:WORD_0 src1_sel:DWORD
	global_load_dwordx2 v[42:43], v42, s[20:21]
	v_lshlrev_b16_e32 v53, 8, v53
	v_lshrrev_b16_e32 v46, 8, v41
	v_lshrrev_b32_e32 v47, 24, v41
	v_bfe_u32 v41, v41, 16, 8
	v_lshrrev_b32_e32 v50, 16, v49
	v_lshrrev_b32_e32 v51, 24, v49
	s_waitcnt vmcnt(1)
	v_cvt_f32_f16_e32 v24, v24
	v_mul_f32_e32 v24, v4, v24
	s_waitcnt vmcnt(0)
	v_xor_b32_e32 v42, v42, v54
	v_and_b32_e32 v54, 0xffffff00, v42
	v_sub_i16 v52, v54, v52 clamp
	v_lshlrev_b16_e32 v54, 8, v42
	v_and_b32_e32 v52, 0xffffff00, v52
	v_sub_i16 v45, v54, v45 clamp
	v_or_b32_sdwa v45, v45, v52 dst_sel:DWORD dst_unused:UNUSED_PAD src0_sel:BYTE_1 src1_sel:DWORD
	v_and_b32_sdwa v52, v42, s23 dst_sel:DWORD dst_unused:UNUSED_PAD src0_sel:WORD_1 src1_sel:DWORD
	v_sub_i16 v52, v52, v55 clamp
	v_lshlrev_b16_sdwa v42, v36, v42 dst_sel:DWORD dst_unused:UNUSED_PAD src0_sel:DWORD src1_sel:WORD_1
	v_and_b32_e32 v52, 0xffffff00, v52
	v_sub_i16 v42, v42, v53 clamp
	v_or_b32_sdwa v42, v42, v52 dst_sel:WORD_1 dst_unused:UNUSED_PAD src0_sel:BYTE_1 src1_sel:DWORD
	v_xor_b32_e32 v43, v43, v59
	v_or_b32_sdwa v42, v45, v42 dst_sel:DWORD dst_unused:UNUSED_PAD src0_sel:WORD_0 src1_sel:DWORD
	v_and_b32_e32 v45, 0xffffff00, v43
	v_sub_i16 v45, v45, v57 clamp
	v_lshlrev_b16_e32 v52, 8, v43
	v_lshlrev_b16_e32 v53, 8, v56
	v_and_b32_e32 v45, 0xffffff00, v45
	v_sub_i16 v52, v52, v53 clamp
	v_or_b32_sdwa v45, v52, v45 dst_sel:DWORD dst_unused:UNUSED_PAD src0_sel:BYTE_1 src1_sel:DWORD
	v_and_b32_sdwa v52, v43, s23 dst_sel:DWORD dst_unused:UNUSED_PAD src0_sel:WORD_1 src1_sel:DWORD
	v_sub_i16 v52, v52, v60 clamp
	v_lshlrev_b16_sdwa v43, v36, v43 dst_sel:DWORD dst_unused:UNUSED_PAD src0_sel:DWORD src1_sel:WORD_1
	v_lshlrev_b16_e32 v53, 8, v58
	v_and_b32_e32 v52, 0xffffff00, v52
	v_sub_i16 v43, v43, v53 clamp
	v_or_b32_sdwa v43, v43, v52 dst_sel:WORD_1 dst_unused:UNUSED_PAD src0_sel:BYTE_1 src1_sel:DWORD
	v_lshlrev_b16_e32 v52, 7, v49
	v_or_b32_sdwa v43, v45, v43 dst_sel:DWORD dst_unused:UNUSED_PAD src0_sel:WORD_0 src1_sel:DWORD
	v_mov_b32_e32 v45, 0
	v_dot4c_i32_i8_e32 v45, v42, v5
	v_dot4c_i32_i8_e32 v45, v43, v6
	v_lshrrev_b16_e32 v43, 8, v49
	v_lshlrev_b32_e32 v42, 6, v48
	v_bfe_u32 v54, v43, 3, 1
	v_and_or_b32 v42, v42, s22, v46
	v_lshlrev_b32_e32 v46, 5, v43
	v_lshrrev_b32_e32 v53, 1, v43
	v_cmp_ne_u16_e32 vcc, 0, v54
	v_bfe_i32 v53, v53, 0, 1
	v_lshrrev_b16_e32 v46, 7, v46
	v_cndmask_b32_e64 v54, 0, -1, vcc
	v_ashrrev_i16_e32 v52, 15, v52
	v_bfe_i32 v46, v46, 0, 1
	v_lshlrev_b16_e32 v53, 8, v53
	v_lshlrev_b16_e32 v54, 8, v54
	v_or_b32_sdwa v55, v52, v53 dst_sel:DWORD dst_unused:UNUSED_PAD src0_sel:BYTE_0 src1_sel:DWORD
	v_or_b32_sdwa v56, v46, v54 dst_sel:WORD_1 dst_unused:UNUSED_PAD src0_sel:BYTE_0 src1_sel:DWORD
	v_bfe_i32 v57, v43, 4, 1
	v_or_b32_sdwa v55, v55, v56 dst_sel:DWORD dst_unused:UNUSED_PAD src0_sel:WORD_0 src1_sel:DWORD
	v_lshlrev_b32_e32 v56, 1, v43
	v_lshrrev_b32_e32 v58, 5, v43
	v_lshrrev_b32_e32 v43, 7, v43
	v_cmp_ne_u16_e32 vcc, 0, v43
	v_bfe_i32 v58, v58, 0, 1
	v_lshrrev_b16_e32 v56, 7, v56
	v_cndmask_b32_e64 v43, 0, -1, vcc
	v_bfe_i32 v56, v56, 0, 1
	v_lshlrev_b16_e32 v58, 8, v58
	v_lshlrev_b16_e32 v60, 8, v43
	v_lshlrev_b32_e32 v42, 3, v42
	v_or_b32_sdwa v59, v57, v58 dst_sel:DWORD dst_unused:UNUSED_PAD src0_sel:BYTE_0 src1_sel:DWORD
	v_or_b32_sdwa v43, v56, v60 dst_sel:WORD_1 dst_unused:UNUSED_PAD src0_sel:BYTE_0 src1_sel:DWORD
	v_lshlrev_b16_e32 v52, 8, v52
	v_or_b32_sdwa v59, v59, v43 dst_sel:DWORD dst_unused:UNUSED_PAD src0_sel:WORD_0 src1_sel:DWORD
	global_load_dwordx2 v[42:43], v42, s[20:21]
	v_lshlrev_b16_e32 v46, 8, v46
	s_waitcnt vmcnt(0)
	v_xor_b32_e32 v42, v42, v55
	v_and_b32_e32 v55, 0xffffff00, v42
	v_sub_i16 v53, v55, v53 clamp
	v_lshlrev_b16_e32 v55, 8, v42
	v_and_b32_e32 v53, 0xffffff00, v53
	v_sub_i16 v52, v55, v52 clamp
	v_or_b32_sdwa v52, v52, v53 dst_sel:DWORD dst_unused:UNUSED_PAD src0_sel:BYTE_1 src1_sel:DWORD
	v_and_b32_sdwa v53, v42, s23 dst_sel:DWORD dst_unused:UNUSED_PAD src0_sel:WORD_1 src1_sel:DWORD
	v_sub_i16 v53, v53, v54 clamp
	v_lshlrev_b16_sdwa v42, v36, v42 dst_sel:DWORD dst_unused:UNUSED_PAD src0_sel:DWORD src1_sel:WORD_1
	v_and_b32_e32 v53, 0xffffff00, v53
	v_sub_i16 v42, v42, v46 clamp
	v_xor_b32_e32 v43, v43, v59
	v_or_b32_sdwa v42, v42, v53 dst_sel:WORD_1 dst_unused:UNUSED_PAD src0_sel:BYTE_1 src1_sel:DWORD
	v_and_b32_e32 v46, 0xffffff00, v43
	v_or_b32_sdwa v42, v52, v42 dst_sel:DWORD dst_unused:UNUSED_PAD src0_sel:WORD_0 src1_sel:DWORD
	v_sub_i16 v46, v46, v58 clamp
	v_lshlrev_b16_e32 v52, 8, v43
	v_lshlrev_b16_e32 v53, 8, v57
	v_and_b32_e32 v46, 0xffffff00, v46
	v_sub_i16 v52, v52, v53 clamp
	v_or_b32_sdwa v46, v52, v46 dst_sel:DWORD dst_unused:UNUSED_PAD src0_sel:BYTE_1 src1_sel:DWORD
	v_and_b32_sdwa v52, v43, s23 dst_sel:DWORD dst_unused:UNUSED_PAD src0_sel:WORD_1 src1_sel:DWORD
	v_sub_i16 v52, v52, v60 clamp
	v_lshlrev_b16_sdwa v43, v36, v43 dst_sel:DWORD dst_unused:UNUSED_PAD src0_sel:DWORD src1_sel:WORD_1
	v_lshlrev_b16_e32 v53, 8, v56
	v_and_b32_e32 v52, 0xffffff00, v52
	v_sub_i16 v43, v43, v53 clamp
	v_dot4c_i32_i8_e32 v45, v42, v7
	v_lshlrev_b32_e32 v42, 4, v48
	v_or_b32_sdwa v43, v43, v52 dst_sel:WORD_1 dst_unused:UNUSED_PAD src0_sel:BYTE_1 src1_sel:DWORD
	v_and_or_b32 v41, v42, s22, v41
	v_lshlrev_b32_sdwa v42, v34, v49 dst_sel:DWORD dst_unused:UNUSED_PAD src0_sel:DWORD src1_sel:BYTE_2
	v_or_b32_sdwa v43, v46, v43 dst_sel:DWORD dst_unused:UNUSED_PAD src0_sel:WORD_0 src1_sel:DWORD
	v_lshrrev_b16_e32 v42, 7, v42
	v_dot4c_i32_i8_e32 v45, v43, v0
	v_and_b32_e32 v43, 1, v50
	v_bfe_i32 v52, v42, 0, 1
	v_bfe_u32 v42, v49, 19, 1
	v_sub_u16_e32 v46, 0, v43
	v_bfe_u32 v43, v50, 1, 7
	v_cmp_ne_u16_e32 vcc, 0, v42
	v_bfe_i32 v43, v43, 0, 1
	v_lshlrev_b16_e32 v53, 8, v43
	v_cndmask_b32_e64 v42, 0, -1, vcc
	v_lshlrev_b16_e32 v54, 8, v42
	v_or_b32_sdwa v43, v46, v53 dst_sel:DWORD dst_unused:UNUSED_PAD src0_sel:BYTE_0 src1_sel:DWORD
	v_or_b32_sdwa v42, v52, v54 dst_sel:WORD_1 dst_unused:UNUSED_PAD src0_sel:BYTE_0 src1_sel:DWORD
	v_bfe_i32 v56, v49, 20, 1
	v_or_b32_sdwa v55, v43, v42 dst_sel:DWORD dst_unused:UNUSED_PAD src0_sel:WORD_0 src1_sel:DWORD
	v_lshlrev_b32_sdwa v42, v35, v49 dst_sel:DWORD dst_unused:UNUSED_PAD src0_sel:DWORD src1_sel:BYTE_2
	v_lshrrev_b16_e32 v42, 7, v42
	v_bfe_i32 v57, v42, 0, 1
	v_bfe_u32 v42, v50, 7, 1
	v_bfe_u32 v43, v50, 5, 3
	v_cmp_ne_u16_e32 vcc, 0, v42
	v_bfe_i32 v43, v43, 0, 1
	v_lshlrev_b16_e32 v58, 8, v43
	v_cndmask_b32_e64 v42, 0, -1, vcc
	v_lshlrev_b16_e32 v59, 8, v42
	v_lshlrev_b32_e32 v41, 3, v41
	v_or_b32_sdwa v43, v56, v58 dst_sel:DWORD dst_unused:UNUSED_PAD src0_sel:BYTE_0 src1_sel:DWORD
	v_or_b32_sdwa v42, v57, v59 dst_sel:WORD_1 dst_unused:UNUSED_PAD src0_sel:BYTE_0 src1_sel:DWORD
	v_lshlrev_b16_e32 v46, 8, v46
	v_or_b32_sdwa v60, v43, v42 dst_sel:DWORD dst_unused:UNUSED_PAD src0_sel:WORD_0 src1_sel:DWORD
	global_load_dwordx2 v[42:43], v41, s[20:21]
	v_lshlrev_b16_e32 v52, 8, v52
	s_waitcnt vmcnt(0)
	v_xor_b32_e32 v41, v42, v55
	v_and_b32_e32 v42, 0xffffff00, v41
	v_sub_i16 v42, v42, v53 clamp
	v_lshlrev_b16_e32 v53, 8, v41
	v_and_b32_e32 v42, 0xffffff00, v42
	v_sub_i16 v46, v53, v46 clamp
	v_or_b32_sdwa v42, v46, v42 dst_sel:DWORD dst_unused:UNUSED_PAD src0_sel:BYTE_1 src1_sel:DWORD
	v_and_b32_sdwa v46, v41, s23 dst_sel:DWORD dst_unused:UNUSED_PAD src0_sel:WORD_1 src1_sel:DWORD
	v_sub_i16 v46, v46, v54 clamp
	v_lshlrev_b16_sdwa v41, v36, v41 dst_sel:DWORD dst_unused:UNUSED_PAD src0_sel:DWORD src1_sel:WORD_1
	v_and_b32_e32 v46, 0xffffff00, v46
	v_sub_i16 v41, v41, v52 clamp
	v_or_b32_sdwa v41, v41, v46 dst_sel:WORD_1 dst_unused:UNUSED_PAD src0_sel:BYTE_1 src1_sel:DWORD
	v_lshlrev_b16_e32 v52, 8, v56
	v_or_b32_sdwa v41, v42, v41 dst_sel:DWORD dst_unused:UNUSED_PAD src0_sel:WORD_0 src1_sel:DWORD
	v_xor_b32_e32 v42, v43, v60
	v_and_b32_e32 v43, 0xffffff00, v42
	v_sub_i16 v43, v43, v58 clamp
	v_lshlrev_b16_e32 v46, 8, v42
	v_and_b32_e32 v43, 0xffffff00, v43
	v_sub_i16 v46, v46, v52 clamp
	v_or_b32_sdwa v43, v46, v43 dst_sel:DWORD dst_unused:UNUSED_PAD src0_sel:BYTE_1 src1_sel:DWORD
	v_and_b32_sdwa v46, v42, s23 dst_sel:DWORD dst_unused:UNUSED_PAD src0_sel:WORD_1 src1_sel:DWORD
	v_sub_i16 v46, v46, v59 clamp
	v_lshlrev_b16_sdwa v42, v36, v42 dst_sel:DWORD dst_unused:UNUSED_PAD src0_sel:DWORD src1_sel:WORD_1
	v_lshlrev_b16_e32 v52, 8, v57
	v_and_b32_e32 v46, 0xffffff00, v46
	v_sub_i16 v42, v42, v52 clamp
	v_or_b32_sdwa v42, v42, v46 dst_sel:WORD_1 dst_unused:UNUSED_PAD src0_sel:BYTE_1 src1_sel:DWORD
	v_mov_b32_e32 v46, 0
	v_or_b32_sdwa v42, v43, v42 dst_sel:DWORD dst_unused:UNUSED_PAD src0_sel:WORD_0 src1_sel:DWORD
	v_dot4c_i32_i8_e32 v46, v41, v1
	v_dot4c_i32_i8_e32 v46, v42, v2
	v_lshlrev_b32_e32 v42, 5, v51
	v_lshrrev_b16_e32 v42, 7, v42
	v_lshlrev_b32_e32 v41, 2, v48
	v_lshlrev_b16_e32 v43, 7, v50
	v_bfe_i32 v48, v42, 0, 1
	v_bfe_u32 v42, v49, 27, 1
	v_and_or_b32 v41, v41, s22, v47
	v_ashrrev_i16_e32 v47, 15, v43
	v_lshrrev_b32_e32 v43, 25, v49
	v_cmp_ne_u16_e32 vcc, 0, v42
	v_bfe_i32 v43, v43, 0, 1
	v_lshlrev_b16_e32 v50, 8, v43
	v_cndmask_b32_e64 v42, 0, -1, vcc
	v_lshlrev_b16_e32 v52, 8, v42
	v_or_b32_sdwa v43, v47, v50 dst_sel:DWORD dst_unused:UNUSED_PAD src0_sel:BYTE_0 src1_sel:DWORD
	v_or_b32_sdwa v42, v48, v52 dst_sel:WORD_1 dst_unused:UNUSED_PAD src0_sel:BYTE_0 src1_sel:DWORD
	v_lshlrev_b32_e32 v41, 3, v41
	v_or_b32_sdwa v53, v43, v42 dst_sel:DWORD dst_unused:UNUSED_PAD src0_sel:WORD_0 src1_sel:DWORD
	v_lshlrev_b32_e32 v42, 1, v51
	v_lshrrev_b16_e32 v42, 7, v42
	v_bfe_i32 v54, v42, 0, 1
	v_lshrrev_b32_e32 v42, 31, v49
	v_lshrrev_b32_e32 v43, 29, v49
	v_cmp_ne_u16_e32 vcc, 0, v42
	v_bfe_i32 v43, v43, 0, 1
	v_bfe_i32 v51, v51, 4, 1
	v_cndmask_b32_e64 v42, 0, -1, vcc
	v_lshlrev_b16_e32 v49, 8, v43
	v_lshlrev_b16_e32 v55, 8, v42
	v_or_b32_sdwa v43, v51, v49 dst_sel:DWORD dst_unused:UNUSED_PAD src0_sel:BYTE_0 src1_sel:DWORD
	v_or_b32_sdwa v42, v54, v55 dst_sel:WORD_1 dst_unused:UNUSED_PAD src0_sel:BYTE_0 src1_sel:DWORD
	v_lshlrev_b16_e32 v47, 8, v47
	v_or_b32_sdwa v56, v43, v42 dst_sel:DWORD dst_unused:UNUSED_PAD src0_sel:WORD_0 src1_sel:DWORD
	global_load_dwordx2 v[42:43], v41, s[20:21]
	v_lshlrev_b16_e32 v48, 8, v48
	s_waitcnt vmcnt(0)
	v_xor_b32_e32 v41, v42, v53
	v_and_b32_e32 v42, 0xffffff00, v41
	v_sub_i16 v42, v42, v50 clamp
	v_lshlrev_b16_e32 v50, 8, v41
	v_and_b32_e32 v42, 0xffffff00, v42
	v_sub_i16 v47, v50, v47 clamp
	v_or_b32_sdwa v42, v47, v42 dst_sel:DWORD dst_unused:UNUSED_PAD src0_sel:BYTE_1 src1_sel:DWORD
	v_and_b32_sdwa v47, v41, s23 dst_sel:DWORD dst_unused:UNUSED_PAD src0_sel:WORD_1 src1_sel:DWORD
	v_sub_i16 v47, v47, v52 clamp
	v_lshlrev_b16_sdwa v41, v36, v41 dst_sel:DWORD dst_unused:UNUSED_PAD src0_sel:DWORD src1_sel:WORD_1
	v_and_b32_e32 v47, 0xffffff00, v47
	v_sub_i16 v41, v41, v48 clamp
	v_or_b32_sdwa v41, v41, v47 dst_sel:WORD_1 dst_unused:UNUSED_PAD src0_sel:BYTE_1 src1_sel:DWORD
	v_lshlrev_b16_e32 v48, 8, v51
	v_or_b32_sdwa v41, v42, v41 dst_sel:DWORD dst_unused:UNUSED_PAD src0_sel:WORD_0 src1_sel:DWORD
	v_xor_b32_e32 v42, v43, v56
	v_and_b32_e32 v43, 0xffffff00, v42
	v_sub_i16 v43, v43, v49 clamp
	v_lshlrev_b16_e32 v47, 8, v42
	v_and_b32_e32 v43, 0xffffff00, v43
	v_sub_i16 v47, v47, v48 clamp
	v_or_b32_sdwa v43, v47, v43 dst_sel:DWORD dst_unused:UNUSED_PAD src0_sel:BYTE_1 src1_sel:DWORD
	v_and_b32_sdwa v47, v42, s23 dst_sel:DWORD dst_unused:UNUSED_PAD src0_sel:WORD_1 src1_sel:DWORD
	v_sub_i16 v47, v47, v55 clamp
	v_lshlrev_b16_sdwa v42, v36, v42 dst_sel:DWORD dst_unused:UNUSED_PAD src0_sel:DWORD src1_sel:WORD_1
	v_lshlrev_b16_e32 v48, 8, v54
	v_and_b32_e32 v47, 0xffffff00, v47
	v_sub_i16 v42, v42, v48 clamp
	v_or_b32_sdwa v42, v42, v47 dst_sel:WORD_1 dst_unused:UNUSED_PAD src0_sel:BYTE_1 src1_sel:DWORD
	v_dot4c_i32_i8_e32 v46, v41, v3
	v_or_b32_sdwa v42, v43, v42 dst_sel:DWORD dst_unused:UNUSED_PAD src0_sel:WORD_0 src1_sel:DWORD
	v_dot4c_i32_i8_e32 v46, v42, v38
	v_lshrrev_b32_e32 v41, 4, v44
	v_and_b32_e32 v42, 15, v44
	v_mul_lo_u32 v42, v45, v42
	v_add_u32_e32 v43, v46, v45
	v_lshrrev_b32_e32 v44, 31, v43
	v_add_u32_e32 v43, v43, v44
	v_mul_lo_u32 v41, v46, v41
	v_ashrrev_i32_e32 v43, 1, v43
	v_add3_u32 v41, v41, v42, v43
	v_ashrrev_i32_e32 v42, 31, v41
	v_lshrrev_b32_e32 v42, 30, v42
	v_add_u32_e32 v41, v41, v42
	v_ashrrev_i32_e32 v41, 2, v41
	v_cvt_f32_i32_e32 v25, v41
	v_fmac_f32_e32 v31, v24, v25
	s_branch .LBB183_13
.LBB183_16:
	s_or_b64 exec, exec, s[18:19]
.LBB183_17:
	s_or_b64 exec, exec, s[10:11]
	s_load_dword s3, s[0:1], 0x30
	v_cmp_eq_u32_e64 s[10:11], 0, v30
	v_cmp_ne_u32_e32 vcc, 0, v30
	s_and_saveexec_b64 s[16:17], vcc
	s_cbranch_execz .LBB183_20
; %bb.18:
	v_add_u32_e32 v0, -1, v30
	v_lshl_add_u32 v0, v0, 8, v26
	s_and_b64 vcc, exec, s[8:9]
	ds_write_b32 v0, v33
	s_cbranch_vccnz .LBB183_20
; %bb.19:
	ds_write_b32 v0, v31 offset:256
.LBB183_20:
	s_or_b64 exec, exec, s[16:17]
	s_waitcnt lgkmcnt(0)
	s_barrier
	s_and_saveexec_b64 s[16:17], s[10:11]
	s_cbranch_execz .LBB183_49
; %bb.21:
	ds_read_b32 v0, v26
	s_and_b64 vcc, exec, s[8:9]
	s_cbranch_vccnz .LBB183_23
; %bb.22:
	ds_read_b32 v1, v26 offset:256
	s_waitcnt lgkmcnt(0)
	v_add_f32_e32 v31, v31, v1
.LBB183_23:
	s_waitcnt lgkmcnt(0)
	v_add_f32_e32 v1, v33, v0
	v_mbcnt_lo_u32_b32 v0, -1, 0
	v_mbcnt_hi_u32_b32 v4, -1, v0
	v_and_b32_e32 v0, 64, v4
	v_add_u32_e32 v7, 64, v0
	v_xor_b32_e32 v0, 32, v4
	v_cmp_lt_i32_e32 vcc, v0, v7
	v_xor_b32_e32 v3, 16, v4
	v_xor_b32_e32 v5, 8, v4
	v_cndmask_b32_e32 v0, v4, v0, vcc
	v_lshlrev_b32_e32 v0, 2, v0
	ds_bpermute_b32 v2, v0, v1
	v_cmp_lt_i32_e32 vcc, v3, v7
	v_xor_b32_e32 v6, 4, v4
	v_xor_b32_e32 v8, 2, v4
	;; [unrolled: 1-line block ×3, first 2 shown]
	s_waitcnt lgkmcnt(0)
	v_add_f32_e32 v2, v1, v2
	v_cndmask_b32_e32 v1, v4, v3, vcc
	v_lshlrev_b32_e32 v1, 2, v1
	ds_bpermute_b32 v3, v1, v2
	v_cmp_lt_i32_e32 vcc, v5, v7
	s_waitcnt lgkmcnt(0)
	v_add_f32_e32 v2, v2, v3
	v_cndmask_b32_e32 v3, v4, v5, vcc
	v_lshlrev_b32_e32 v3, 2, v3
	ds_bpermute_b32 v5, v3, v2
	v_cmp_lt_i32_e32 vcc, v6, v7
	;; [unrolled: 6-line block ×4, first 2 shown]
	s_waitcnt lgkmcnt(0)
	v_add_f32_e32 v2, v2, v8
	v_cndmask_b32_e32 v4, v4, v9, vcc
	v_lshlrev_b32_e32 v7, 2, v4
	ds_bpermute_b32 v4, v7, v2
	s_and_b64 vcc, exec, s[8:9]
	s_cbranch_vccnz .LBB183_25
; %bb.24:
	ds_bpermute_b32 v0, v0, v31
	s_waitcnt lgkmcnt(0)
	v_add_f32_e32 v0, v31, v0
	ds_bpermute_b32 v1, v1, v0
	s_waitcnt lgkmcnt(0)
	v_add_f32_e32 v0, v0, v1
	;; [unrolled: 3-line block ×6, first 2 shown]
.LBB183_25:
	v_cmp_eq_u32_e32 vcc, 0, v27
	s_and_b64 exec, exec, vcc
	s_cbranch_execz .LBB183_49
; %bb.26:
	s_waitcnt lgkmcnt(0)
	v_add_f32_e32 v0, v2, v4
	s_waitcnt vmcnt(0)
	v_add_f32_e32 v1, v29, v0
	s_and_b64 vcc, exec, s[8:9]
	v_cndmask_b32_e64 v0, v0, v1, s[12:13]
	s_cbranch_vccnz .LBB183_48
; %bb.27:
	v_add_f32_e32 v1, v28, v31
	v_cndmask_b32_e64 v1, v31, v1, s[6:7]
	s_cmp_lt_i32 s3, 2
	s_mov_b64 s[6:7], 0
	s_cbranch_scc1 .LBB183_31
; %bb.28:
	s_cmp_gt_i32 s3, 2
	s_cbranch_scc0 .LBB183_32
; %bb.29:
	s_cmp_eq_u32 s3, 3
	s_cbranch_scc0 .LBB183_33
; %bb.30:
	v_max_f32_e32 v2, v1, v1
	v_min_f32_e32 v4, 0x40e00000, v2
	v_mul_f32_e32 v3, 0xbfd9db23, v4
	s_mov_b32 s5, 0x3fb8aa3b
	v_mul_f32_e32 v2, 0x3fb8aa3b, v3
	v_fma_f32 v5, v3, s5, -v2
	v_rndne_f32_e32 v6, v2
	v_fmamk_f32 v5, v3, 0x32a5705f, v5
	v_sub_f32_e32 v2, v2, v6
	v_add_f32_e32 v2, v2, v5
	v_exp_f32_e32 v5, v2
	v_cvt_i32_f32_e32 v6, v6
	s_mov_b32 s5, 0xc2ce8ed0
	v_max_f32_e32 v2, v0, v0
	v_cmp_ngt_f32_e32 vcc, s5, v3
	v_ldexp_f32 v5, v5, v6
	s_mov_b32 s5, 0x42b17218
	v_min_f32_e32 v2, 0x40e00000, v2
	v_cndmask_b32_e32 v5, 0, v5, vcc
	v_mov_b32_e32 v6, 0x7f800000
	v_cmp_nlt_f32_e32 vcc, s5, v3
	v_max_f32_e32 v2, 0xc0e00000, v2
	s_nop 0
	v_cndmask_b32_e32 v3, v6, v5, vcc
	v_pk_add_f32 v[2:3], v[2:3], 1.0 op_sel_hi:[1,0]
	s_nop 0
	v_div_scale_f32 v5, s[8:9], v3, v3, v4
	v_rcp_f32_e32 v6, v5
	s_mov_b64 s[8:9], 0
	v_fma_f32 v7, -v5, v6, 1.0
	v_fmac_f32_e32 v6, v7, v6
	v_div_scale_f32 v7, vcc, v4, v3, v4
	v_mul_f32_e32 v8, v7, v6
	v_fma_f32 v9, -v5, v8, v7
	v_fmac_f32_e32 v8, v9, v6
	v_fma_f32 v5, -v5, v8, v7
	v_div_fmas_f32 v5, v5, v6, v8
	v_div_fixup_f32 v3, v5, v3, v4
	v_mul_f32_e32 v2, v2, v3
	s_branch .LBB183_34
.LBB183_31:
                                        ; implicit-def: $vgpr2
	s_mov_b64 s[8:9], 0
	s_cbranch_execnz .LBB183_38
	s_branch .LBB183_39
.LBB183_32:
	s_mov_b64 s[10:11], -1
	s_mov_b64 s[8:9], 0
                                        ; implicit-def: $vgpr2
	s_branch .LBB183_35
.LBB183_33:
	s_mov_b64 s[8:9], -1
                                        ; implicit-def: $vgpr2
.LBB183_34:
	s_mov_b64 s[10:11], 0
.LBB183_35:
	s_and_b64 vcc, exec, s[10:11]
	s_cbranch_vccz .LBB183_37
; %bb.36:
	v_mul_f32_e32 v2, 0xbfb8aa3b, v1
	s_mov_b32 s5, 0xbfb8aa3b
	v_rndne_f32_e32 v3, v2
	v_sub_f32_e32 v4, v2, v3
	v_fma_f32 v2, v1, s5, -v2
	v_fmamk_f32 v2, v1, 0xb2a5705f, v2
	v_add_f32_e32 v2, v4, v2
	v_exp_f32_e32 v2, v2
	v_cvt_i32_f32_e32 v3, v3
	s_mov_b32 s5, 0x42ce8ed0
	v_cmp_nlt_f32_e32 vcc, s5, v1
	s_mov_b32 s5, 0xc2b17218
	v_ldexp_f32 v2, v2, v3
	v_cndmask_b32_e32 v2, 0, v2, vcc
	v_mov_b32_e32 v3, 0x7f800000
	v_cmp_ngt_f32_e32 vcc, s5, v1
	s_nop 1
	v_cndmask_b32_e32 v2, v3, v2, vcc
	v_add_f32_e32 v2, 1.0, v2
	v_div_scale_f32 v3, s[10:11], v2, v2, v1
	v_rcp_f32_e32 v4, v3
	s_nop 0
	v_fma_f32 v5, -v3, v4, 1.0
	v_fmac_f32_e32 v4, v5, v4
	v_div_scale_f32 v5, vcc, v1, v2, v1
	v_mul_f32_e32 v6, v5, v4
	v_fma_f32 v7, -v3, v6, v5
	v_fmac_f32_e32 v6, v7, v4
	v_fma_f32 v3, -v3, v6, v5
	v_div_fmas_f32 v3, v3, v4, v6
	v_div_fixup_f32 v2, v3, v2, v1
	v_mul_f32_e32 v2, v0, v2
.LBB183_37:
	s_branch .LBB183_39
.LBB183_38:
	s_cmp_lg_u32 s3, 1
	s_mov_b64 s[6:7], -1
	s_cselect_b64 s[8:9], -1, 0
                                        ; implicit-def: $vgpr2
.LBB183_39:
	s_andn2_b64 vcc, exec, s[8:9]
	s_cbranch_vccz .LBB183_41
; %bb.40:
	s_andn2_b64 vcc, exec, s[6:7]
	s_cbranch_vccz .LBB183_42
	s_branch .LBB183_47
.LBB183_41:
	v_mul_f32_e32 v2, v0, v1
	s_cbranch_execnz .LBB183_47
.LBB183_42:
	v_mul_f32_e32 v3, 0x3d372713, v1
	v_mul_f32_e32 v2, 0x3f4c422a, v1
	v_fma_f32 v3, v1, v3, 1.0
	v_mul_f32_e32 v2, v2, v3
	s_mov_b32 s3, 0x3f200000
	v_cmp_nlt_f32_e64 s[6:7], |v2|, s3
                                        ; implicit-def: $vgpr3
	s_and_saveexec_b64 s[8:9], s[6:7]
	s_xor_b64 s[6:7], exec, s[8:9]
	s_cbranch_execz .LBB183_44
; %bb.43:
	v_add_f32_e64 v3, |v2|, |v2|
	v_mul_f32_e32 v4, 0x3fb8aa3b, v3
	s_mov_b32 s3, 0x3fb8aa3b
	v_rndne_f32_e32 v5, v4
	v_sub_f32_e32 v6, v4, v5
	v_fma_f32 v4, v3, s3, -v4
	v_fmamk_f32 v4, v3, 0x32a5705f, v4
	v_add_f32_e32 v4, v6, v4
	v_exp_f32_e32 v4, v4
	v_cvt_i32_f32_e32 v5, v5
	s_mov_b32 s3, 0xc2ce8ed0
	v_cmp_ngt_f32_e32 vcc, s3, v3
	s_mov_b32 s3, 0x42b17218
	v_ldexp_f32 v4, v4, v5
	v_cndmask_b32_e32 v4, 0, v4, vcc
	v_mov_b32_e32 v5, 0x7f800000
	v_cmp_nlt_f32_e32 vcc, s3, v3
	s_nop 1
	v_cndmask_b32_e32 v3, v5, v4, vcc
	v_add_f32_e32 v3, 1.0, v3
	v_rcp_f32_e32 v3, v3
	s_nop 0
	v_fma_f32 v3, v3, -2.0, 1.0
.LBB183_44:
	s_andn2_saveexec_b64 s[6:7], s[6:7]
; %bb.45:
	v_mul_f32_e32 v3, v2, v2
	v_mov_b32_e32 v4, 0x3ca908c9
	v_fmac_f32_e32 v4, 0xbbbac73d, v3
	v_fmaak_f32 v4, v3, v4, 0xbd5c1c4e
	v_fmaak_f32 v4, v3, v4, 0x3e088382
	;; [unrolled: 1-line block ×3, first 2 shown]
	v_mul_f32_e64 v4, |v2|, v4
	v_fma_f32 v3, v3, v4, |v2|
; %bb.46:
	s_or_b64 exec, exec, s[6:7]
	s_brev_b32 s3, -2
	v_bfi_b32 v2, s3, v3, v2
	v_mul_f32_e32 v1, 0.5, v1
	v_add_f32_e32 v2, 1.0, v2
	v_mul_f32_e32 v1, v1, v2
	v_mul_f32_e32 v2, v0, v1
.LBB183_47:
	v_mov_b32_e32 v0, v2
.LBB183_48:
	s_load_dwordx2 s[0:1], s[0:1], 0x38
	s_mul_i32 s3, s14, s26
	s_mul_i32 s4, s4, s30
	s_add_i32 s2, s3, s2
	s_add_i32 s2, s2, s4
	s_mov_b32 s3, 0
	s_lshl_b64 s[2:3], s[2:3], 2
	s_waitcnt lgkmcnt(0)
	s_add_u32 s0, s0, s2
	s_addc_u32 s1, s1, s3
	global_store_dword v26, v0, s[0:1]
.LBB183_49:
	s_endpgm
	.section	.rodata,"a",@progbits
	.p2align	6, 0x0
	.amdhsa_kernel _ZL13mul_mat_vec_qIL9ggml_type22ELi1ELb1ELb0EEvPKvS2_PKi31ggml_cuda_mm_fusion_args_devicePfj15HIP_vector_typeIjLj3EEjjjS8_jjjS8_jjjj
		.amdhsa_group_segment_fixed_size 512
		.amdhsa_private_segment_fixed_size 0
		.amdhsa_kernarg_size 144
		.amdhsa_user_sgpr_count 2
		.amdhsa_user_sgpr_dispatch_ptr 0
		.amdhsa_user_sgpr_queue_ptr 0
		.amdhsa_user_sgpr_kernarg_segment_ptr 1
		.amdhsa_user_sgpr_dispatch_id 0
		.amdhsa_user_sgpr_kernarg_preload_length 0
		.amdhsa_user_sgpr_kernarg_preload_offset 0
		.amdhsa_user_sgpr_private_segment_size 0
		.amdhsa_uses_dynamic_stack 0
		.amdhsa_enable_private_segment 0
		.amdhsa_system_sgpr_workgroup_id_x 1
		.amdhsa_system_sgpr_workgroup_id_y 1
		.amdhsa_system_sgpr_workgroup_id_z 1
		.amdhsa_system_sgpr_workgroup_info 0
		.amdhsa_system_vgpr_workitem_id 1
		.amdhsa_next_free_vgpr 61
		.amdhsa_next_free_sgpr 44
		.amdhsa_accum_offset 64
		.amdhsa_reserve_vcc 1
		.amdhsa_float_round_mode_32 0
		.amdhsa_float_round_mode_16_64 0
		.amdhsa_float_denorm_mode_32 3
		.amdhsa_float_denorm_mode_16_64 3
		.amdhsa_dx10_clamp 1
		.amdhsa_ieee_mode 1
		.amdhsa_fp16_overflow 0
		.amdhsa_tg_split 0
		.amdhsa_exception_fp_ieee_invalid_op 0
		.amdhsa_exception_fp_denorm_src 0
		.amdhsa_exception_fp_ieee_div_zero 0
		.amdhsa_exception_fp_ieee_overflow 0
		.amdhsa_exception_fp_ieee_underflow 0
		.amdhsa_exception_fp_ieee_inexact 0
		.amdhsa_exception_int_div_zero 0
	.end_amdhsa_kernel
	.section	.text._ZL13mul_mat_vec_qIL9ggml_type22ELi1ELb1ELb0EEvPKvS2_PKi31ggml_cuda_mm_fusion_args_devicePfj15HIP_vector_typeIjLj3EEjjjS8_jjjS8_jjjj,"axG",@progbits,_ZL13mul_mat_vec_qIL9ggml_type22ELi1ELb1ELb0EEvPKvS2_PKi31ggml_cuda_mm_fusion_args_devicePfj15HIP_vector_typeIjLj3EEjjjS8_jjjS8_jjjj,comdat
.Lfunc_end183:
	.size	_ZL13mul_mat_vec_qIL9ggml_type22ELi1ELb1ELb0EEvPKvS2_PKi31ggml_cuda_mm_fusion_args_devicePfj15HIP_vector_typeIjLj3EEjjjS8_jjjS8_jjjj, .Lfunc_end183-_ZL13mul_mat_vec_qIL9ggml_type22ELi1ELb1ELb0EEvPKvS2_PKi31ggml_cuda_mm_fusion_args_devicePfj15HIP_vector_typeIjLj3EEjjjS8_jjjS8_jjjj
                                        ; -- End function
	.section	.AMDGPU.csdata,"",@progbits
; Kernel info:
; codeLenInByte = 6088
; NumSgprs: 50
; NumVgprs: 61
; NumAgprs: 0
; TotalNumVgprs: 61
; ScratchSize: 0
; MemoryBound: 0
; FloatMode: 240
; IeeeMode: 1
; LDSByteSize: 512 bytes/workgroup (compile time only)
; SGPRBlocks: 6
; VGPRBlocks: 7
; NumSGPRsForWavesPerEU: 50
; NumVGPRsForWavesPerEU: 61
; AccumOffset: 64
; Occupancy: 8
; WaveLimiterHint : 0
; COMPUTE_PGM_RSRC2:SCRATCH_EN: 0
; COMPUTE_PGM_RSRC2:USER_SGPR: 2
; COMPUTE_PGM_RSRC2:TRAP_HANDLER: 0
; COMPUTE_PGM_RSRC2:TGID_X_EN: 1
; COMPUTE_PGM_RSRC2:TGID_Y_EN: 1
; COMPUTE_PGM_RSRC2:TGID_Z_EN: 1
; COMPUTE_PGM_RSRC2:TIDIG_COMP_CNT: 1
; COMPUTE_PGM_RSRC3_GFX90A:ACCUM_OFFSET: 15
; COMPUTE_PGM_RSRC3_GFX90A:TG_SPLIT: 0
	.section	.text._ZL13mul_mat_vec_qIL9ggml_type22ELi1ELb0ELb0EEvPKvS2_PKi31ggml_cuda_mm_fusion_args_devicePfj15HIP_vector_typeIjLj3EEjjjS8_jjjS8_jjjj,"axG",@progbits,_ZL13mul_mat_vec_qIL9ggml_type22ELi1ELb0ELb0EEvPKvS2_PKi31ggml_cuda_mm_fusion_args_devicePfj15HIP_vector_typeIjLj3EEjjjS8_jjjS8_jjjj,comdat
	.globl	_ZL13mul_mat_vec_qIL9ggml_type22ELi1ELb0ELb0EEvPKvS2_PKi31ggml_cuda_mm_fusion_args_devicePfj15HIP_vector_typeIjLj3EEjjjS8_jjjS8_jjjj ; -- Begin function _ZL13mul_mat_vec_qIL9ggml_type22ELi1ELb0ELb0EEvPKvS2_PKi31ggml_cuda_mm_fusion_args_devicePfj15HIP_vector_typeIjLj3EEjjjS8_jjjS8_jjjj
	.p2align	8
	.type	_ZL13mul_mat_vec_qIL9ggml_type22ELi1ELb0ELb0EEvPKvS2_PKi31ggml_cuda_mm_fusion_args_devicePfj15HIP_vector_typeIjLj3EEjjjS8_jjjS8_jjjj,@function
_ZL13mul_mat_vec_qIL9ggml_type22ELi1ELb0ELb0EEvPKvS2_PKi31ggml_cuda_mm_fusion_args_devicePfj15HIP_vector_typeIjLj3EEjjjS8_jjjS8_jjjj: ; @_ZL13mul_mat_vec_qIL9ggml_type22ELi1ELb0ELb0EEvPKvS2_PKi31ggml_cuda_mm_fusion_args_devicePfj15HIP_vector_typeIjLj3EEjjjS8_jjjS8_jjjj
; %bb.0:
	s_load_dwordx2 s[8:9], s[0:1], 0x10
	s_load_dwordx4 s[16:19], s[0:1], 0x40
	s_mov_b32 s20, s3
	s_mov_b64 s[12:13], 0
	s_waitcnt lgkmcnt(0)
	s_cmp_lg_u64 s[8:9], 0
	s_cselect_b64 s[6:7], -1, 0
	s_cmp_eq_u64 s[8:9], 0
	s_cbranch_scc1 .LBB184_5
; %bb.1:
	s_mov_b32 s21, 0
	s_lshl_b64 s[10:11], s[20:21], 2
	s_add_u32 s8, s8, s10
	s_addc_u32 s9, s9, s11
	s_load_dword s5, s[8:9], 0x0
	s_nop 0
	s_load_dwordx4 s[8:11], s[0:1], 0x68
	s_load_dword s21, s[0:1], 0x50
	s_andn2_b64 vcc, exec, s[12:13]
	s_cbranch_vccnz .LBB184_3
.LBB184_2:
	s_load_dwordx2 s[12:13], s[0:1], 0x5c
	s_waitcnt lgkmcnt(0)
	s_mul_hi_u32 s3, s12, s20
	s_add_i32 s3, s20, s3
	s_lshr_b32 s5, s3, s13
.LBB184_3:
	s_load_dword s22, s[0:1], 0x78
	s_andn2_b64 vcc, exec, s[6:7]
	s_cbranch_vccnz .LBB184_6
; %bb.4:
	s_mul_hi_u32 s3, s17, s20
	s_add_i32 s3, s20, s3
	s_lshr_b32 s3, s3, s18
	s_mul_i32 s3, s3, s19
	s_sub_i32 s17, s20, s3
	s_branch .LBB184_7
.LBB184_5:
                                        ; implicit-def: $sgpr5
	s_load_dwordx4 s[8:11], s[0:1], 0x68
	s_load_dword s21, s[0:1], 0x50
	s_branch .LBB184_2
.LBB184_6:
	s_mov_b32 s17, s20
.LBB184_7:
	s_load_dwordx4 s[12:15], s[0:1], 0x80
	v_bfe_u32 v15, v0, 10, 10
	v_and_b32_e32 v14, 0x3ff, v0
	v_lshl_add_u32 v2, v15, 6, v14
	s_lshr_b32 s3, s16, 8
	v_lshrrev_b32_e32 v16, 3, v2
	v_cmp_gt_u32_e32 vcc, s3, v16
	v_mov_b32_e32 v17, 0
	s_and_saveexec_b64 s[6:7], vcc
	s_cbranch_execz .LBB184_11
; %bb.8:
	s_waitcnt lgkmcnt(0)
	s_mul_i32 s5, s5, s8
	s_mul_hi_u32 s8, s11, s4
	s_add_i32 s8, s4, s8
	s_lshr_b32 s8, s8, s22
	s_mul_i32 s9, s17, s9
	s_mul_i32 s8, s8, s12
	s_load_dwordx4 s[24:27], s[0:1], 0x0
	s_add_i32 s5, s8, s5
	s_mul_hi_u32 s8, s9, 36
	s_mul_i32 s9, s9, 36
	v_lshrrev_b32_e32 v4, 3, v2
	v_mov_b32_e32 v2, s9
	v_mov_b32_e32 v3, s8
	s_movk_i32 s8, 0x120
	s_mul_i32 s13, s4, s13
	v_mad_u64_u32 v[2:3], s[8:9], v4, s8, v[2:3]
	v_and_b32_e32 v0, 7, v14
	v_mad_u64_u32 v[2:3], s[8:9], s13, 36, v[2:3]
	v_mad_u64_u32 v[2:3], s[8:9], v0, 36, v[2:3]
	s_mul_i32 s15, s2, s21
	v_lshlrev_b32_e32 v6, 1, v0
	v_mov_b32_e32 v1, 0
	s_waitcnt lgkmcnt(0)
	v_lshl_add_u64 v[2:3], v[2:3], 0, s[26:27]
	s_add_i32 s5, s5, s15
	v_lshl_add_u64 v[2:3], v[2:3], 0, 16
	s_mov_b64 s[8:9], 0
	s_movk_i32 s11, 0x52
	v_mov_b64_e32 v[4:5], s[24:25]
	v_lshlrev_b32_e32 v6, 1, v6
	v_mov_b32_e32 v7, v1
	s_movk_i32 s15, 0x300
	s_movk_i32 s18, 0xff00
	s_mov_b64 s[12:13], 0x1200
	v_mov_b32_e32 v18, 5
	v_mov_b32_e32 v19, 1
	;; [unrolled: 1-line block ×4, first 2 shown]
	s_getpc_b64 s[16:17]
	s_add_u32 s16, s16, _ZL9iq2s_grid@rel32@lo+4
	s_addc_u32 s17, s17, _ZL9iq2s_grid@rel32@hi+12
.LBB184_9:                              ; =>This Inner Loop Header: Depth=1
	v_add_u32_e32 v8, s5, v16
	v_mad_i64_i32 v[10:11], s[22:23], v8, s11, v[4:5]
	v_lshl_add_u64 v[8:9], v[10:11], 0, v[6:7]
	v_lshl_add_u64 v[12:13], v[10:11], 0, v[0:1]
	global_load_dword v22, v[8:9], off offset:2
	global_load_ubyte v21, v[12:13], off offset:74
	global_load_dword v23, v[8:9], off offset:34
	global_load_ubyte v24, v[12:13], off offset:66
	global_load_ushort v26, v[10:11], off
	v_add_u32_e32 v16, 16, v16
	s_waitcnt vmcnt(4)
	v_and_b32_e32 v12, 0xff, v22
	v_lshrrev_b16_e32 v8, 8, v22
	s_waitcnt vmcnt(2)
	v_bfe_u32 v29, v23, 3, 1
	s_waitcnt vmcnt(1)
	v_lshlrev_b32_e32 v13, 8, v24
	v_bfe_u32 v28, v23, 1, 7
	v_bfe_u32 v33, v23, 7, 1
	v_cmp_ne_u16_e32 vcc, 0, v29
	v_bfe_u32 v32, v23, 5, 3
	v_bfe_u32 v39, v23, 19, 1
	v_and_or_b32 v12, v13, s15, v12
	v_bfe_i32 v13, v28, 0, 1
	v_cndmask_b32_e64 v28, 0, -1, vcc
	v_cmp_ne_u16_e32 vcc, 0, v33
	v_bfe_u32 v43, v23, 27, 1
	v_bfe_i32 v29, v32, 0, 1
	v_cndmask_b32_e64 v32, 0, -1, vcc
	v_cmp_ne_u16_e32 vcc, 0, v39
	v_lshrrev_b32_e32 v10, 16, v23
	v_lshrrev_b32_e32 v11, 24, v23
	v_lshlrev_b32_sdwa v25, v18, v23 dst_sel:DWORD dst_unused:UNUSED_PAD src0_sel:DWORD src1_sel:BYTE_0
	v_and_b32_e32 v27, 1, v23
	v_lshlrev_b32_sdwa v30, v19, v23 dst_sel:DWORD dst_unused:UNUSED_PAD src0_sel:DWORD src1_sel:BYTE_0
	v_bfe_i32 v31, v23, 4, 1
	v_lshrrev_b16_e32 v35, 8, v23
	v_lshlrev_b16_e32 v36, 7, v23
	v_lshlrev_b32_sdwa v38, v18, v23 dst_sel:DWORD dst_unused:UNUSED_PAD src0_sel:DWORD src1_sel:BYTE_2
	v_lshlrev_b32_sdwa v40, v19, v23 dst_sel:DWORD dst_unused:UNUSED_PAD src0_sel:DWORD src1_sel:BYTE_2
	v_bfe_i32 v41, v23, 20, 1
	v_lshrrev_b32_e32 v42, 25, v23
	v_lshrrev_b32_e32 v44, 29, v23
	;; [unrolled: 1-line block ×3, first 2 shown]
	v_cndmask_b32_e64 v39, 0, -1, vcc
	v_cmp_ne_u16_e32 vcc, 0, v43
	v_lshrrev_b32_e32 v9, 24, v22
	v_lshlrev_b32_e32 v34, 6, v24
	v_bfe_u32 v22, v22, 16, 8
	v_lshlrev_b32_e32 v37, 4, v24
	v_lshlrev_b32_e32 v24, 2, v24
	v_cndmask_b32_e64 v43, 0, -1, vcc
	v_cmp_ne_u16_e32 vcc, 0, v23
	v_and_or_b32 v8, v34, s15, v8
	v_and_or_b32 v22, v37, s15, v22
	v_and_b32_e32 v37, 1, v10
	v_bfe_u32 v49, v10, 1, 7
	v_bfe_u32 v50, v10, 5, 3
	;; [unrolled: 1-line block ×3, first 2 shown]
	v_and_or_b32 v9, v24, s15, v9
	v_lshlrev_b32_e32 v24, 5, v11
	v_lshlrev_b16_e32 v10, 7, v10
	v_lshlrev_b32_e32 v52, 1, v11
	v_bfe_i32 v53, v11, 4, 1
	v_bfe_i32 v11, v44, 0, 1
	v_cndmask_b32_e64 v23, 0, -1, vcc
	v_lshlrev_b32_e32 v44, 3, v12
	v_lshlrev_b16_e32 v54, 8, v13
	v_lshlrev_b32_e32 v55, 3, v8
	v_lshlrev_b32_e32 v56, 3, v22
	;; [unrolled: 1-line block ×3, first 2 shown]
	v_ashrrev_i16_e32 v58, 15, v10
	v_lshlrev_b16_e32 v59, 8, v11
	v_lshlrev_b16_e32 v60, 8, v23
	global_load_dwordx2 v[8:9], v44, s[16:17]
	global_load_dwordx2 v[10:11], v55, s[16:17]
	;; [unrolled: 1-line block ×4, first 2 shown]
	v_lshrrev_b16_e32 v25, 7, v25
	v_bfe_u32 v45, v35, 3, 1
	v_sub_u16_e32 v27, 0, v27
	v_lshrrev_b16_e32 v30, 7, v30
	v_lshlrev_b32_e32 v33, 5, v35
	v_ashrrev_i16_e32 v34, 15, v36
	v_lshrrev_b32_e32 v36, 1, v35
	v_lshlrev_b32_e32 v46, 1, v35
	v_bfe_i32 v47, v35, 4, 1
	v_lshrrev_b32_e32 v48, 5, v35
	v_lshrrev_b32_e32 v35, 7, v35
	v_bfe_i32 v25, v25, 0, 1
	v_lshlrev_b16_e32 v28, 8, v28
	v_cmp_ne_u16_e32 vcc, 0, v45
	v_bfe_i32 v30, v30, 0, 1
	v_lshlrev_b16_e32 v29, 8, v29
	v_lshlrev_b16_e32 v32, 8, v32
	v_bfe_i32 v36, v36, 0, 1
	v_lshrrev_b16_e32 v33, 7, v33
	v_cndmask_b32_e64 v45, 0, -1, vcc
	v_cmp_ne_u16_e32 vcc, 0, v35
	v_lshrrev_b16_e32 v24, 7, v24
	v_or_b32_sdwa v44, v27, v54 dst_sel:DWORD dst_unused:UNUSED_PAD src0_sel:BYTE_0 src1_sel:DWORD
	v_or_b32_sdwa v55, v25, v28 dst_sel:WORD_1 dst_unused:UNUSED_PAD src0_sel:BYTE_0 src1_sel:DWORD
	v_bfe_i32 v48, v48, 0, 1
	v_lshrrev_b16_e32 v46, 7, v46
	v_cndmask_b32_e64 v35, 0, -1, vcc
	v_or_b32_sdwa v56, v31, v29 dst_sel:DWORD dst_unused:UNUSED_PAD src0_sel:BYTE_0 src1_sel:DWORD
	v_or_b32_sdwa v57, v30, v32 dst_sel:WORD_1 dst_unused:UNUSED_PAD src0_sel:BYTE_0 src1_sel:DWORD
	v_bfe_i32 v33, v33, 0, 1
	v_lshlrev_b16_e32 v36, 8, v36
	v_lshlrev_b16_e32 v45, 8, v45
	v_bfe_i32 v62, v24, 0, 1
	v_or_b32_sdwa v24, v44, v55 dst_sel:DWORD dst_unused:UNUSED_PAD src0_sel:WORD_0 src1_sel:DWORD
	v_cmp_ne_u16_e32 vcc, 0, v51
	v_bfe_i32 v46, v46, 0, 1
	v_lshlrev_b16_e32 v48, 8, v48
	v_lshlrev_b16_e32 v35, 8, v35
	v_or_b32_sdwa v55, v56, v57 dst_sel:DWORD dst_unused:UNUSED_PAD src0_sel:WORD_0 src1_sel:DWORD
	v_or_b32_sdwa v56, v34, v36 dst_sel:DWORD dst_unused:UNUSED_PAD src0_sel:BYTE_0 src1_sel:DWORD
	v_lshrrev_b16_e32 v40, 7, v40
	v_bfe_i32 v50, v50, 0, 1
	v_cndmask_b32_e64 v51, 0, -1, vcc
	v_lshrrev_b16_e32 v52, 7, v52
	v_bfe_i32 v42, v42, 0, 1
	v_bfe_i32 v40, v40, 0, 1
	v_lshlrev_b16_e32 v50, 8, v50
	v_lshlrev_b16_e32 v51, 8, v51
	v_bfe_i32 v52, v52, 0, 1
	v_lshlrev_b16_e32 v42, 8, v42
	v_lshlrev_b16_e32 v43, 8, v43
	v_or_b32_sdwa v44, v58, v42 dst_sel:DWORD dst_unused:UNUSED_PAD src0_sel:BYTE_0 src1_sel:DWORD
	v_bfe_i32 v49, v49, 0, 1
	v_sub_u16_e32 v37, 0, v37
	v_lshlrev_b16_e32 v49, 8, v49
	v_lshlrev_b16_e32 v25, 8, v25
	v_lshrrev_b16_e32 v38, 7, v38
	v_bfe_i32 v38, v38, 0, 1
	v_lshlrev_b16_e32 v39, 8, v39
	v_or_b32_sdwa v61, v38, v39 dst_sel:WORD_1 dst_unused:UNUSED_PAD src0_sel:BYTE_0 src1_sel:DWORD
	v_lshlrev_b16_e32 v30, 8, v30
	v_lshlrev_b16_e32 v38, 8, v38
	s_waitcnt vmcnt(4)
	v_cvt_f32_f16_e32 v26, v26
	v_cmp_le_u32_e32 vcc, s3, v16
	s_or_b64 s[8:9], vcc, s[8:9]
	s_waitcnt vmcnt(3)
	v_xor_b32_e32 v24, v8, v24
	v_or_b32_sdwa v8, v33, v45 dst_sel:WORD_1 dst_unused:UNUSED_PAD src0_sel:BYTE_0 src1_sel:DWORD
	v_xor_b32_e32 v55, v9, v55
	v_or_b32_sdwa v9, v47, v48 dst_sel:DWORD dst_unused:UNUSED_PAD src0_sel:BYTE_0 src1_sel:DWORD
	v_or_b32_sdwa v8, v56, v8 dst_sel:DWORD dst_unused:UNUSED_PAD src0_sel:WORD_0 src1_sel:DWORD
	v_or_b32_sdwa v56, v46, v35 dst_sel:WORD_1 dst_unused:UNUSED_PAD src0_sel:BYTE_0 src1_sel:DWORD
	s_waitcnt vmcnt(2)
	v_xor_b32_e32 v57, v10, v8
	v_or_b32_sdwa v9, v9, v56 dst_sel:DWORD dst_unused:UNUSED_PAD src0_sel:WORD_0 src1_sel:DWORD
	v_or_b32_sdwa v56, v53, v59 dst_sel:DWORD dst_unused:UNUSED_PAD src0_sel:BYTE_0 src1_sel:DWORD
	v_xor_b32_e32 v63, v11, v9
	v_or_b32_sdwa v9, v41, v50 dst_sel:DWORD dst_unused:UNUSED_PAD src0_sel:BYTE_0 src1_sel:DWORD
	v_or_b32_sdwa v10, v40, v51 dst_sel:WORD_1 dst_unused:UNUSED_PAD src0_sel:BYTE_0 src1_sel:DWORD
	v_or_b32_sdwa v11, v52, v60 dst_sel:WORD_1 dst_unused:UNUSED_PAD src0_sel:BYTE_0 src1_sel:DWORD
	v_or_b32_sdwa v9, v9, v10 dst_sel:DWORD dst_unused:UNUSED_PAD src0_sel:WORD_0 src1_sel:DWORD
	v_or_b32_sdwa v10, v62, v43 dst_sel:WORD_1 dst_unused:UNUSED_PAD src0_sel:BYTE_0 src1_sel:DWORD
	v_or_b32_sdwa v11, v56, v11 dst_sel:DWORD dst_unused:UNUSED_PAD src0_sel:WORD_0 src1_sel:DWORD
	v_or_b32_sdwa v10, v44, v10 dst_sel:DWORD dst_unused:UNUSED_PAD src0_sel:WORD_0 src1_sel:DWORD
	s_waitcnt vmcnt(0)
	v_xor_b32_e32 v56, v23, v11
	v_and_b32_e32 v23, 0xffffff00, v24
	v_xor_b32_e32 v44, v22, v10
	v_lshlrev_b16_e32 v22, 8, v27
	v_sub_i16 v27, v23, v54 clamp
	v_lshlrev_b16_e32 v23, 8, v24
	v_sub_i16 v54, v23, v22 clamp
	v_and_b32_sdwa v22, v24, s18 dst_sel:DWORD dst_unused:UNUSED_PAD src0_sel:WORD_1 src1_sel:DWORD
	v_lshlrev_b16_sdwa v24, v20, v24 dst_sel:DWORD dst_unused:UNUSED_PAD src0_sel:DWORD src1_sel:WORD_1
	v_or_b32_sdwa v8, v37, v49 dst_sel:DWORD dst_unused:UNUSED_PAD src0_sel:BYTE_0 src1_sel:DWORD
	v_lshlrev_b16_e32 v23, 8, v34
	v_lshlrev_b16_e32 v34, 8, v37
	;; [unrolled: 1-line block ×3, first 2 shown]
	v_sub_i16 v46, v24, v25 clamp
	v_and_b32_e32 v24, 0xffffff00, v55
	v_sub_i16 v28, v22, v28 clamp
	v_lshlrev_b16_e32 v22, 8, v31
	v_sub_i16 v29, v24, v29 clamp
	v_lshlrev_b16_e32 v24, 8, v55
	v_lshlrev_b16_e32 v31, 8, v47
	v_sub_i16 v47, v24, v22 clamp
	v_and_b32_sdwa v22, v55, s18 dst_sel:DWORD dst_unused:UNUSED_PAD src0_sel:WORD_1 src1_sel:DWORD
	v_lshlrev_b16_sdwa v24, v20, v55 dst_sel:DWORD dst_unused:UNUSED_PAD src0_sel:DWORD src1_sel:WORD_1
	v_sub_i16 v32, v22, v32 clamp
	v_and_b32_e32 v22, 0xffffff00, v57
	v_or_b32_sdwa v8, v8, v61 dst_sel:DWORD dst_unused:UNUSED_PAD src0_sel:WORD_0 src1_sel:DWORD
	v_sub_i16 v30, v24, v30 clamp
	v_lshlrev_b16_e32 v24, 8, v57
	v_sub_i16 v36, v22, v36 clamp
	v_and_b32_sdwa v22, v57, s18 dst_sel:DWORD dst_unused:UNUSED_PAD src0_sel:WORD_1 src1_sel:DWORD
	v_xor_b32_e32 v12, v12, v8
	v_lshlrev_b16_e32 v33, 8, v33
	v_lshlrev_b16_sdwa v25, v20, v57 dst_sel:DWORD dst_unused:UNUSED_PAD src0_sel:DWORD src1_sel:WORD_1
	v_sub_i16 v55, v24, v23 clamp
	v_and_b32_e32 v23, 0xffffff00, v63
	v_sub_i16 v45, v22, v45 clamp
	v_lshlrev_b16_e32 v22, 8, v63
	v_and_b32_sdwa v24, v63, s18 dst_sel:DWORD dst_unused:UNUSED_PAD src0_sel:WORD_1 src1_sel:DWORD
	v_sub_i16 v33, v25, v33 clamp
	v_lshlrev_b16_sdwa v25, v20, v63 dst_sel:DWORD dst_unused:UNUSED_PAD src0_sel:DWORD src1_sel:WORD_1
	v_sub_i16 v48, v23, v48 clamp
	v_and_b32_e32 v23, 0xffffff00, v12
	v_sub_i16 v31, v22, v31 clamp
	v_lshlrev_b16_e32 v22, 8, v12
	v_sub_i16 v35, v24, v35 clamp
	v_and_b32_sdwa v24, v12, s18 dst_sel:DWORD dst_unused:UNUSED_PAD src0_sel:WORD_1 src1_sel:DWORD
	v_xor_b32_e32 v13, v13, v9
	global_load_dwordx4 v[8:11], v[2:3], off offset:-16
	v_sub_i16 v37, v25, v37 clamp
	v_sub_i16 v49, v23, v49 clamp
	;; [unrolled: 1-line block ×4, first 2 shown]
	global_load_dwordx4 v[22:25], v[2:3], off
	global_load_dword v61, v[2:3], off offset:16
	v_lshlrev_b16_sdwa v12, v20, v12 dst_sel:DWORD dst_unused:UNUSED_PAD src0_sel:DWORD src1_sel:WORD_1
	v_sub_i16 v12, v12, v38 clamp
	v_and_b32_e32 v38, 0xffffff00, v13
	v_lshlrev_b16_e32 v41, 8, v41
	v_sub_i16 v38, v38, v50 clamp
	v_lshlrev_b16_e32 v50, 8, v13
	v_sub_i16 v41, v50, v41 clamp
	v_and_b32_sdwa v50, v13, s18 dst_sel:DWORD dst_unused:UNUSED_PAD src0_sel:WORD_1 src1_sel:DWORD
	v_lshlrev_b16_e32 v40, 8, v40
	v_lshlrev_b16_sdwa v13, v20, v13 dst_sel:DWORD dst_unused:UNUSED_PAD src0_sel:DWORD src1_sel:WORD_1
	v_sub_i16 v13, v13, v40 clamp
	v_and_b32_e32 v40, 0xffffff00, v44
	v_lshlrev_b16_e32 v57, 8, v58
	v_sub_i16 v40, v40, v42 clamp
	v_lshlrev_b16_e32 v42, 8, v44
	v_sub_i16 v42, v42, v57 clamp
	v_and_b32_sdwa v57, v44, s18 dst_sel:DWORD dst_unused:UNUSED_PAD src0_sel:WORD_1 src1_sel:DWORD
	v_lshlrev_b16_e32 v58, 8, v62
	v_lshlrev_b16_sdwa v44, v20, v44 dst_sel:DWORD dst_unused:UNUSED_PAD src0_sel:DWORD src1_sel:WORD_1
	v_sub_i16 v44, v44, v58 clamp
	v_and_b32_e32 v58, 0xffffff00, v56
	v_sub_i16 v50, v50, v51 clamp
	v_lshlrev_b16_e32 v53, 8, v53
	v_sub_i16 v58, v58, v59 clamp
	v_lshlrev_b16_e32 v59, 8, v56
	v_and_b32_e32 v27, 0xffffff00, v27
	v_and_b32_e32 v28, 0xffffff00, v28
	;; [unrolled: 1-line block ×4, first 2 shown]
	v_sub_i16 v43, v57, v43 clamp
	v_sub_i16 v53, v59, v53 clamp
	v_and_b32_sdwa v59, v56, s18 dst_sel:DWORD dst_unused:UNUSED_PAD src0_sel:WORD_1 src1_sel:DWORD
	v_and_b32_e32 v29, 0xffffff00, v29
	v_and_b32_e32 v32, 0xffffff00, v32
	;; [unrolled: 1-line block ×5, first 2 shown]
	v_or_b32_sdwa v27, v54, v27 dst_sel:DWORD dst_unused:UNUSED_PAD src0_sel:BYTE_1 src1_sel:DWORD
	v_or_b32_sdwa v28, v46, v28 dst_sel:WORD_1 dst_unused:UNUSED_PAD src0_sel:BYTE_1 src1_sel:DWORD
	v_or_b32_sdwa v34, v34, v49 dst_sel:DWORD dst_unused:UNUSED_PAD src0_sel:BYTE_1 src1_sel:DWORD
	v_or_b32_sdwa v12, v12, v39 dst_sel:WORD_1 dst_unused:UNUSED_PAD src0_sel:BYTE_1 src1_sel:DWORD
	v_mov_b32_e32 v51, 0
	v_mov_b32_e32 v57, 0
	v_sub_i16 v59, v59, v60 clamp
	v_lshlrev_b16_e32 v52, 8, v52
	v_lshlrev_b16_sdwa v56, v20, v56 dst_sel:DWORD dst_unused:UNUSED_PAD src0_sel:DWORD src1_sel:WORD_1
	v_and_b32_e32 v45, 0xffffff00, v45
	v_and_b32_e32 v48, 0xffffff00, v48
	;; [unrolled: 1-line block ×5, first 2 shown]
	v_or_b32_sdwa v29, v47, v29 dst_sel:DWORD dst_unused:UNUSED_PAD src0_sel:BYTE_1 src1_sel:DWORD
	v_or_b32_sdwa v30, v30, v32 dst_sel:WORD_1 dst_unused:UNUSED_PAD src0_sel:BYTE_1 src1_sel:DWORD
	v_or_b32_sdwa v32, v55, v36 dst_sel:DWORD dst_unused:UNUSED_PAD src0_sel:BYTE_1 src1_sel:DWORD
	v_or_b32_sdwa v36, v41, v38 dst_sel:DWORD dst_unused:UNUSED_PAD src0_sel:BYTE_1 src1_sel:DWORD
	v_or_b32_sdwa v13, v13, v50 dst_sel:WORD_1 dst_unused:UNUSED_PAD src0_sel:BYTE_1 src1_sel:DWORD
	v_or_b32_sdwa v27, v27, v28 dst_sel:DWORD dst_unused:UNUSED_PAD src0_sel:WORD_0 src1_sel:DWORD
	v_or_b32_sdwa v12, v34, v12 dst_sel:DWORD dst_unused:UNUSED_PAD src0_sel:WORD_0 src1_sel:DWORD
	v_sub_i16 v52, v56, v52 clamp
	v_and_b32_e32 v58, 0xffffff00, v58
	v_and_b32_e32 v59, 0xffffff00, v59
	v_or_b32_sdwa v33, v33, v45 dst_sel:WORD_1 dst_unused:UNUSED_PAD src0_sel:BYTE_1 src1_sel:DWORD
	v_or_b32_sdwa v31, v31, v48 dst_sel:DWORD dst_unused:UNUSED_PAD src0_sel:BYTE_1 src1_sel:DWORD
	v_or_b32_sdwa v35, v37, v35 dst_sel:WORD_1 dst_unused:UNUSED_PAD src0_sel:BYTE_1 src1_sel:DWORD
	v_or_b32_sdwa v37, v42, v40 dst_sel:DWORD dst_unused:UNUSED_PAD src0_sel:BYTE_1 src1_sel:DWORD
	v_or_b32_sdwa v38, v44, v43 dst_sel:WORD_1 dst_unused:UNUSED_PAD src0_sel:BYTE_1 src1_sel:DWORD
	v_or_b32_sdwa v28, v29, v30 dst_sel:DWORD dst_unused:UNUSED_PAD src0_sel:WORD_0 src1_sel:DWORD
	v_or_b32_sdwa v13, v36, v13 dst_sel:DWORD dst_unused:UNUSED_PAD src0_sel:WORD_0 src1_sel:DWORD
	v_or_b32_sdwa v39, v53, v58 dst_sel:DWORD dst_unused:UNUSED_PAD src0_sel:BYTE_1 src1_sel:DWORD
	v_or_b32_sdwa v40, v52, v59 dst_sel:WORD_1 dst_unused:UNUSED_PAD src0_sel:BYTE_1 src1_sel:DWORD
	v_or_b32_sdwa v29, v32, v33 dst_sel:DWORD dst_unused:UNUSED_PAD src0_sel:WORD_0 src1_sel:DWORD
	v_or_b32_sdwa v30, v31, v35 dst_sel:DWORD dst_unused:UNUSED_PAD src0_sel:WORD_0 src1_sel:DWORD
	;; [unrolled: 1-line block ×3, first 2 shown]
	s_waitcnt vmcnt(2)
	v_dot4c_i32_i8_e32 v51, v27, v9
	v_dot4c_i32_i8_e32 v51, v28, v10
	v_or_b32_sdwa v32, v39, v40 dst_sel:DWORD dst_unused:UNUSED_PAD src0_sel:WORD_0 src1_sel:DWORD
	v_dot4c_i32_i8_e32 v51, v29, v11
	v_lshrrev_b32_e32 v56, 4, v21
	s_waitcnt vmcnt(1)
	v_dot4c_i32_i8_e32 v57, v12, v23
	v_dot4c_i32_i8_e32 v57, v13, v24
	;; [unrolled: 1-line block ×4, first 2 shown]
	s_waitcnt vmcnt(0)
	v_dot4c_i32_i8_e32 v57, v32, v61
	v_and_b32_e32 v21, 15, v21
	v_cvt_f32_f16_e32 v8, v8
	v_mul_lo_u32 v9, v51, v21
	v_add_u32_e32 v11, v57, v51
	v_lshrrev_b32_e32 v12, 31, v11
	v_add_u32_e32 v11, v11, v12
	v_mul_lo_u32 v10, v57, v56
	v_ashrrev_i32_e32 v11, 1, v11
	v_add3_u32 v9, v10, v9, v11
	v_ashrrev_i32_e32 v10, 31, v9
	v_lshrrev_b32_e32 v10, 30, v10
	v_add_u32_e32 v9, v9, v10
	v_ashrrev_i32_e32 v9, 2, v9
	v_cvt_f32_i32_e32 v9, v9
	v_mul_f32_e32 v8, v26, v8
	v_lshl_add_u64 v[2:3], v[2:3], 0, s[12:13]
	v_fmac_f32_e32 v17, v8, v9
	s_andn2_b64 exec, exec, s[8:9]
	s_cbranch_execnz .LBB184_9
; %bb.10:
	s_or_b64 exec, exec, s[8:9]
.LBB184_11:
	s_or_b64 exec, exec, s[6:7]
	v_cmp_eq_u32_e32 vcc, 0, v15
	v_cmp_ne_u32_e64 s[6:7], 0, v15
	v_lshlrev_b32_e32 v0, 2, v14
	s_waitcnt lgkmcnt(0)
	s_and_saveexec_b64 s[8:9], s[6:7]
	s_cbranch_execz .LBB184_13
; %bb.12:
	v_lshlrev_b32_e32 v1, 8, v15
	s_movk_i32 s3, 0xff00
	v_add3_u32 v1, v1, v0, s3
	ds_write_b32 v1, v17
.LBB184_13:
	s_or_b64 exec, exec, s[8:9]
	s_waitcnt lgkmcnt(0)
	s_barrier
	s_and_saveexec_b64 s[6:7], vcc
	s_cbranch_execz .LBB184_16
; %bb.14:
	v_mbcnt_lo_u32_b32 v1, -1, 0
	ds_read_b32 v0, v0
	v_mbcnt_hi_u32_b32 v1, -1, v1
	v_and_b32_e32 v2, 64, v1
	v_add_u32_e32 v2, 64, v2
	v_xor_b32_e32 v3, 32, v1
	v_cmp_lt_i32_e32 vcc, v3, v2
	s_waitcnt lgkmcnt(0)
	v_add_f32_e32 v0, v17, v0
	s_mov_b32 s3, 0
	v_cndmask_b32_e32 v3, v1, v3, vcc
	v_lshlrev_b32_e32 v3, 2, v3
	ds_bpermute_b32 v3, v3, v0
	s_waitcnt lgkmcnt(0)
	v_add_f32_e32 v0, v0, v3
	v_xor_b32_e32 v3, 16, v1
	v_cmp_lt_i32_e32 vcc, v3, v2
	s_nop 1
	v_cndmask_b32_e32 v3, v1, v3, vcc
	v_lshlrev_b32_e32 v3, 2, v3
	ds_bpermute_b32 v3, v3, v0
	s_waitcnt lgkmcnt(0)
	v_add_f32_e32 v0, v0, v3
	v_xor_b32_e32 v3, 8, v1
	v_cmp_lt_i32_e32 vcc, v3, v2
	s_nop 1
	;; [unrolled: 8-line block ×5, first 2 shown]
	v_cndmask_b32_e32 v1, v1, v3, vcc
	v_lshlrev_b32_e32 v1, 2, v1
	ds_bpermute_b32 v1, v1, v0
	v_cmp_eq_u32_e32 vcc, 0, v14
	s_and_b64 exec, exec, vcc
	s_cbranch_execz .LBB184_16
; %bb.15:
	s_load_dwordx2 s[0:1], s[0:1], 0x38
	s_mul_i32 s5, s20, s10
	s_mul_i32 s4, s4, s14
	s_add_i32 s2, s5, s2
	s_add_i32 s2, s2, s4
	s_lshl_b64 s[2:3], s[2:3], 2
	s_waitcnt lgkmcnt(0)
	s_add_u32 s0, s0, s2
	s_addc_u32 s1, s1, s3
	v_mov_b32_e32 v2, 0
	v_add_f32_e32 v0, v0, v1
	global_store_dword v2, v0, s[0:1]
.LBB184_16:
	s_endpgm
	.section	.rodata,"a",@progbits
	.p2align	6, 0x0
	.amdhsa_kernel _ZL13mul_mat_vec_qIL9ggml_type22ELi1ELb0ELb0EEvPKvS2_PKi31ggml_cuda_mm_fusion_args_devicePfj15HIP_vector_typeIjLj3EEjjjS8_jjjS8_jjjj
		.amdhsa_group_segment_fixed_size 256
		.amdhsa_private_segment_fixed_size 0
		.amdhsa_kernarg_size 144
		.amdhsa_user_sgpr_count 2
		.amdhsa_user_sgpr_dispatch_ptr 0
		.amdhsa_user_sgpr_queue_ptr 0
		.amdhsa_user_sgpr_kernarg_segment_ptr 1
		.amdhsa_user_sgpr_dispatch_id 0
		.amdhsa_user_sgpr_kernarg_preload_length 0
		.amdhsa_user_sgpr_kernarg_preload_offset 0
		.amdhsa_user_sgpr_private_segment_size 0
		.amdhsa_uses_dynamic_stack 0
		.amdhsa_enable_private_segment 0
		.amdhsa_system_sgpr_workgroup_id_x 1
		.amdhsa_system_sgpr_workgroup_id_y 1
		.amdhsa_system_sgpr_workgroup_id_z 1
		.amdhsa_system_sgpr_workgroup_info 0
		.amdhsa_system_vgpr_workitem_id 1
		.amdhsa_next_free_vgpr 64
		.amdhsa_next_free_sgpr 28
		.amdhsa_accum_offset 64
		.amdhsa_reserve_vcc 1
		.amdhsa_float_round_mode_32 0
		.amdhsa_float_round_mode_16_64 0
		.amdhsa_float_denorm_mode_32 3
		.amdhsa_float_denorm_mode_16_64 3
		.amdhsa_dx10_clamp 1
		.amdhsa_ieee_mode 1
		.amdhsa_fp16_overflow 0
		.amdhsa_tg_split 0
		.amdhsa_exception_fp_ieee_invalid_op 0
		.amdhsa_exception_fp_denorm_src 0
		.amdhsa_exception_fp_ieee_div_zero 0
		.amdhsa_exception_fp_ieee_overflow 0
		.amdhsa_exception_fp_ieee_underflow 0
		.amdhsa_exception_fp_ieee_inexact 0
		.amdhsa_exception_int_div_zero 0
	.end_amdhsa_kernel
	.section	.text._ZL13mul_mat_vec_qIL9ggml_type22ELi1ELb0ELb0EEvPKvS2_PKi31ggml_cuda_mm_fusion_args_devicePfj15HIP_vector_typeIjLj3EEjjjS8_jjjS8_jjjj,"axG",@progbits,_ZL13mul_mat_vec_qIL9ggml_type22ELi1ELb0ELb0EEvPKvS2_PKi31ggml_cuda_mm_fusion_args_devicePfj15HIP_vector_typeIjLj3EEjjjS8_jjjS8_jjjj,comdat
.Lfunc_end184:
	.size	_ZL13mul_mat_vec_qIL9ggml_type22ELi1ELb0ELb0EEvPKvS2_PKi31ggml_cuda_mm_fusion_args_devicePfj15HIP_vector_typeIjLj3EEjjjS8_jjjS8_jjjj, .Lfunc_end184-_ZL13mul_mat_vec_qIL9ggml_type22ELi1ELb0ELb0EEvPKvS2_PKi31ggml_cuda_mm_fusion_args_devicePfj15HIP_vector_typeIjLj3EEjjjS8_jjjS8_jjjj
                                        ; -- End function
	.section	.AMDGPU.csdata,"",@progbits
; Kernel info:
; codeLenInByte = 2884
; NumSgprs: 34
; NumVgprs: 64
; NumAgprs: 0
; TotalNumVgprs: 64
; ScratchSize: 0
; MemoryBound: 0
; FloatMode: 240
; IeeeMode: 1
; LDSByteSize: 256 bytes/workgroup (compile time only)
; SGPRBlocks: 4
; VGPRBlocks: 7
; NumSGPRsForWavesPerEU: 34
; NumVGPRsForWavesPerEU: 64
; AccumOffset: 64
; Occupancy: 8
; WaveLimiterHint : 0
; COMPUTE_PGM_RSRC2:SCRATCH_EN: 0
; COMPUTE_PGM_RSRC2:USER_SGPR: 2
; COMPUTE_PGM_RSRC2:TRAP_HANDLER: 0
; COMPUTE_PGM_RSRC2:TGID_X_EN: 1
; COMPUTE_PGM_RSRC2:TGID_Y_EN: 1
; COMPUTE_PGM_RSRC2:TGID_Z_EN: 1
; COMPUTE_PGM_RSRC2:TIDIG_COMP_CNT: 1
; COMPUTE_PGM_RSRC3_GFX90A:ACCUM_OFFSET: 15
; COMPUTE_PGM_RSRC3_GFX90A:TG_SPLIT: 0
	.section	.text._ZL13mul_mat_vec_qIL9ggml_type22ELi2ELb0ELb0EEvPKvS2_PKi31ggml_cuda_mm_fusion_args_devicePfj15HIP_vector_typeIjLj3EEjjjS8_jjjS8_jjjj,"axG",@progbits,_ZL13mul_mat_vec_qIL9ggml_type22ELi2ELb0ELb0EEvPKvS2_PKi31ggml_cuda_mm_fusion_args_devicePfj15HIP_vector_typeIjLj3EEjjjS8_jjjS8_jjjj,comdat
	.globl	_ZL13mul_mat_vec_qIL9ggml_type22ELi2ELb0ELb0EEvPKvS2_PKi31ggml_cuda_mm_fusion_args_devicePfj15HIP_vector_typeIjLj3EEjjjS8_jjjS8_jjjj ; -- Begin function _ZL13mul_mat_vec_qIL9ggml_type22ELi2ELb0ELb0EEvPKvS2_PKi31ggml_cuda_mm_fusion_args_devicePfj15HIP_vector_typeIjLj3EEjjjS8_jjjS8_jjjj
	.p2align	8
	.type	_ZL13mul_mat_vec_qIL9ggml_type22ELi2ELb0ELb0EEvPKvS2_PKi31ggml_cuda_mm_fusion_args_devicePfj15HIP_vector_typeIjLj3EEjjjS8_jjjS8_jjjj,@function
_ZL13mul_mat_vec_qIL9ggml_type22ELi2ELb0ELb0EEvPKvS2_PKi31ggml_cuda_mm_fusion_args_devicePfj15HIP_vector_typeIjLj3EEjjjS8_jjjS8_jjjj: ; @_ZL13mul_mat_vec_qIL9ggml_type22ELi2ELb0ELb0EEvPKvS2_PKi31ggml_cuda_mm_fusion_args_devicePfj15HIP_vector_typeIjLj3EEjjjS8_jjjS8_jjjj
; %bb.0:
	s_load_dwordx2 s[20:21], s[0:1], 0x4
	s_load_dword s7, s[2:3], 0x40
	s_load_dwordx4 s[8:11], s[2:3], 0x50
	s_load_dword s27, s[2:3], 0x60
	s_load_dwordx4 s[12:15], s[2:3], 0x68
	;; [unrolled: 2-line block ×3, first 2 shown]
	s_waitcnt lgkmcnt(0)
	s_lshr_b32 s0, s20, 16
	v_bfe_u32 v29, v0, 10, 10
	v_and_b32_e32 v21, 0x3ff, v0
	s_mul_i32 s0, s0, s21
	v_mul_u32_u24_e32 v1, s21, v29
	v_mad_u32_u24 v1, s0, v21, v1
	v_bfe_u32 v0, v0, 20, 10
	v_lshl_add_u32 v5, v29, 6, v21
	v_add_lshl_u32 v4, v1, v0, 4
	s_lshr_b32 s7, s7, 8
	v_mov_b32_e32 v0, 0
	v_lshrrev_b32_e32 v30, 3, v5
	v_add_u32_e32 v28, 0x400, v4
	s_lshl_b32 s4, s4, 1
	v_mov_b32_e32 v1, v0
	v_mov_b32_e32 v2, v0
	;; [unrolled: 1-line block ×3, first 2 shown]
	v_cmp_gt_u32_e32 vcc, s7, v30
	ds_write_b128 v4, v[0:3] offset:1024
	s_and_saveexec_b64 s[0:1], vcc
	s_cbranch_execz .LBB185_4
; %bb.1:
	s_load_dwordx4 s[20:23], s[2:3], 0x0
	s_mul_i32 s17, s6, s17
	s_mul_i32 s24, s17, 36
	s_mul_i32 s13, s5, s13
	s_mul_hi_u32 s19, s17, 36
	s_waitcnt lgkmcnt(0)
	s_add_u32 s24, s22, s24
	s_addc_u32 s19, s23, s19
	s_mul_i32 s28, s13, 36
	s_mul_hi_u32 s29, s13, 36
	s_add_u32 s24, s24, s28
	s_mul_hi_u32 s11, s11, s5
	s_addc_u32 s25, s19, s29
	s_add_i32 s11, s5, s11
	s_lshr_b32 s11, s11, s27
	s_mul_i32 s11, s11, s12
	s_mul_hi_u32 s12, s15, s6
	s_add_i32 s12, s6, s12
	s_lshr_b32 s12, s12, s26
	s_mul_i32 s12, s12, s16
	s_add_i32 s15, s12, s11
	s_add_i32 s12, s4, 1
	s_mul_i32 s13, s4, s8
	s_mul_i32 s8, s8, s12
	s_add_i32 s11, s15, s13
	s_add_i32 s15, s15, s8
	s_movk_i32 s8, 0x120
	v_mov_b64_e32 v[2:3], s[28:29]
	v_lshl_add_u32 v31, v30, 3, s9
	v_mad_u64_u32 v[2:3], s[8:9], v30, s8, v[2:3]
	v_and_b32_e32 v12, 7, v21
	v_mad_u64_u32 v[2:3], s[8:9], s17, 36, v[2:3]
	v_mad_u64_u32 v[2:3], s[8:9], v12, 36, v[2:3]
	v_lshlrev_b32_e32 v0, 1, v12
	v_mov_b32_e32 v13, 0
	v_lshl_add_u64 v[2:3], v[2:3], 0, s[22:23]
	v_lshl_add_u64 v[14:15], v[2:3], 0, 16
	s_mov_b64 s[8:9], 0
	s_movk_i32 s19, 0x52
	v_mov_b64_e32 v[16:17], s[20:21]
	v_lshlrev_b32_e32 v18, 1, v0
	v_mov_b32_e32 v19, v13
	s_movk_i32 s20, 0x300
	s_movk_i32 s21, 0xff00
	s_mov_b64 s[12:13], 0x1200
	v_mov_b32_e32 v32, 5
	v_mov_b32_e32 v33, 1
	;; [unrolled: 1-line block ×7, first 2 shown]
.LBB185_2:                              ; =>This Inner Loop Header: Depth=1
	global_load_dword v52, v[14:15], off offset:16
	global_load_dwordx4 v[4:7], v[14:15], off
	global_load_dwordx4 v[8:11], v[14:15], off offset:-16
	v_add_u32_e32 v22, s11, v30
	v_mad_i64_i32 v[24:25], s[16:17], v22, s19, v[16:17]
	v_lshl_add_u64 v[26:27], v[24:25], 0, v[18:19]
	v_lshl_add_u64 v[22:23], v[24:25], 0, v[12:13]
	s_getpc_b64 s[16:17]
	s_add_u32 s16, s16, _ZL9iq2s_grid@rel32@lo+4
	s_addc_u32 s17, s17, _ZL9iq2s_grid@rel32@hi+12
	v_lshl_add_u64 v[14:15], v[14:15], 0, s[12:13]
	s_waitcnt vmcnt(0)
	v_cvt_f32_f16_e32 v20, v8
	global_load_dword v8, v[26:27], off offset:2
	global_load_ubyte v42, v[22:23], off offset:66
	global_load_dword v43, v[26:27], off offset:34
	s_waitcnt vmcnt(1)
	v_lshlrev_b32_e32 v27, 8, v42
	v_and_b32_e32 v26, 0xff, v8
	v_and_or_b32 v26, v27, s20, v26
	s_waitcnt vmcnt(0)
	v_lshlrev_b32_sdwa v27, v32, v43 dst_sel:DWORD dst_unused:UNUSED_PAD src0_sel:DWORD src1_sel:BYTE_0
	v_lshrrev_b16_e32 v27, 7, v27
	v_bfe_i32 v38, v27, 0, 1
	v_bfe_u32 v27, v43, 3, 1
	v_bfe_u32 v36, v43, 1, 7
	v_cmp_ne_u16_e32 vcc, 0, v27
	v_and_b32_e32 v35, 1, v43
	v_bfe_i32 v36, v36, 0, 1
	v_cndmask_b32_e64 v27, 0, -1, vcc
	v_sub_u16_e32 v35, 0, v35
	v_lshlrev_b16_e32 v36, 8, v36
	v_lshlrev_b16_e32 v40, 8, v27
	v_or_b32_sdwa v39, v35, v36 dst_sel:DWORD dst_unused:UNUSED_PAD src0_sel:BYTE_0 src1_sel:DWORD
	v_or_b32_sdwa v27, v38, v40 dst_sel:WORD_1 dst_unused:UNUSED_PAD src0_sel:BYTE_0 src1_sel:DWORD
	v_bfe_u32 v47, v43, 5, 3
	v_or_b32_sdwa v39, v39, v27 dst_sel:DWORD dst_unused:UNUSED_PAD src0_sel:WORD_0 src1_sel:DWORD
	v_lshlrev_b32_sdwa v27, v33, v43 dst_sel:DWORD dst_unused:UNUSED_PAD src0_sel:DWORD src1_sel:BYTE_0
	v_lshrrev_b16_e32 v27, 7, v27
	v_bfe_i32 v48, v27, 0, 1
	v_bfe_u32 v27, v43, 7, 1
	v_cmp_ne_u16_e32 vcc, 0, v27
	v_bfe_i32 v47, v47, 0, 1
	v_bfe_i32 v46, v43, 4, 1
	v_cndmask_b32_e64 v27, 0, -1, vcc
	v_lshlrev_b16_e32 v47, 8, v47
	v_lshlrev_b16_e32 v50, 8, v27
	v_lshlrev_b32_e32 v26, 3, v26
	v_or_b32_sdwa v49, v46, v47 dst_sel:DWORD dst_unused:UNUSED_PAD src0_sel:BYTE_0 src1_sel:DWORD
	v_or_b32_sdwa v27, v48, v50 dst_sel:WORD_1 dst_unused:UNUSED_PAD src0_sel:BYTE_0 src1_sel:DWORD
	v_lshlrev_b16_e32 v35, 8, v35
	v_or_b32_sdwa v49, v49, v27 dst_sel:DWORD dst_unused:UNUSED_PAD src0_sel:WORD_0 src1_sel:DWORD
	global_load_dwordx2 v[26:27], v26, s[16:17]
	v_lshlrev_b16_e32 v38, 8, v38
	v_lshrrev_b16_e32 v37, 8, v8
	v_lshrrev_b32_e32 v41, 24, v8
	v_bfe_u32 v8, v8, 16, 8
	v_lshrrev_b32_e32 v44, 16, v43
	v_lshrrev_b32_e32 v45, 24, v43
	s_waitcnt vmcnt(0)
	v_xor_b32_e32 v26, v26, v39
	v_and_b32_e32 v39, 0xffffff00, v26
	v_sub_i16 v36, v39, v36 clamp
	v_lshlrev_b16_e32 v39, 8, v26
	v_and_b32_e32 v36, 0xffffff00, v36
	v_sub_i16 v35, v39, v35 clamp
	v_or_b32_sdwa v35, v35, v36 dst_sel:DWORD dst_unused:UNUSED_PAD src0_sel:BYTE_1 src1_sel:DWORD
	v_and_b32_sdwa v36, v26, s21 dst_sel:DWORD dst_unused:UNUSED_PAD src0_sel:WORD_1 src1_sel:DWORD
	v_sub_i16 v36, v36, v40 clamp
	v_lshlrev_b16_sdwa v26, v34, v26 dst_sel:DWORD dst_unused:UNUSED_PAD src0_sel:DWORD src1_sel:WORD_1
	v_and_b32_e32 v36, 0xffffff00, v36
	v_sub_i16 v26, v26, v38 clamp
	v_or_b32_sdwa v26, v26, v36 dst_sel:WORD_1 dst_unused:UNUSED_PAD src0_sel:BYTE_1 src1_sel:DWORD
	v_lshlrev_b16_e32 v38, 8, v46
	v_or_b32_sdwa v35, v35, v26 dst_sel:DWORD dst_unused:UNUSED_PAD src0_sel:WORD_0 src1_sel:DWORD
	v_xor_b32_e32 v26, v27, v49
	v_and_b32_e32 v27, 0xffffff00, v26
	v_sub_i16 v27, v27, v47 clamp
	v_lshlrev_b16_e32 v36, 8, v26
	v_and_b32_e32 v27, 0xffffff00, v27
	v_sub_i16 v36, v36, v38 clamp
	v_or_b32_sdwa v27, v36, v27 dst_sel:DWORD dst_unused:UNUSED_PAD src0_sel:BYTE_1 src1_sel:DWORD
	v_and_b32_sdwa v36, v26, s21 dst_sel:DWORD dst_unused:UNUSED_PAD src0_sel:WORD_1 src1_sel:DWORD
	v_sub_i16 v36, v36, v50 clamp
	v_lshlrev_b16_sdwa v26, v34, v26 dst_sel:DWORD dst_unused:UNUSED_PAD src0_sel:DWORD src1_sel:WORD_1
	v_lshlrev_b16_e32 v38, 8, v48
	v_and_b32_e32 v36, 0xffffff00, v36
	v_sub_i16 v26, v26, v38 clamp
	v_or_b32_sdwa v26, v26, v36 dst_sel:WORD_1 dst_unused:UNUSED_PAD src0_sel:BYTE_1 src1_sel:DWORD
	v_lshlrev_b16_e32 v38, 7, v43
	v_or_b32_sdwa v36, v27, v26 dst_sel:DWORD dst_unused:UNUSED_PAD src0_sel:WORD_0 src1_sel:DWORD
	v_lshrrev_b16_e32 v27, 8, v43
	v_lshlrev_b32_e32 v26, 6, v42
	v_bfe_u32 v40, v27, 3, 1
	v_and_or_b32 v26, v26, s20, v37
	v_lshlrev_b32_e32 v37, 5, v27
	v_lshrrev_b32_e32 v39, 1, v27
	v_cmp_ne_u16_e32 vcc, 0, v40
	v_bfe_i32 v39, v39, 0, 1
	v_lshrrev_b16_e32 v37, 7, v37
	v_cndmask_b32_e64 v40, 0, -1, vcc
	v_ashrrev_i16_e32 v38, 15, v38
	v_bfe_i32 v37, v37, 0, 1
	v_lshlrev_b16_e32 v39, 8, v39
	v_lshlrev_b16_e32 v40, 8, v40
	v_or_b32_sdwa v46, v38, v39 dst_sel:DWORD dst_unused:UNUSED_PAD src0_sel:BYTE_0 src1_sel:DWORD
	v_or_b32_sdwa v47, v37, v40 dst_sel:WORD_1 dst_unused:UNUSED_PAD src0_sel:BYTE_0 src1_sel:DWORD
	v_bfe_i32 v48, v27, 4, 1
	v_or_b32_sdwa v46, v46, v47 dst_sel:DWORD dst_unused:UNUSED_PAD src0_sel:WORD_0 src1_sel:DWORD
	v_lshlrev_b32_e32 v47, 1, v27
	v_lshrrev_b32_e32 v49, 5, v27
	v_lshrrev_b32_e32 v27, 7, v27
	v_cmp_ne_u16_e32 vcc, 0, v27
	v_bfe_i32 v49, v49, 0, 1
	v_lshrrev_b16_e32 v47, 7, v47
	v_cndmask_b32_e64 v27, 0, -1, vcc
	v_bfe_i32 v47, v47, 0, 1
	v_lshlrev_b16_e32 v49, 8, v49
	v_lshlrev_b16_e32 v53, 8, v27
	v_lshlrev_b32_e32 v26, 3, v26
	v_or_b32_sdwa v51, v48, v49 dst_sel:DWORD dst_unused:UNUSED_PAD src0_sel:BYTE_0 src1_sel:DWORD
	v_or_b32_sdwa v27, v47, v53 dst_sel:WORD_1 dst_unused:UNUSED_PAD src0_sel:BYTE_0 src1_sel:DWORD
	v_lshlrev_b16_e32 v38, 8, v38
	v_or_b32_sdwa v51, v51, v27 dst_sel:DWORD dst_unused:UNUSED_PAD src0_sel:WORD_0 src1_sel:DWORD
	global_load_dwordx2 v[26:27], v26, s[16:17]
	v_lshlrev_b16_e32 v37, 8, v37
	v_mov_b32_e32 v50, 0
	v_dot4c_i32_i8_e32 v50, v35, v9
	v_dot4c_i32_i8_e32 v50, v36, v10
	s_waitcnt vmcnt(0)
	v_xor_b32_e32 v26, v26, v46
	v_and_b32_e32 v46, 0xffffff00, v26
	v_sub_i16 v39, v46, v39 clamp
	v_lshlrev_b16_e32 v46, 8, v26
	v_and_b32_e32 v39, 0xffffff00, v39
	v_sub_i16 v38, v46, v38 clamp
	v_or_b32_sdwa v38, v38, v39 dst_sel:DWORD dst_unused:UNUSED_PAD src0_sel:BYTE_1 src1_sel:DWORD
	v_and_b32_sdwa v39, v26, s21 dst_sel:DWORD dst_unused:UNUSED_PAD src0_sel:WORD_1 src1_sel:DWORD
	v_sub_i16 v39, v39, v40 clamp
	v_lshlrev_b16_sdwa v26, v34, v26 dst_sel:DWORD dst_unused:UNUSED_PAD src0_sel:DWORD src1_sel:WORD_1
	v_and_b32_e32 v39, 0xffffff00, v39
	v_sub_i16 v26, v26, v37 clamp
	v_or_b32_sdwa v26, v26, v39 dst_sel:WORD_1 dst_unused:UNUSED_PAD src0_sel:BYTE_1 src1_sel:DWORD
	v_lshlrev_b16_e32 v39, 8, v48
	v_or_b32_sdwa v37, v38, v26 dst_sel:DWORD dst_unused:UNUSED_PAD src0_sel:WORD_0 src1_sel:DWORD
	v_xor_b32_e32 v26, v27, v51
	v_and_b32_e32 v27, 0xffffff00, v26
	v_sub_i16 v27, v27, v49 clamp
	v_lshlrev_b16_e32 v38, 8, v26
	v_and_b32_e32 v27, 0xffffff00, v27
	v_sub_i16 v38, v38, v39 clamp
	v_or_b32_sdwa v27, v38, v27 dst_sel:DWORD dst_unused:UNUSED_PAD src0_sel:BYTE_1 src1_sel:DWORD
	v_and_b32_sdwa v38, v26, s21 dst_sel:DWORD dst_unused:UNUSED_PAD src0_sel:WORD_1 src1_sel:DWORD
	v_sub_i16 v38, v38, v53 clamp
	v_lshlrev_b16_sdwa v26, v34, v26 dst_sel:DWORD dst_unused:UNUSED_PAD src0_sel:DWORD src1_sel:WORD_1
	v_lshlrev_b16_e32 v39, 8, v47
	v_and_b32_e32 v38, 0xffffff00, v38
	v_sub_i16 v26, v26, v39 clamp
	v_or_b32_sdwa v26, v26, v38 dst_sel:WORD_1 dst_unused:UNUSED_PAD src0_sel:BYTE_1 src1_sel:DWORD
	v_bfe_i32 v49, v43, 20, 1
	v_or_b32_sdwa v38, v27, v26 dst_sel:DWORD dst_unused:UNUSED_PAD src0_sel:WORD_0 src1_sel:DWORD
	v_lshlrev_b32_e32 v26, 4, v42
	v_and_or_b32 v8, v26, s20, v8
	v_lshlrev_b32_sdwa v26, v32, v43 dst_sel:DWORD dst_unused:UNUSED_PAD src0_sel:DWORD src1_sel:BYTE_2
	v_lshrrev_b16_e32 v26, 7, v26
	v_and_b32_e32 v27, 1, v44
	v_bfe_i32 v40, v26, 0, 1
	v_bfe_u32 v26, v43, 19, 1
	v_sub_u16_e32 v39, 0, v27
	v_bfe_u32 v27, v44, 1, 7
	v_cmp_ne_u16_e32 vcc, 0, v26
	v_bfe_i32 v27, v27, 0, 1
	v_lshlrev_b16_e32 v46, 8, v27
	v_cndmask_b32_e64 v26, 0, -1, vcc
	v_lshlrev_b16_e32 v47, 8, v26
	v_or_b32_sdwa v27, v39, v46 dst_sel:DWORD dst_unused:UNUSED_PAD src0_sel:BYTE_0 src1_sel:DWORD
	v_or_b32_sdwa v26, v40, v47 dst_sel:WORD_1 dst_unused:UNUSED_PAD src0_sel:BYTE_0 src1_sel:DWORD
	v_lshlrev_b32_e32 v8, 3, v8
	v_or_b32_sdwa v48, v27, v26 dst_sel:DWORD dst_unused:UNUSED_PAD src0_sel:WORD_0 src1_sel:DWORD
	v_lshlrev_b32_sdwa v26, v33, v43 dst_sel:DWORD dst_unused:UNUSED_PAD src0_sel:DWORD src1_sel:BYTE_2
	v_lshrrev_b16_e32 v26, 7, v26
	v_bfe_i32 v51, v26, 0, 1
	v_bfe_u32 v26, v44, 7, 1
	v_bfe_u32 v27, v44, 5, 3
	v_cmp_ne_u16_e32 vcc, 0, v26
	v_bfe_i32 v27, v27, 0, 1
	v_lshlrev_b16_e32 v53, 8, v27
	v_cndmask_b32_e64 v26, 0, -1, vcc
	v_lshlrev_b16_e32 v54, 8, v26
	v_or_b32_sdwa v27, v49, v53 dst_sel:DWORD dst_unused:UNUSED_PAD src0_sel:BYTE_0 src1_sel:DWORD
	v_or_b32_sdwa v26, v51, v54 dst_sel:WORD_1 dst_unused:UNUSED_PAD src0_sel:BYTE_0 src1_sel:DWORD
	v_lshlrev_b16_e32 v39, 8, v39
	v_or_b32_sdwa v55, v27, v26 dst_sel:DWORD dst_unused:UNUSED_PAD src0_sel:WORD_0 src1_sel:DWORD
	global_load_dwordx2 v[26:27], v8, s[16:17]
	v_lshlrev_b16_e32 v40, 8, v40
	v_dot4c_i32_i8_e32 v50, v37, v11
	v_dot4c_i32_i8_e32 v50, v38, v4
	s_waitcnt vmcnt(0)
	v_xor_b32_e32 v8, v26, v48
	v_and_b32_e32 v26, 0xffffff00, v8
	v_sub_i16 v26, v26, v46 clamp
	v_lshlrev_b16_e32 v46, 8, v8
	v_and_b32_e32 v26, 0xffffff00, v26
	v_sub_i16 v39, v46, v39 clamp
	v_or_b32_sdwa v26, v39, v26 dst_sel:DWORD dst_unused:UNUSED_PAD src0_sel:BYTE_1 src1_sel:DWORD
	v_and_b32_sdwa v39, v8, s21 dst_sel:DWORD dst_unused:UNUSED_PAD src0_sel:WORD_1 src1_sel:DWORD
	v_sub_i16 v39, v39, v47 clamp
	v_lshlrev_b16_sdwa v8, v34, v8 dst_sel:DWORD dst_unused:UNUSED_PAD src0_sel:DWORD src1_sel:WORD_1
	v_and_b32_e32 v39, 0xffffff00, v39
	v_sub_i16 v8, v8, v40 clamp
	v_or_b32_sdwa v8, v8, v39 dst_sel:WORD_1 dst_unused:UNUSED_PAD src0_sel:BYTE_1 src1_sel:DWORD
	v_lshlrev_b16_e32 v40, 8, v49
	v_or_b32_sdwa v39, v26, v8 dst_sel:DWORD dst_unused:UNUSED_PAD src0_sel:WORD_0 src1_sel:DWORD
	v_xor_b32_e32 v8, v27, v55
	v_and_b32_e32 v26, 0xffffff00, v8
	v_sub_i16 v26, v26, v53 clamp
	v_lshlrev_b16_e32 v27, 8, v8
	v_and_b32_e32 v26, 0xffffff00, v26
	v_sub_i16 v27, v27, v40 clamp
	v_or_b32_sdwa v26, v27, v26 dst_sel:DWORD dst_unused:UNUSED_PAD src0_sel:BYTE_1 src1_sel:DWORD
	v_and_b32_sdwa v27, v8, s21 dst_sel:DWORD dst_unused:UNUSED_PAD src0_sel:WORD_1 src1_sel:DWORD
	v_sub_i16 v27, v27, v54 clamp
	v_lshlrev_b16_sdwa v8, v34, v8 dst_sel:DWORD dst_unused:UNUSED_PAD src0_sel:DWORD src1_sel:WORD_1
	v_lshlrev_b16_e32 v40, 8, v51
	v_and_b32_e32 v27, 0xffffff00, v27
	v_sub_i16 v8, v8, v40 clamp
	v_or_b32_sdwa v8, v8, v27 dst_sel:WORD_1 dst_unused:UNUSED_PAD src0_sel:BYTE_1 src1_sel:DWORD
	v_lshlrev_b16_e32 v27, 7, v44
	v_or_b32_sdwa v40, v26, v8 dst_sel:DWORD dst_unused:UNUSED_PAD src0_sel:WORD_0 src1_sel:DWORD
	v_lshlrev_b32_e32 v26, 5, v45
	v_lshrrev_b16_e32 v26, 7, v26
	v_lshlrev_b32_e32 v8, 2, v42
	v_bfe_i32 v42, v26, 0, 1
	v_bfe_u32 v26, v43, 27, 1
	v_and_or_b32 v8, v8, s20, v41
	v_ashrrev_i16_e32 v41, 15, v27
	v_lshrrev_b32_e32 v27, 25, v43
	v_cmp_ne_u16_e32 vcc, 0, v26
	v_bfe_i32 v27, v27, 0, 1
	v_lshlrev_b16_e32 v44, 8, v27
	v_cndmask_b32_e64 v26, 0, -1, vcc
	v_lshlrev_b16_e32 v46, 8, v26
	v_or_b32_sdwa v27, v41, v44 dst_sel:DWORD dst_unused:UNUSED_PAD src0_sel:BYTE_0 src1_sel:DWORD
	v_or_b32_sdwa v26, v42, v46 dst_sel:WORD_1 dst_unused:UNUSED_PAD src0_sel:BYTE_0 src1_sel:DWORD
	v_lshlrev_b32_e32 v8, 3, v8
	v_or_b32_sdwa v47, v27, v26 dst_sel:DWORD dst_unused:UNUSED_PAD src0_sel:WORD_0 src1_sel:DWORD
	v_lshlrev_b32_e32 v26, 1, v45
	v_lshrrev_b16_e32 v26, 7, v26
	v_bfe_i32 v48, v26, 0, 1
	v_lshrrev_b32_e32 v26, 31, v43
	v_lshrrev_b32_e32 v27, 29, v43
	v_cmp_ne_u16_e32 vcc, 0, v26
	v_bfe_i32 v27, v27, 0, 1
	v_bfe_i32 v45, v45, 4, 1
	v_cndmask_b32_e64 v26, 0, -1, vcc
	v_lshlrev_b16_e32 v43, 8, v27
	v_lshlrev_b16_e32 v49, 8, v26
	v_or_b32_sdwa v27, v45, v43 dst_sel:DWORD dst_unused:UNUSED_PAD src0_sel:BYTE_0 src1_sel:DWORD
	v_or_b32_sdwa v26, v48, v49 dst_sel:WORD_1 dst_unused:UNUSED_PAD src0_sel:BYTE_0 src1_sel:DWORD
	v_lshlrev_b16_e32 v41, 8, v41
	v_or_b32_sdwa v53, v27, v26 dst_sel:DWORD dst_unused:UNUSED_PAD src0_sel:WORD_0 src1_sel:DWORD
	global_load_dwordx2 v[26:27], v8, s[16:17]
	v_lshlrev_b16_e32 v42, 8, v42
	v_mov_b32_e32 v51, 0
	v_dot4c_i32_i8_e32 v51, v39, v5
	v_dot4c_i32_i8_e32 v51, v40, v6
	s_waitcnt vmcnt(0)
	v_xor_b32_e32 v8, v26, v47
	v_and_b32_e32 v26, 0xffffff00, v8
	v_sub_i16 v26, v26, v44 clamp
	v_lshlrev_b16_e32 v44, 8, v8
	v_and_b32_e32 v26, 0xffffff00, v26
	v_sub_i16 v41, v44, v41 clamp
	v_or_b32_sdwa v26, v41, v26 dst_sel:DWORD dst_unused:UNUSED_PAD src0_sel:BYTE_1 src1_sel:DWORD
	v_and_b32_sdwa v41, v8, s21 dst_sel:DWORD dst_unused:UNUSED_PAD src0_sel:WORD_1 src1_sel:DWORD
	v_sub_i16 v41, v41, v46 clamp
	v_lshlrev_b16_sdwa v8, v34, v8 dst_sel:DWORD dst_unused:UNUSED_PAD src0_sel:DWORD src1_sel:WORD_1
	v_and_b32_e32 v41, 0xffffff00, v41
	v_sub_i16 v8, v8, v42 clamp
	v_or_b32_sdwa v8, v8, v41 dst_sel:WORD_1 dst_unused:UNUSED_PAD src0_sel:BYTE_1 src1_sel:DWORD
	v_lshlrev_b16_e32 v42, 8, v45
	v_or_b32_sdwa v41, v26, v8 dst_sel:DWORD dst_unused:UNUSED_PAD src0_sel:WORD_0 src1_sel:DWORD
	v_xor_b32_e32 v8, v27, v53
	v_and_b32_e32 v26, 0xffffff00, v8
	v_sub_i16 v26, v26, v43 clamp
	v_lshlrev_b16_e32 v27, 8, v8
	v_and_b32_e32 v26, 0xffffff00, v26
	v_sub_i16 v27, v27, v42 clamp
	v_or_b32_sdwa v26, v27, v26 dst_sel:DWORD dst_unused:UNUSED_PAD src0_sel:BYTE_1 src1_sel:DWORD
	v_and_b32_sdwa v27, v8, s21 dst_sel:DWORD dst_unused:UNUSED_PAD src0_sel:WORD_1 src1_sel:DWORD
	v_sub_i16 v27, v27, v49 clamp
	v_lshlrev_b16_sdwa v8, v34, v8 dst_sel:DWORD dst_unused:UNUSED_PAD src0_sel:DWORD src1_sel:WORD_1
	v_lshlrev_b16_e32 v42, 8, v48
	v_and_b32_e32 v27, 0xffffff00, v27
	v_sub_i16 v8, v8, v42 clamp
	v_or_b32_sdwa v8, v8, v27 dst_sel:WORD_1 dst_unused:UNUSED_PAD src0_sel:BYTE_1 src1_sel:DWORD
	v_dot4c_i32_i8_e32 v51, v41, v7
	v_or_b32_sdwa v42, v26, v8 dst_sel:DWORD dst_unused:UNUSED_PAD src0_sel:WORD_0 src1_sel:DWORD
	global_load_ushort v8, v[24:25], off
	v_add_u32_e32 v24, s15, v30
	v_mad_i64_i32 v[24:25], s[22:23], v24, s19, v[16:17]
	v_lshl_add_u64 v[44:45], v[24:25], 0, v[18:19]
	global_load_dword v43, v[44:45], off offset:2
	v_lshl_add_u64 v[26:27], v[24:25], 0, v[12:13]
	global_load_ubyte v55, v[26:27], off offset:66
	global_load_dword v56, v[44:45], off offset:34
	v_dot4c_i32_i8_e32 v51, v42, v52
	v_add_u32_e32 v30, 16, v30
	s_waitcnt vmcnt(3)
	v_cvt_f32_f16_e32 v8, v8
	s_waitcnt vmcnt(2)
	v_and_b32_e32 v44, 0xff, v43
	s_waitcnt vmcnt(1)
	v_lshlrev_b32_e32 v45, 8, v55
	v_and_or_b32 v44, v45, s20, v44
	s_waitcnt vmcnt(0)
	v_lshlrev_b32_sdwa v45, v32, v56 dst_sel:DWORD dst_unused:UNUSED_PAD src0_sel:DWORD src1_sel:BYTE_0
	v_lshrrev_b16_e32 v45, 7, v45
	v_bfe_i32 v49, v45, 0, 1
	v_bfe_u32 v45, v56, 3, 1
	v_bfe_u32 v47, v56, 1, 7
	v_cmp_ne_u16_e32 vcc, 0, v45
	v_and_b32_e32 v46, 1, v56
	v_bfe_i32 v47, v47, 0, 1
	v_cndmask_b32_e64 v45, 0, -1, vcc
	v_sub_u16_e32 v46, 0, v46
	v_lshlrev_b16_e32 v47, 8, v47
	v_lshlrev_b16_e32 v59, 8, v45
	v_or_b32_sdwa v53, v46, v47 dst_sel:DWORD dst_unused:UNUSED_PAD src0_sel:BYTE_0 src1_sel:DWORD
	v_or_b32_sdwa v45, v49, v59 dst_sel:WORD_1 dst_unused:UNUSED_PAD src0_sel:BYTE_0 src1_sel:DWORD
	v_bfe_u32 v61, v56, 5, 3
	v_or_b32_sdwa v53, v53, v45 dst_sel:DWORD dst_unused:UNUSED_PAD src0_sel:WORD_0 src1_sel:DWORD
	v_lshlrev_b32_sdwa v45, v33, v56 dst_sel:DWORD dst_unused:UNUSED_PAD src0_sel:DWORD src1_sel:BYTE_0
	v_lshrrev_b16_e32 v45, 7, v45
	v_bfe_i32 v62, v45, 0, 1
	v_bfe_u32 v45, v56, 7, 1
	v_cmp_ne_u16_e32 vcc, 0, v45
	v_bfe_i32 v61, v61, 0, 1
	v_bfe_i32 v60, v56, 4, 1
	v_cndmask_b32_e64 v45, 0, -1, vcc
	v_lshlrev_b16_e32 v61, 8, v61
	v_lshlrev_b16_e32 v64, 8, v45
	v_lshlrev_b32_e32 v44, 3, v44
	v_or_b32_sdwa v63, v60, v61 dst_sel:DWORD dst_unused:UNUSED_PAD src0_sel:BYTE_0 src1_sel:DWORD
	v_or_b32_sdwa v45, v62, v64 dst_sel:WORD_1 dst_unused:UNUSED_PAD src0_sel:BYTE_0 src1_sel:DWORD
	v_lshlrev_b16_e32 v46, 8, v46
	v_or_b32_sdwa v63, v63, v45 dst_sel:DWORD dst_unused:UNUSED_PAD src0_sel:WORD_0 src1_sel:DWORD
	global_load_dwordx2 v[44:45], v44, s[16:17]
	v_lshlrev_b16_e32 v49, 8, v49
	v_lshrrev_b16_e32 v48, 8, v43
	v_lshrrev_b32_e32 v54, 24, v43
	v_lshrrev_b32_e32 v57, 16, v56
	;; [unrolled: 1-line block ×3, first 2 shown]
	s_waitcnt vmcnt(0)
	v_xor_b32_e32 v44, v44, v53
	v_and_b32_e32 v53, 0xffffff00, v44
	v_sub_i16 v47, v53, v47 clamp
	v_lshlrev_b16_e32 v53, 8, v44
	v_and_b32_e32 v47, 0xffffff00, v47
	v_sub_i16 v46, v53, v46 clamp
	v_or_b32_sdwa v46, v46, v47 dst_sel:DWORD dst_unused:UNUSED_PAD src0_sel:BYTE_1 src1_sel:DWORD
	v_and_b32_sdwa v47, v44, s21 dst_sel:DWORD dst_unused:UNUSED_PAD src0_sel:WORD_1 src1_sel:DWORD
	v_sub_i16 v47, v47, v59 clamp
	v_lshlrev_b16_sdwa v44, v34, v44 dst_sel:DWORD dst_unused:UNUSED_PAD src0_sel:DWORD src1_sel:WORD_1
	v_and_b32_e32 v47, 0xffffff00, v47
	v_sub_i16 v44, v44, v49 clamp
	v_or_b32_sdwa v44, v44, v47 dst_sel:WORD_1 dst_unused:UNUSED_PAD src0_sel:BYTE_1 src1_sel:DWORD
	v_lshlrev_b16_e32 v49, 8, v60
	v_or_b32_sdwa v46, v46, v44 dst_sel:DWORD dst_unused:UNUSED_PAD src0_sel:WORD_0 src1_sel:DWORD
	v_xor_b32_e32 v44, v45, v63
	v_and_b32_e32 v45, 0xffffff00, v44
	v_sub_i16 v45, v45, v61 clamp
	v_lshlrev_b16_e32 v47, 8, v44
	v_and_b32_e32 v45, 0xffffff00, v45
	v_sub_i16 v47, v47, v49 clamp
	v_or_b32_sdwa v45, v47, v45 dst_sel:DWORD dst_unused:UNUSED_PAD src0_sel:BYTE_1 src1_sel:DWORD
	v_and_b32_sdwa v47, v44, s21 dst_sel:DWORD dst_unused:UNUSED_PAD src0_sel:WORD_1 src1_sel:DWORD
	v_sub_i16 v47, v47, v64 clamp
	v_lshlrev_b16_sdwa v44, v34, v44 dst_sel:DWORD dst_unused:UNUSED_PAD src0_sel:DWORD src1_sel:WORD_1
	v_lshlrev_b16_e32 v49, 8, v62
	v_and_b32_e32 v47, 0xffffff00, v47
	v_sub_i16 v44, v44, v49 clamp
	v_or_b32_sdwa v44, v44, v47 dst_sel:WORD_1 dst_unused:UNUSED_PAD src0_sel:BYTE_1 src1_sel:DWORD
	v_mov_b32_e32 v53, 0
	v_or_b32_sdwa v47, v45, v44 dst_sel:DWORD dst_unused:UNUSED_PAD src0_sel:WORD_0 src1_sel:DWORD
	v_dot4c_i32_i8_e32 v53, v46, v9
	v_dot4c_i32_i8_e32 v53, v47, v10
	v_lshrrev_b16_e32 v10, 8, v56
	v_lshlrev_b32_e32 v44, 5, v10
	v_lshrrev_b16_e32 v44, 7, v44
	v_lshlrev_b32_e32 v9, 6, v55
	v_lshlrev_b16_e32 v45, 7, v56
	v_bfe_i32 v49, v44, 0, 1
	v_bfe_u32 v44, v10, 3, 1
	v_and_or_b32 v9, v9, s20, v48
	v_ashrrev_i16_e32 v48, 15, v45
	v_lshrrev_b32_e32 v45, 1, v10
	v_cmp_ne_u16_e32 vcc, 0, v44
	v_bfe_i32 v45, v45, 0, 1
	v_lshlrev_b16_e32 v59, 8, v45
	v_cndmask_b32_e64 v44, 0, -1, vcc
	v_lshlrev_b16_e32 v60, 8, v44
	v_or_b32_sdwa v45, v48, v59 dst_sel:DWORD dst_unused:UNUSED_PAD src0_sel:BYTE_0 src1_sel:DWORD
	v_or_b32_sdwa v44, v49, v60 dst_sel:WORD_1 dst_unused:UNUSED_PAD src0_sel:BYTE_0 src1_sel:DWORD
	v_bfe_i32 v62, v10, 4, 1
	v_or_b32_sdwa v61, v45, v44 dst_sel:DWORD dst_unused:UNUSED_PAD src0_sel:WORD_0 src1_sel:DWORD
	v_lshlrev_b32_e32 v44, 1, v10
	v_lshrrev_b32_e32 v45, 5, v10
	v_lshrrev_b32_e32 v10, 7, v10
	v_cmp_ne_u16_e32 vcc, 0, v10
	v_bfe_i32 v45, v45, 0, 1
	v_lshrrev_b16_e32 v44, 7, v44
	v_cndmask_b32_e64 v10, 0, -1, vcc
	v_bfe_i32 v63, v44, 0, 1
	v_lshlrev_b16_e32 v64, 8, v45
	v_lshlrev_b16_e32 v10, 8, v10
	v_lshlrev_b32_e32 v9, 3, v9
	v_or_b32_sdwa v44, v62, v64 dst_sel:DWORD dst_unused:UNUSED_PAD src0_sel:BYTE_0 src1_sel:DWORD
	v_or_b32_sdwa v45, v63, v10 dst_sel:WORD_1 dst_unused:UNUSED_PAD src0_sel:BYTE_0 src1_sel:DWORD
	v_lshlrev_b16_e32 v48, 8, v48
	v_or_b32_sdwa v65, v44, v45 dst_sel:DWORD dst_unused:UNUSED_PAD src0_sel:WORD_0 src1_sel:DWORD
	global_load_dwordx2 v[44:45], v9, s[16:17]
	v_lshlrev_b16_e32 v49, 8, v49
	s_waitcnt vmcnt(0)
	v_xor_b32_e32 v9, v44, v61
	v_and_b32_e32 v44, 0xffffff00, v9
	v_sub_i16 v44, v44, v59 clamp
	v_lshlrev_b16_e32 v59, 8, v9
	v_and_b32_e32 v44, 0xffffff00, v44
	v_sub_i16 v48, v59, v48 clamp
	v_or_b32_sdwa v44, v48, v44 dst_sel:DWORD dst_unused:UNUSED_PAD src0_sel:BYTE_1 src1_sel:DWORD
	v_and_b32_sdwa v48, v9, s21 dst_sel:DWORD dst_unused:UNUSED_PAD src0_sel:WORD_1 src1_sel:DWORD
	v_sub_i16 v48, v48, v60 clamp
	v_lshlrev_b16_sdwa v9, v34, v9 dst_sel:DWORD dst_unused:UNUSED_PAD src0_sel:DWORD src1_sel:WORD_1
	v_and_b32_e32 v48, 0xffffff00, v48
	v_sub_i16 v9, v9, v49 clamp
	v_or_b32_sdwa v9, v9, v48 dst_sel:WORD_1 dst_unused:UNUSED_PAD src0_sel:BYTE_1 src1_sel:DWORD
	v_lshlrev_b16_e32 v49, 8, v62
	v_or_b32_sdwa v48, v44, v9 dst_sel:DWORD dst_unused:UNUSED_PAD src0_sel:WORD_0 src1_sel:DWORD
	v_xor_b32_e32 v9, v45, v65
	v_and_b32_e32 v44, 0xffffff00, v9
	v_sub_i16 v44, v44, v64 clamp
	v_lshlrev_b16_e32 v45, 8, v9
	v_and_b32_e32 v44, 0xffffff00, v44
	v_sub_i16 v45, v45, v49 clamp
	v_or_b32_sdwa v44, v45, v44 dst_sel:DWORD dst_unused:UNUSED_PAD src0_sel:BYTE_1 src1_sel:DWORD
	v_and_b32_sdwa v45, v9, s21 dst_sel:DWORD dst_unused:UNUSED_PAD src0_sel:WORD_1 src1_sel:DWORD
	v_sub_i16 v10, v45, v10 clamp
	v_lshlrev_b16_sdwa v9, v34, v9 dst_sel:DWORD dst_unused:UNUSED_PAD src0_sel:DWORD src1_sel:WORD_1
	v_lshlrev_b16_e32 v45, 8, v63
	v_and_b32_e32 v10, 0xffffff00, v10
	v_sub_i16 v9, v9, v45 clamp
	v_or_b32_sdwa v9, v9, v10 dst_sel:WORD_1 dst_unused:UNUSED_PAD src0_sel:BYTE_1 src1_sel:DWORD
	v_dot4c_i32_i8_e32 v53, v48, v11
	v_or_b32_sdwa v49, v44, v9 dst_sel:DWORD dst_unused:UNUSED_PAD src0_sel:WORD_0 src1_sel:DWORD
	v_dot4c_i32_i8_e32 v53, v49, v4
	v_bfe_u32 v4, v43, 16, 8
	v_lshlrev_b32_e32 v9, 4, v55
	v_bfe_u32 v43, v56, 19, 1
	v_and_or_b32 v4, v9, s20, v4
	v_lshlrev_b32_sdwa v9, v32, v56 dst_sel:DWORD dst_unused:UNUSED_PAD src0_sel:DWORD src1_sel:BYTE_2
	v_bfe_u32 v11, v57, 1, 7
	v_cmp_ne_u16_e32 vcc, 0, v43
	v_and_b32_e32 v10, 1, v57
	v_bfe_i32 v11, v11, 0, 1
	v_lshrrev_b16_e32 v9, 7, v9
	v_cndmask_b32_e64 v43, 0, -1, vcc
	v_sub_u16_e32 v10, 0, v10
	v_bfe_i32 v9, v9, 0, 1
	v_lshlrev_b16_e32 v11, 8, v11
	v_lshlrev_b16_e32 v43, 8, v43
	v_or_b32_sdwa v44, v10, v11 dst_sel:DWORD dst_unused:UNUSED_PAD src0_sel:BYTE_0 src1_sel:DWORD
	v_or_b32_sdwa v45, v9, v43 dst_sel:WORD_1 dst_unused:UNUSED_PAD src0_sel:BYTE_0 src1_sel:DWORD
	v_bfe_i32 v60, v56, 20, 1
	v_or_b32_sdwa v59, v44, v45 dst_sel:DWORD dst_unused:UNUSED_PAD src0_sel:WORD_0 src1_sel:DWORD
	v_lshlrev_b32_sdwa v44, v33, v56 dst_sel:DWORD dst_unused:UNUSED_PAD src0_sel:DWORD src1_sel:BYTE_2
	v_lshrrev_b16_e32 v44, 7, v44
	v_bfe_i32 v61, v44, 0, 1
	v_bfe_u32 v44, v57, 7, 1
	v_bfe_u32 v45, v57, 5, 3
	v_cmp_ne_u16_e32 vcc, 0, v44
	v_bfe_i32 v45, v45, 0, 1
	v_lshlrev_b16_e32 v62, 8, v45
	v_cndmask_b32_e64 v44, 0, -1, vcc
	v_lshlrev_b16_e32 v63, 8, v44
	v_lshlrev_b32_e32 v4, 3, v4
	v_or_b32_sdwa v45, v60, v62 dst_sel:DWORD dst_unused:UNUSED_PAD src0_sel:BYTE_0 src1_sel:DWORD
	v_or_b32_sdwa v44, v61, v63 dst_sel:WORD_1 dst_unused:UNUSED_PAD src0_sel:BYTE_0 src1_sel:DWORD
	v_lshlrev_b16_e32 v10, 8, v10
	v_or_b32_sdwa v64, v45, v44 dst_sel:DWORD dst_unused:UNUSED_PAD src0_sel:WORD_0 src1_sel:DWORD
	global_load_dwordx2 v[44:45], v4, s[16:17]
	v_lshlrev_b16_e32 v9, 8, v9
	s_waitcnt vmcnt(0)
	v_xor_b32_e32 v4, v44, v59
	v_and_b32_e32 v44, 0xffffff00, v4
	v_sub_i16 v11, v44, v11 clamp
	v_lshlrev_b16_e32 v44, 8, v4
	v_and_b32_e32 v11, 0xffffff00, v11
	v_sub_i16 v10, v44, v10 clamp
	v_or_b32_sdwa v10, v10, v11 dst_sel:DWORD dst_unused:UNUSED_PAD src0_sel:BYTE_1 src1_sel:DWORD
	v_and_b32_sdwa v11, v4, s21 dst_sel:DWORD dst_unused:UNUSED_PAD src0_sel:WORD_1 src1_sel:DWORD
	v_sub_i16 v11, v11, v43 clamp
	v_lshlrev_b16_sdwa v4, v34, v4 dst_sel:DWORD dst_unused:UNUSED_PAD src0_sel:DWORD src1_sel:WORD_1
	v_and_b32_e32 v11, 0xffffff00, v11
	v_sub_i16 v4, v4, v9 clamp
	v_or_b32_sdwa v4, v4, v11 dst_sel:WORD_1 dst_unused:UNUSED_PAD src0_sel:BYTE_1 src1_sel:DWORD
	v_lshlrev_b16_e32 v43, 8, v60
	v_or_b32_sdwa v11, v10, v4 dst_sel:DWORD dst_unused:UNUSED_PAD src0_sel:WORD_0 src1_sel:DWORD
	v_xor_b32_e32 v4, v45, v64
	v_and_b32_e32 v9, 0xffffff00, v4
	v_sub_i16 v9, v9, v62 clamp
	v_lshlrev_b16_e32 v10, 8, v4
	v_and_b32_e32 v9, 0xffffff00, v9
	v_sub_i16 v10, v10, v43 clamp
	v_or_b32_sdwa v9, v10, v9 dst_sel:DWORD dst_unused:UNUSED_PAD src0_sel:BYTE_1 src1_sel:DWORD
	v_and_b32_sdwa v10, v4, s21 dst_sel:DWORD dst_unused:UNUSED_PAD src0_sel:WORD_1 src1_sel:DWORD
	v_sub_i16 v10, v10, v63 clamp
	v_lshlrev_b16_sdwa v4, v34, v4 dst_sel:DWORD dst_unused:UNUSED_PAD src0_sel:DWORD src1_sel:WORD_1
	v_lshlrev_b16_e32 v43, 8, v61
	v_and_b32_e32 v10, 0xffffff00, v10
	v_sub_i16 v4, v4, v43 clamp
	v_or_b32_sdwa v4, v4, v10 dst_sel:WORD_1 dst_unused:UNUSED_PAD src0_sel:BYTE_1 src1_sel:DWORD
	v_lshrrev_b32_e32 v10, 25, v56
	v_or_b32_sdwa v43, v9, v4 dst_sel:DWORD dst_unused:UNUSED_PAD src0_sel:WORD_0 src1_sel:DWORD
	v_mov_b32_e32 v9, 0
	v_dot4c_i32_i8_e32 v9, v11, v5
	v_lshlrev_b32_e32 v5, 5, v58
	v_lshrrev_b16_e32 v5, 7, v5
	v_bfe_i32 v44, v5, 0, 1
	v_bfe_u32 v5, v56, 27, 1
	v_cmp_ne_u16_e32 vcc, 0, v5
	v_dot4c_i32_i8_e32 v9, v43, v6
	v_lshlrev_b32_e32 v4, 2, v55
	v_lshlrev_b16_e32 v6, 7, v57
	v_bfe_i32 v10, v10, 0, 1
	v_cndmask_b32_e64 v5, 0, -1, vcc
	v_and_or_b32 v4, v4, s20, v54
	v_ashrrev_i16_e32 v6, 15, v6
	v_lshlrev_b16_e32 v10, 8, v10
	v_lshlrev_b16_e32 v54, 8, v5
	v_or_b32_sdwa v45, v6, v10 dst_sel:DWORD dst_unused:UNUSED_PAD src0_sel:BYTE_0 src1_sel:DWORD
	v_or_b32_sdwa v5, v44, v54 dst_sel:WORD_1 dst_unused:UNUSED_PAD src0_sel:BYTE_0 src1_sel:DWORD
	v_bfe_i32 v55, v58, 4, 1
	v_or_b32_sdwa v45, v45, v5 dst_sel:DWORD dst_unused:UNUSED_PAD src0_sel:WORD_0 src1_sel:DWORD
	v_lshlrev_b32_e32 v5, 1, v58
	v_lshrrev_b16_e32 v5, 7, v5
	v_bfe_i32 v58, v5, 0, 1
	v_lshrrev_b32_e32 v5, 31, v56
	v_lshrrev_b32_e32 v57, 29, v56
	v_cmp_ne_u16_e32 vcc, 0, v5
	v_bfe_i32 v57, v57, 0, 1
	v_lshlrev_b16_e32 v56, 8, v57
	v_cndmask_b32_e64 v5, 0, -1, vcc
	v_lshlrev_b16_e32 v59, 8, v5
	v_lshlrev_b32_e32 v4, 3, v4
	v_or_b32_sdwa v57, v55, v56 dst_sel:DWORD dst_unused:UNUSED_PAD src0_sel:BYTE_0 src1_sel:DWORD
	v_or_b32_sdwa v5, v58, v59 dst_sel:WORD_1 dst_unused:UNUSED_PAD src0_sel:BYTE_0 src1_sel:DWORD
	v_lshlrev_b16_e32 v6, 8, v6
	v_or_b32_sdwa v57, v57, v5 dst_sel:DWORD dst_unused:UNUSED_PAD src0_sel:WORD_0 src1_sel:DWORD
	global_load_dwordx2 v[4:5], v4, s[16:17]
	v_lshlrev_b16_e32 v44, 8, v44
	v_cmp_le_u32_e32 vcc, s7, v30
	s_or_b64 s[8:9], vcc, s[8:9]
	s_waitcnt vmcnt(0)
	v_xor_b32_e32 v4, v4, v45
	v_and_b32_e32 v45, 0xffffff00, v4
	v_sub_i16 v10, v45, v10 clamp
	v_lshlrev_b16_e32 v45, 8, v4
	v_and_b32_e32 v10, 0xffffff00, v10
	v_sub_i16 v6, v45, v6 clamp
	v_or_b32_sdwa v6, v6, v10 dst_sel:DWORD dst_unused:UNUSED_PAD src0_sel:BYTE_1 src1_sel:DWORD
	v_and_b32_sdwa v10, v4, s21 dst_sel:DWORD dst_unused:UNUSED_PAD src0_sel:WORD_1 src1_sel:DWORD
	v_sub_i16 v10, v10, v54 clamp
	v_lshlrev_b16_sdwa v4, v34, v4 dst_sel:DWORD dst_unused:UNUSED_PAD src0_sel:DWORD src1_sel:WORD_1
	v_and_b32_e32 v10, 0xffffff00, v10
	v_sub_i16 v4, v4, v44 clamp
	v_or_b32_sdwa v4, v4, v10 dst_sel:WORD_1 dst_unused:UNUSED_PAD src0_sel:BYTE_1 src1_sel:DWORD
	v_lshlrev_b16_e32 v10, 8, v55
	v_or_b32_sdwa v44, v6, v4 dst_sel:DWORD dst_unused:UNUSED_PAD src0_sel:WORD_0 src1_sel:DWORD
	v_xor_b32_e32 v4, v5, v57
	v_and_b32_e32 v5, 0xffffff00, v4
	v_sub_i16 v5, v5, v56 clamp
	v_lshlrev_b16_e32 v6, 8, v4
	v_and_b32_e32 v5, 0xffffff00, v5
	v_sub_i16 v6, v6, v10 clamp
	v_or_b32_sdwa v5, v6, v5 dst_sel:DWORD dst_unused:UNUSED_PAD src0_sel:BYTE_1 src1_sel:DWORD
	v_and_b32_sdwa v6, v4, s21 dst_sel:DWORD dst_unused:UNUSED_PAD src0_sel:WORD_1 src1_sel:DWORD
	v_sub_i16 v6, v6, v59 clamp
	v_lshlrev_b16_sdwa v4, v34, v4 dst_sel:DWORD dst_unused:UNUSED_PAD src0_sel:DWORD src1_sel:WORD_1
	v_lshlrev_b16_e32 v10, 8, v58
	v_and_b32_e32 v6, 0xffffff00, v6
	v_sub_i16 v4, v4, v10 clamp
	v_or_b32_sdwa v4, v4, v6 dst_sel:WORD_1 dst_unused:UNUSED_PAD src0_sel:BYTE_1 src1_sel:DWORD
	v_dot4c_i32_i8_e32 v9, v44, v7
	v_or_b32_sdwa v45, v5, v4 dst_sel:DWORD dst_unused:UNUSED_PAD src0_sel:WORD_0 src1_sel:DWORD
	global_load_ushort v4, v[24:25], off
	global_load_ubyte v5, v[22:23], off offset:74
	global_load_ubyte v6, v[26:27], off offset:74
	v_add_u32_e32 v26, v51, v50
	v_lshrrev_b32_e32 v27, 31, v26
	v_dot4c_i32_i8_e32 v9, v45, v52
	v_add_u32_e32 v26, v26, v27
	v_ashrrev_i32_e32 v26, 1, v26
	s_waitcnt vmcnt(1)
	v_lshrrev_b32_e32 v23, 4, v5
	s_waitcnt vmcnt(0)
	v_lshrrev_b32_e32 v22, 4, v6
	v_and_b32_e32 v25, 15, v5
	v_mul_lo_u32 v5, v50, v25
	v_mul_lo_u32 v7, v51, v23
	;; [unrolled: 1-line block ×3, first 2 shown]
	v_add_u32_e32 v9, v9, v53
	v_lshrrev_b32_e32 v27, 31, v9
	v_add3_u32 v5, v7, v5, v26
	v_and_b32_e32 v24, 15, v6
	v_add_u32_e32 v9, v9, v27
	v_ashrrev_i32_e32 v7, 31, v5
	v_mul_lo_u32 v6, v53, v24
	v_ashrrev_i32_e32 v9, 1, v9
	v_lshrrev_b32_e32 v7, 30, v7
	v_add3_u32 v6, v10, v6, v9
	v_add_u32_e32 v5, v5, v7
	v_ashrrev_i32_e32 v10, 2, v5
	v_ashrrev_i32_e32 v5, 31, v6
	v_lshrrev_b32_e32 v5, 30, v5
	v_add_u32_e32 v5, v6, v5
	v_ashrrev_i32_e32 v6, 2, v5
	v_cvt_f32_f16_e32 v9, v4
	v_cvt_f32_i32_e32 v7, v6
	v_cvt_f32_i32_e32 v6, v10
	v_pk_mul_f32 v[4:5], v[20:21], v[8:9] op_sel_hi:[0,1]
	v_pk_fma_f32 v[0:1], v[4:5], v[6:7], v[0:1]
	v_mad_u64_u32 v[4:5], s[16:17], v31, 36, s[24:25]
	v_mad_u64_u32 v[26:27], s[16:17], v12, 36, v[4:5]
	global_load_dword v20, v[26:27], off offset:32
	global_load_dwordx4 v[4:7], v[26:27], off offset:16
	global_load_dwordx4 v[50:53], v[26:27], off
	v_mov_b32_e32 v26, 0
	v_mov_b32_e32 v27, 0
	v_add_u32_e32 v31, 0x80, v31
	s_waitcnt vmcnt(1)
	v_dot4c_i32_i8_e32 v27, v39, v5
	s_waitcnt vmcnt(0)
	v_dot4c_i32_i8_e32 v26, v35, v51
	v_mov_b32_e32 v35, 0
	v_dot4c_i32_i8_e32 v35, v46, v51
	v_dot4c_i32_i8_e32 v26, v36, v52
	;; [unrolled: 1-line block ×7, first 2 shown]
	v_mov_b32_e32 v4, 0
	v_dot4c_i32_i8_e32 v27, v40, v6
	v_dot4c_i32_i8_e32 v4, v11, v5
	;; [unrolled: 1-line block ×7, first 2 shown]
	v_mul_lo_u32 v5, v26, v25
	v_add_u32_e32 v20, v27, v26
	v_mul_lo_u32 v7, v27, v23
	v_mul_lo_u32 v11, v4, v22
	v_add_u32_e32 v4, v4, v35
	v_lshrrev_b32_e32 v22, 31, v20
	v_add_u32_e32 v20, v20, v22
	v_lshrrev_b32_e32 v22, 31, v4
	v_ashrrev_i32_e32 v20, 1, v20
	v_add_u32_e32 v4, v4, v22
	v_mul_lo_u32 v6, v35, v24
	v_ashrrev_i32_e32 v4, 1, v4
	v_add3_u32 v5, v7, v5, v20
	v_add3_u32 v4, v11, v6, v4
	v_ashrrev_i32_e32 v6, 31, v5
	v_lshrrev_b32_e32 v6, 30, v6
	v_add_u32_e32 v5, v5, v6
	v_ashrrev_i32_e32 v6, 2, v5
	v_ashrrev_i32_e32 v5, 31, v4
	v_lshrrev_b32_e32 v5, 30, v5
	v_add_u32_e32 v4, v4, v5
	v_cvt_f32_f16_e32 v10, v50
	v_ashrrev_i32_e32 v7, 2, v4
	v_cvt_f32_i32_e32 v7, v7
	v_cvt_f32_i32_e32 v6, v6
	v_pk_mul_f32 v[4:5], v[10:11], v[8:9] op_sel_hi:[0,1]
	v_pk_fma_f32 v[2:3], v[4:5], v[6:7], v[2:3]
	s_andn2_b64 exec, exec, s[8:9]
	s_cbranch_execnz .LBB185_2
; %bb.3:
	s_or_b64 exec, exec, s[8:9]
	ds_write_b128 v28, v[0:3]
.LBB185_4:
	s_or_b64 exec, exec, s[0:1]
	v_cmp_eq_u32_e32 vcc, 0, v29
	v_cmp_ne_u32_e64 s[0:1], 0, v29
	v_lshlrev_b32_e32 v4, 2, v21
	s_and_saveexec_b64 s[8:9], s[0:1]
	s_cbranch_execz .LBB185_6
; %bb.5:
	v_lshl_or_b32 v5, v29, 10, v4
	v_add_u32_e32 v5, 0xfffffc00, v5
	ds_write2st64_b32 v5, v0, v1 offset1:1
	ds_write2st64_b32 v5, v2, v3 offset0:2 offset1:3
.LBB185_6:
	s_or_b64 exec, exec, s[8:9]
	s_waitcnt lgkmcnt(0)
	s_barrier
	s_and_saveexec_b64 s[0:1], vcc
	s_cbranch_execz .LBB185_11
; %bb.7:
	v_mbcnt_lo_u32_b32 v0, -1, 0
	v_mbcnt_hi_u32_b32 v12, -1, v0
	ds_read2st64_b32 v[2:3], v4 offset1:1
	ds_read_b64 v[6:7], v28
	v_and_b32_e32 v0, 64, v12
	v_add_u32_e32 v13, 64, v0
	v_xor_b32_e32 v0, 32, v12
	v_cmp_lt_i32_e32 vcc, v0, v13
	s_waitcnt lgkmcnt(0)
	v_pk_add_f32 v[2:3], v[2:3], v[6:7]
	v_xor_b32_e32 v1, 16, v12
	v_cndmask_b32_e32 v0, v12, v0, vcc
	v_lshlrev_b32_e32 v0, 2, v0
	ds_bpermute_b32 v6, v0, v2
	ds_bpermute_b32 v7, v0, v3
	v_cmp_lt_i32_e32 vcc, v1, v13
	v_xor_b32_e32 v5, 2, v12
	s_load_dwordx2 s[0:1], s[2:3], 0x38
	v_cndmask_b32_e32 v1, v12, v1, vcc
	v_lshlrev_b32_e32 v1, 2, v1
	s_waitcnt lgkmcnt(0)
	v_pk_add_f32 v[6:7], v[2:3], v[6:7]
	ds_bpermute_b32 v8, v1, v6
	ds_bpermute_b32 v9, v1, v7
	v_xor_b32_e32 v2, 8, v12
	v_cmp_lt_i32_e32 vcc, v2, v13
	v_xor_b32_e32 v3, 4, v12
	s_mul_i32 s2, s5, s14
	v_cndmask_b32_e32 v2, v12, v2, vcc
	v_lshlrev_b32_e32 v2, 2, v2
	s_waitcnt lgkmcnt(0)
	v_pk_add_f32 v[6:7], v[6:7], v[8:9]
	ds_bpermute_b32 v8, v2, v6
	ds_bpermute_b32 v9, v2, v7
	v_cmp_lt_i32_e32 vcc, v3, v13
	s_mul_i32 s6, s6, s18
	s_add_i32 s2, s2, s4
	v_cndmask_b32_e32 v3, v12, v3, vcc
	v_lshlrev_b32_e32 v3, 2, v3
	s_waitcnt lgkmcnt(0)
	v_pk_add_f32 v[6:7], v[6:7], v[8:9]
	ds_bpermute_b32 v8, v3, v6
	ds_bpermute_b32 v9, v3, v7
	v_cmp_lt_i32_e32 vcc, v5, v13
	s_add_i32 s2, s2, s6
	s_mov_b32 s3, 0
	v_cndmask_b32_e32 v5, v12, v5, vcc
	v_lshlrev_b32_e32 v5, 2, v5
	s_waitcnt lgkmcnt(0)
	v_pk_add_f32 v[8:9], v[6:7], v[8:9]
	ds_bpermute_b32 v10, v5, v8
	ds_bpermute_b32 v11, v5, v9
	v_xor_b32_e32 v6, 1, v12
	v_cmp_lt_i32_e32 vcc, v6, v13
	s_lshl_b64 s[2:3], s[2:3], 2
	s_add_u32 s2, s0, s2
	v_cndmask_b32_e32 v6, v12, v6, vcc
	v_lshlrev_b32_e32 v6, 2, v6
	s_waitcnt lgkmcnt(0)
	v_pk_add_f32 v[8:9], v[8:9], v[10:11]
	ds_bpermute_b32 v10, v6, v8
	ds_bpermute_b32 v11, v6, v9
	v_or_b32_e32 v7, s4, v21
	s_addc_u32 s3, s1, s3
	v_cmp_gt_u32_e32 vcc, 2, v21
	v_cmp_gt_u32_e64 s[0:1], s10, v7
	s_and_b64 s[0:1], vcc, s[0:1]
	s_waitcnt lgkmcnt(0)
	v_pk_add_f32 v[8:9], v[8:9], v[10:11]
	ds_write_b64 v28, v[8:9]
	s_and_saveexec_b64 s[4:5], s[0:1]
	s_cbranch_execz .LBB185_9
; %bb.8:
	v_add_u32_e32 v7, v28, v4
	ds_read_b32 v7, v7
	s_waitcnt lgkmcnt(0)
	global_store_dword v4, v7, s[2:3]
.LBB185_9:
	s_or_b64 exec, exec, s[4:5]
	ds_read2st64_b32 v[8:9], v4 offset0:2 offset1:3
	ds_read_b64 v[10:11], v28 offset:8
	s_waitcnt lgkmcnt(0)
	v_pk_add_f32 v[8:9], v[8:9], v[10:11]
	ds_bpermute_b32 v10, v0, v8
	ds_bpermute_b32 v11, v0, v9
	s_waitcnt lgkmcnt(0)
	v_pk_add_f32 v[8:9], v[8:9], v[10:11]
	ds_bpermute_b32 v0, v1, v8
	ds_bpermute_b32 v1, v1, v9
	s_waitcnt lgkmcnt(0)
	v_pk_add_f32 v[0:1], v[8:9], v[0:1]
	ds_bpermute_b32 v8, v2, v0
	ds_bpermute_b32 v9, v2, v1
	s_waitcnt lgkmcnt(0)
	v_pk_add_f32 v[0:1], v[0:1], v[8:9]
	ds_bpermute_b32 v2, v3, v0
	ds_bpermute_b32 v3, v3, v1
	s_waitcnt lgkmcnt(0)
	v_pk_add_f32 v[0:1], v[0:1], v[2:3]
	ds_bpermute_b32 v2, v5, v0
	ds_bpermute_b32 v3, v5, v1
	s_waitcnt lgkmcnt(0)
	v_pk_add_f32 v[0:1], v[0:1], v[2:3]
	ds_bpermute_b32 v2, v6, v0
	ds_bpermute_b32 v3, v6, v1
	s_waitcnt lgkmcnt(0)
	v_pk_add_f32 v[0:1], v[0:1], v[2:3]
	ds_write_b64 v28, v[0:1] offset:8
	s_and_b64 exec, exec, s[0:1]
	s_cbranch_execz .LBB185_11
; %bb.10:
	v_lshl_add_u32 v0, v21, 2, v28
	ds_read_b32 v2, v0 offset:8
	v_add_u32_e32 v0, s10, v21
	v_mov_b32_e32 v1, 0
	v_lshl_add_u64 v[0:1], v[0:1], 2, s[2:3]
	s_waitcnt lgkmcnt(0)
	global_store_dword v[0:1], v2, off
.LBB185_11:
	s_endpgm
	.section	.rodata,"a",@progbits
	.p2align	6, 0x0
	.amdhsa_kernel _ZL13mul_mat_vec_qIL9ggml_type22ELi2ELb0ELb0EEvPKvS2_PKi31ggml_cuda_mm_fusion_args_devicePfj15HIP_vector_typeIjLj3EEjjjS8_jjjS8_jjjj
		.amdhsa_group_segment_fixed_size 3072
		.amdhsa_private_segment_fixed_size 0
		.amdhsa_kernarg_size 144
		.amdhsa_user_sgpr_count 4
		.amdhsa_user_sgpr_dispatch_ptr 1
		.amdhsa_user_sgpr_queue_ptr 0
		.amdhsa_user_sgpr_kernarg_segment_ptr 1
		.amdhsa_user_sgpr_dispatch_id 0
		.amdhsa_user_sgpr_kernarg_preload_length 0
		.amdhsa_user_sgpr_kernarg_preload_offset 0
		.amdhsa_user_sgpr_private_segment_size 0
		.amdhsa_uses_dynamic_stack 0
		.amdhsa_enable_private_segment 0
		.amdhsa_system_sgpr_workgroup_id_x 1
		.amdhsa_system_sgpr_workgroup_id_y 1
		.amdhsa_system_sgpr_workgroup_id_z 1
		.amdhsa_system_sgpr_workgroup_info 0
		.amdhsa_system_vgpr_workitem_id 2
		.amdhsa_next_free_vgpr 66
		.amdhsa_next_free_sgpr 30
		.amdhsa_accum_offset 68
		.amdhsa_reserve_vcc 1
		.amdhsa_float_round_mode_32 0
		.amdhsa_float_round_mode_16_64 0
		.amdhsa_float_denorm_mode_32 3
		.amdhsa_float_denorm_mode_16_64 3
		.amdhsa_dx10_clamp 1
		.amdhsa_ieee_mode 1
		.amdhsa_fp16_overflow 0
		.amdhsa_tg_split 0
		.amdhsa_exception_fp_ieee_invalid_op 0
		.amdhsa_exception_fp_denorm_src 0
		.amdhsa_exception_fp_ieee_div_zero 0
		.amdhsa_exception_fp_ieee_overflow 0
		.amdhsa_exception_fp_ieee_underflow 0
		.amdhsa_exception_fp_ieee_inexact 0
		.amdhsa_exception_int_div_zero 0
	.end_amdhsa_kernel
	.section	.text._ZL13mul_mat_vec_qIL9ggml_type22ELi2ELb0ELb0EEvPKvS2_PKi31ggml_cuda_mm_fusion_args_devicePfj15HIP_vector_typeIjLj3EEjjjS8_jjjS8_jjjj,"axG",@progbits,_ZL13mul_mat_vec_qIL9ggml_type22ELi2ELb0ELb0EEvPKvS2_PKi31ggml_cuda_mm_fusion_args_devicePfj15HIP_vector_typeIjLj3EEjjjS8_jjjS8_jjjj,comdat
.Lfunc_end185:
	.size	_ZL13mul_mat_vec_qIL9ggml_type22ELi2ELb0ELb0EEvPKvS2_PKi31ggml_cuda_mm_fusion_args_devicePfj15HIP_vector_typeIjLj3EEjjjS8_jjjS8_jjjj, .Lfunc_end185-_ZL13mul_mat_vec_qIL9ggml_type22ELi2ELb0ELb0EEvPKvS2_PKi31ggml_cuda_mm_fusion_args_devicePfj15HIP_vector_typeIjLj3EEjjjS8_jjjS8_jjjj
                                        ; -- End function
	.section	.AMDGPU.csdata,"",@progbits
; Kernel info:
; codeLenInByte = 5496
; NumSgprs: 36
; NumVgprs: 66
; NumAgprs: 0
; TotalNumVgprs: 66
; ScratchSize: 0
; MemoryBound: 0
; FloatMode: 240
; IeeeMode: 1
; LDSByteSize: 3072 bytes/workgroup (compile time only)
; SGPRBlocks: 4
; VGPRBlocks: 8
; NumSGPRsForWavesPerEU: 36
; NumVGPRsForWavesPerEU: 66
; AccumOffset: 68
; Occupancy: 7
; WaveLimiterHint : 0
; COMPUTE_PGM_RSRC2:SCRATCH_EN: 0
; COMPUTE_PGM_RSRC2:USER_SGPR: 4
; COMPUTE_PGM_RSRC2:TRAP_HANDLER: 0
; COMPUTE_PGM_RSRC2:TGID_X_EN: 1
; COMPUTE_PGM_RSRC2:TGID_Y_EN: 1
; COMPUTE_PGM_RSRC2:TGID_Z_EN: 1
; COMPUTE_PGM_RSRC2:TIDIG_COMP_CNT: 2
; COMPUTE_PGM_RSRC3_GFX90A:ACCUM_OFFSET: 16
; COMPUTE_PGM_RSRC3_GFX90A:TG_SPLIT: 0
	.section	.text._ZL13mul_mat_vec_qIL9ggml_type22ELi3ELb0ELb0EEvPKvS2_PKi31ggml_cuda_mm_fusion_args_devicePfj15HIP_vector_typeIjLj3EEjjjS8_jjjS8_jjjj,"axG",@progbits,_ZL13mul_mat_vec_qIL9ggml_type22ELi3ELb0ELb0EEvPKvS2_PKi31ggml_cuda_mm_fusion_args_devicePfj15HIP_vector_typeIjLj3EEjjjS8_jjjS8_jjjj,comdat
	.globl	_ZL13mul_mat_vec_qIL9ggml_type22ELi3ELb0ELb0EEvPKvS2_PKi31ggml_cuda_mm_fusion_args_devicePfj15HIP_vector_typeIjLj3EEjjjS8_jjjS8_jjjj ; -- Begin function _ZL13mul_mat_vec_qIL9ggml_type22ELi3ELb0ELb0EEvPKvS2_PKi31ggml_cuda_mm_fusion_args_devicePfj15HIP_vector_typeIjLj3EEjjjS8_jjjS8_jjjj
	.p2align	8
	.type	_ZL13mul_mat_vec_qIL9ggml_type22ELi3ELb0ELb0EEvPKvS2_PKi31ggml_cuda_mm_fusion_args_devicePfj15HIP_vector_typeIjLj3EEjjjS8_jjjS8_jjjj,@function
_ZL13mul_mat_vec_qIL9ggml_type22ELi3ELb0ELb0EEvPKvS2_PKi31ggml_cuda_mm_fusion_args_devicePfj15HIP_vector_typeIjLj3EEjjjS8_jjjS8_jjjj: ; @_ZL13mul_mat_vec_qIL9ggml_type22ELi3ELb0ELb0EEvPKvS2_PKi31ggml_cuda_mm_fusion_args_devicePfj15HIP_vector_typeIjLj3EEjjjS8_jjjS8_jjjj
; %bb.0:
	v_bfe_u32 v29, v0, 10, 10
	v_and_b32_e32 v28, 0x3ff, v0
	v_lshl_add_u32 v4, v29, 6, v28
	s_load_dword s6, s[0:1], 0x40
	s_load_dwordx4 s[8:11], s[0:1], 0x50
	s_load_dword s27, s[0:1], 0x60
	s_load_dwordx4 s[12:15], s[0:1], 0x68
	;; [unrolled: 2-line block ×3, first 2 shown]
	s_lshl_b32 s5, s2, 1
	s_waitcnt lgkmcnt(0)
	s_lshr_b32 s2, s6, 8
	v_mov_b32_e32 v0, 0
	v_lshrrev_b32_e32 v30, 3, v4
	v_mov_b32_e32 v1, v0
	v_mov_b32_e32 v2, v0
	;; [unrolled: 1-line block ×3, first 2 shown]
	v_cmp_gt_u32_e32 vcc, s2, v30
	v_mov_b32_e32 v13, v0
	v_mov_b32_e32 v12, v0
	scratch_store_dwordx2 off, v[0:1], off offset:16
	scratch_store_dwordx4 off, v[0:3], off
	s_and_saveexec_b64 s[6:7], vcc
	s_cbranch_execz .LBB186_4
; %bb.1:
	s_load_dwordx4 s[20:23], s[0:1], 0x0
	s_mul_i32 s17, s4, s17
	s_mul_i32 s24, s17, 36
	s_mul_i32 s13, s3, s13
	s_mul_hi_u32 s19, s17, 36
	s_waitcnt lgkmcnt(0)
	s_add_u32 s24, s22, s24
	s_addc_u32 s19, s23, s19
	s_mul_i32 s28, s13, 36
	s_mul_hi_u32 s29, s13, 36
	s_add_u32 s24, s24, s28
	s_mul_hi_u32 s11, s11, s3
	s_addc_u32 s25, s19, s29
	s_add_i32 s11, s3, s11
	s_lshr_b32 s11, s11, s27
	s_mul_i32 s11, s11, s12
	s_mul_hi_u32 s12, s15, s4
	s_add_i32 s12, s4, s12
	s_lshr_b32 s12, s12, s26
	s_mul_i32 s12, s12, s16
	s_add_i32 s15, s12, s11
	s_add_i32 s12, s5, 1
	s_mul_i32 s13, s5, s8
	s_mul_i32 s8, s8, s12
	s_add_i32 s11, s15, s13
	s_add_i32 s15, s15, s8
	v_lshlrev_b32_e32 v1, 3, v30
	s_movk_i32 s8, 0x120
	v_mov_b64_e32 v[2:3], s[28:29]
	v_add_u32_e32 v31, s9, v1
	v_lshl_add_u32 v32, s9, 1, v1
	v_mad_u64_u32 v[2:3], s[8:9], v30, s8, v[2:3]
	v_and_b32_e32 v14, 7, v28
	v_mad_u64_u32 v[2:3], s[8:9], s17, 36, v[2:3]
	v_mad_u64_u32 v[2:3], s[8:9], v14, 36, v[2:3]
	v_lshlrev_b32_e32 v0, 1, v14
	v_mov_b32_e32 v15, 0
	v_lshl_add_u64 v[2:3], v[2:3], 0, s[22:23]
	v_lshl_add_u64 v[16:17], v[2:3], 0, 32
	s_mov_b64 s[8:9], 0
	s_movk_i32 s19, 0x52
	v_mov_b64_e32 v[18:19], s[20:21]
	v_lshlrev_b32_e32 v20, 1, v0
	v_mov_b32_e32 v21, v15
	s_movk_i32 s20, 0x300
	s_movk_i32 s21, 0xff00
	s_mov_b64 s[12:13], 0x1200
	v_mov_b32_e32 v33, 5
	v_mov_b32_e32 v34, 1
	;; [unrolled: 1-line block ×9, first 2 shown]
.LBB186_2:                              ; =>This Inner Loop Header: Depth=1
	v_add_u32_e32 v22, s11, v30
	v_mad_i64_i32 v[24:25], s[16:17], v22, s19, v[18:19]
	v_lshl_add_u64 v[26:27], v[24:25], 0, v[20:21]
	global_load_dword v54, v[16:17], off
	global_load_dwordx4 v[4:7], v[16:17], off offset:-16
	global_load_dwordx4 v[8:11], v[16:17], off offset:-32
	global_load_dword v40, v[26:27], off offset:2
	v_lshl_add_u64 v[22:23], v[24:25], 0, v[14:15]
	global_load_ubyte v43, v[22:23], off offset:66
	global_load_dword v44, v[26:27], off offset:34
	s_getpc_b64 s[16:17]
	s_add_u32 s16, s16, _ZL9iq2s_grid@rel32@lo+4
	s_addc_u32 s17, s17, _ZL9iq2s_grid@rel32@hi+12
	v_lshl_add_u64 v[16:17], v[16:17], 0, s[12:13]
	s_waitcnt vmcnt(3)
	v_cvt_f32_f16_e32 v8, v8
	s_waitcnt vmcnt(2)
	v_and_b32_e32 v26, 0xff, v40
	s_waitcnt vmcnt(1)
	v_lshlrev_b32_e32 v27, 8, v43
	v_and_or_b32 v26, v27, s20, v26
	s_waitcnt vmcnt(0)
	v_lshlrev_b32_sdwa v27, v33, v44 dst_sel:DWORD dst_unused:UNUSED_PAD src0_sel:DWORD src1_sel:BYTE_0
	v_lshrrev_b16_e32 v27, 7, v27
	v_bfe_i32 v39, v27, 0, 1
	v_bfe_u32 v27, v44, 3, 1
	v_bfe_u32 v37, v44, 1, 7
	v_cmp_ne_u16_e32 vcc, 0, v27
	v_and_b32_e32 v36, 1, v44
	v_bfe_i32 v37, v37, 0, 1
	v_cndmask_b32_e64 v27, 0, -1, vcc
	v_sub_u16_e32 v36, 0, v36
	v_lshlrev_b16_e32 v37, 8, v37
	v_lshlrev_b16_e32 v47, 8, v27
	v_or_b32_sdwa v41, v36, v37 dst_sel:DWORD dst_unused:UNUSED_PAD src0_sel:BYTE_0 src1_sel:DWORD
	v_or_b32_sdwa v27, v39, v47 dst_sel:WORD_1 dst_unused:UNUSED_PAD src0_sel:BYTE_0 src1_sel:DWORD
	v_bfe_u32 v49, v44, 5, 3
	v_or_b32_sdwa v41, v41, v27 dst_sel:DWORD dst_unused:UNUSED_PAD src0_sel:WORD_0 src1_sel:DWORD
	v_lshlrev_b32_sdwa v27, v34, v44 dst_sel:DWORD dst_unused:UNUSED_PAD src0_sel:DWORD src1_sel:BYTE_0
	v_lshrrev_b16_e32 v27, 7, v27
	v_bfe_i32 v50, v27, 0, 1
	v_bfe_u32 v27, v44, 7, 1
	v_cmp_ne_u16_e32 vcc, 0, v27
	v_bfe_i32 v49, v49, 0, 1
	v_bfe_i32 v48, v44, 4, 1
	v_cndmask_b32_e64 v27, 0, -1, vcc
	v_lshlrev_b16_e32 v49, 8, v49
	v_lshlrev_b16_e32 v52, 8, v27
	v_lshlrev_b32_e32 v26, 3, v26
	v_or_b32_sdwa v51, v48, v49 dst_sel:DWORD dst_unused:UNUSED_PAD src0_sel:BYTE_0 src1_sel:DWORD
	v_or_b32_sdwa v27, v50, v52 dst_sel:WORD_1 dst_unused:UNUSED_PAD src0_sel:BYTE_0 src1_sel:DWORD
	v_lshlrev_b16_e32 v36, 8, v36
	v_or_b32_sdwa v51, v51, v27 dst_sel:DWORD dst_unused:UNUSED_PAD src0_sel:WORD_0 src1_sel:DWORD
	global_load_dwordx2 v[26:27], v26, s[16:17]
	v_lshlrev_b16_e32 v39, 8, v39
	v_lshrrev_b16_e32 v38, 8, v40
	v_lshrrev_b32_e32 v45, 16, v44
	v_lshrrev_b32_e32 v42, 24, v40
	;; [unrolled: 1-line block ×3, first 2 shown]
	s_waitcnt vmcnt(0)
	v_xor_b32_e32 v26, v26, v41
	v_and_b32_e32 v41, 0xffffff00, v26
	v_sub_i16 v37, v41, v37 clamp
	v_lshlrev_b16_e32 v41, 8, v26
	v_and_b32_e32 v37, 0xffffff00, v37
	v_sub_i16 v36, v41, v36 clamp
	v_or_b32_sdwa v36, v36, v37 dst_sel:DWORD dst_unused:UNUSED_PAD src0_sel:BYTE_1 src1_sel:DWORD
	v_and_b32_sdwa v37, v26, s21 dst_sel:DWORD dst_unused:UNUSED_PAD src0_sel:WORD_1 src1_sel:DWORD
	v_sub_i16 v37, v37, v47 clamp
	v_lshlrev_b16_sdwa v26, v35, v26 dst_sel:DWORD dst_unused:UNUSED_PAD src0_sel:DWORD src1_sel:WORD_1
	v_and_b32_e32 v37, 0xffffff00, v37
	v_sub_i16 v26, v26, v39 clamp
	v_or_b32_sdwa v26, v26, v37 dst_sel:WORD_1 dst_unused:UNUSED_PAD src0_sel:BYTE_1 src1_sel:DWORD
	v_lshlrev_b16_e32 v39, 8, v48
	v_or_b32_sdwa v36, v36, v26 dst_sel:DWORD dst_unused:UNUSED_PAD src0_sel:WORD_0 src1_sel:DWORD
	v_xor_b32_e32 v26, v27, v51
	v_and_b32_e32 v27, 0xffffff00, v26
	v_sub_i16 v27, v27, v49 clamp
	v_lshlrev_b16_e32 v37, 8, v26
	v_and_b32_e32 v27, 0xffffff00, v27
	v_sub_i16 v37, v37, v39 clamp
	v_or_b32_sdwa v27, v37, v27 dst_sel:DWORD dst_unused:UNUSED_PAD src0_sel:BYTE_1 src1_sel:DWORD
	v_and_b32_sdwa v37, v26, s21 dst_sel:DWORD dst_unused:UNUSED_PAD src0_sel:WORD_1 src1_sel:DWORD
	v_sub_i16 v37, v37, v52 clamp
	v_lshlrev_b16_sdwa v26, v35, v26 dst_sel:DWORD dst_unused:UNUSED_PAD src0_sel:DWORD src1_sel:WORD_1
	v_lshlrev_b16_e32 v39, 8, v50
	v_and_b32_e32 v37, 0xffffff00, v37
	v_sub_i16 v26, v26, v39 clamp
	v_or_b32_sdwa v26, v26, v37 dst_sel:WORD_1 dst_unused:UNUSED_PAD src0_sel:BYTE_1 src1_sel:DWORD
	v_lshlrev_b16_e32 v39, 7, v44
	v_or_b32_sdwa v37, v27, v26 dst_sel:DWORD dst_unused:UNUSED_PAD src0_sel:WORD_0 src1_sel:DWORD
	v_lshrrev_b16_e32 v27, 8, v44
	v_lshlrev_b32_e32 v26, 6, v43
	v_bfe_u32 v47, v27, 3, 1
	v_and_or_b32 v26, v26, s20, v38
	v_lshlrev_b32_e32 v38, 5, v27
	v_lshrrev_b32_e32 v41, 1, v27
	v_cmp_ne_u16_e32 vcc, 0, v47
	v_bfe_i32 v41, v41, 0, 1
	v_lshrrev_b16_e32 v38, 7, v38
	v_cndmask_b32_e64 v47, 0, -1, vcc
	v_ashrrev_i16_e32 v39, 15, v39
	v_bfe_i32 v38, v38, 0, 1
	v_lshlrev_b16_e32 v41, 8, v41
	v_lshlrev_b16_e32 v47, 8, v47
	v_or_b32_sdwa v48, v39, v41 dst_sel:DWORD dst_unused:UNUSED_PAD src0_sel:BYTE_0 src1_sel:DWORD
	v_or_b32_sdwa v49, v38, v47 dst_sel:WORD_1 dst_unused:UNUSED_PAD src0_sel:BYTE_0 src1_sel:DWORD
	v_bfe_i32 v50, v27, 4, 1
	v_or_b32_sdwa v48, v48, v49 dst_sel:DWORD dst_unused:UNUSED_PAD src0_sel:WORD_0 src1_sel:DWORD
	v_lshlrev_b32_e32 v49, 1, v27
	v_lshrrev_b32_e32 v52, 5, v27
	v_lshrrev_b32_e32 v27, 7, v27
	v_cmp_ne_u16_e32 vcc, 0, v27
	v_bfe_i32 v52, v52, 0, 1
	v_lshrrev_b16_e32 v49, 7, v49
	v_cndmask_b32_e64 v27, 0, -1, vcc
	v_bfe_i32 v49, v49, 0, 1
	v_lshlrev_b16_e32 v52, 8, v52
	v_lshlrev_b16_e32 v55, 8, v27
	v_lshlrev_b32_e32 v26, 3, v26
	v_or_b32_sdwa v53, v50, v52 dst_sel:DWORD dst_unused:UNUSED_PAD src0_sel:BYTE_0 src1_sel:DWORD
	v_or_b32_sdwa v27, v49, v55 dst_sel:WORD_1 dst_unused:UNUSED_PAD src0_sel:BYTE_0 src1_sel:DWORD
	v_lshlrev_b16_e32 v39, 8, v39
	v_or_b32_sdwa v53, v53, v27 dst_sel:DWORD dst_unused:UNUSED_PAD src0_sel:WORD_0 src1_sel:DWORD
	global_load_dwordx2 v[26:27], v26, s[16:17]
	v_lshlrev_b16_e32 v38, 8, v38
	v_mov_b32_e32 v51, 0
	v_dot4c_i32_i8_e32 v51, v36, v9
	v_dot4c_i32_i8_e32 v51, v37, v10
	s_waitcnt vmcnt(0)
	v_xor_b32_e32 v26, v26, v48
	v_and_b32_e32 v48, 0xffffff00, v26
	v_sub_i16 v41, v48, v41 clamp
	v_lshlrev_b16_e32 v48, 8, v26
	v_and_b32_e32 v41, 0xffffff00, v41
	v_sub_i16 v39, v48, v39 clamp
	v_or_b32_sdwa v39, v39, v41 dst_sel:DWORD dst_unused:UNUSED_PAD src0_sel:BYTE_1 src1_sel:DWORD
	v_and_b32_sdwa v41, v26, s21 dst_sel:DWORD dst_unused:UNUSED_PAD src0_sel:WORD_1 src1_sel:DWORD
	v_sub_i16 v41, v41, v47 clamp
	v_lshlrev_b16_sdwa v26, v35, v26 dst_sel:DWORD dst_unused:UNUSED_PAD src0_sel:DWORD src1_sel:WORD_1
	v_and_b32_e32 v41, 0xffffff00, v41
	v_sub_i16 v26, v26, v38 clamp
	v_or_b32_sdwa v26, v26, v41 dst_sel:WORD_1 dst_unused:UNUSED_PAD src0_sel:BYTE_1 src1_sel:DWORD
	v_lshlrev_b16_e32 v41, 8, v50
	v_or_b32_sdwa v38, v39, v26 dst_sel:DWORD dst_unused:UNUSED_PAD src0_sel:WORD_0 src1_sel:DWORD
	v_xor_b32_e32 v26, v27, v53
	v_and_b32_e32 v27, 0xffffff00, v26
	v_sub_i16 v27, v27, v52 clamp
	v_lshlrev_b16_e32 v39, 8, v26
	v_and_b32_e32 v27, 0xffffff00, v27
	v_sub_i16 v39, v39, v41 clamp
	v_or_b32_sdwa v27, v39, v27 dst_sel:DWORD dst_unused:UNUSED_PAD src0_sel:BYTE_1 src1_sel:DWORD
	v_and_b32_sdwa v39, v26, s21 dst_sel:DWORD dst_unused:UNUSED_PAD src0_sel:WORD_1 src1_sel:DWORD
	v_sub_i16 v39, v39, v55 clamp
	v_lshlrev_b16_sdwa v26, v35, v26 dst_sel:DWORD dst_unused:UNUSED_PAD src0_sel:DWORD src1_sel:WORD_1
	v_lshlrev_b16_e32 v41, 8, v49
	v_and_b32_e32 v39, 0xffffff00, v39
	v_sub_i16 v26, v26, v41 clamp
	v_or_b32_sdwa v26, v26, v39 dst_sel:WORD_1 dst_unused:UNUSED_PAD src0_sel:BYTE_1 src1_sel:DWORD
	v_bfe_u32 v41, v45, 1, 7
	v_or_b32_sdwa v39, v27, v26 dst_sel:DWORD dst_unused:UNUSED_PAD src0_sel:WORD_0 src1_sel:DWORD
	v_bfe_u32 v26, v40, 16, 8
	v_lshlrev_b32_e32 v27, 4, v43
	v_and_or_b32 v26, v27, s20, v26
	v_lshlrev_b32_sdwa v27, v33, v44 dst_sel:DWORD dst_unused:UNUSED_PAD src0_sel:DWORD src1_sel:BYTE_2
	v_lshrrev_b16_e32 v27, 7, v27
	v_bfe_i32 v47, v27, 0, 1
	v_bfe_u32 v27, v44, 19, 1
	v_cmp_ne_u16_e32 vcc, 0, v27
	v_and_b32_e32 v40, 1, v45
	v_bfe_i32 v41, v41, 0, 1
	v_cndmask_b32_e64 v27, 0, -1, vcc
	v_sub_u16_e32 v40, 0, v40
	v_lshlrev_b16_e32 v41, 8, v41
	v_lshlrev_b16_e32 v49, 8, v27
	v_or_b32_sdwa v48, v40, v41 dst_sel:DWORD dst_unused:UNUSED_PAD src0_sel:BYTE_0 src1_sel:DWORD
	v_or_b32_sdwa v27, v47, v49 dst_sel:WORD_1 dst_unused:UNUSED_PAD src0_sel:BYTE_0 src1_sel:DWORD
	v_bfe_u32 v52, v45, 5, 3
	v_or_b32_sdwa v48, v48, v27 dst_sel:DWORD dst_unused:UNUSED_PAD src0_sel:WORD_0 src1_sel:DWORD
	v_lshlrev_b32_sdwa v27, v34, v44 dst_sel:DWORD dst_unused:UNUSED_PAD src0_sel:DWORD src1_sel:BYTE_2
	v_lshrrev_b16_e32 v27, 7, v27
	v_bfe_i32 v53, v27, 0, 1
	v_bfe_u32 v27, v45, 7, 1
	v_cmp_ne_u16_e32 vcc, 0, v27
	v_bfe_i32 v52, v52, 0, 1
	v_bfe_i32 v50, v44, 20, 1
	v_cndmask_b32_e64 v27, 0, -1, vcc
	v_lshlrev_b16_e32 v52, 8, v52
	v_lshlrev_b16_e32 v56, 8, v27
	v_lshlrev_b32_e32 v26, 3, v26
	v_or_b32_sdwa v55, v50, v52 dst_sel:DWORD dst_unused:UNUSED_PAD src0_sel:BYTE_0 src1_sel:DWORD
	v_or_b32_sdwa v27, v53, v56 dst_sel:WORD_1 dst_unused:UNUSED_PAD src0_sel:BYTE_0 src1_sel:DWORD
	v_lshlrev_b16_e32 v40, 8, v40
	v_or_b32_sdwa v55, v55, v27 dst_sel:DWORD dst_unused:UNUSED_PAD src0_sel:WORD_0 src1_sel:DWORD
	global_load_dwordx2 v[26:27], v26, s[16:17]
	v_lshlrev_b16_e32 v47, 8, v47
	v_dot4c_i32_i8_e32 v51, v38, v11
	v_dot4c_i32_i8_e32 v51, v39, v4
	s_waitcnt vmcnt(0)
	v_xor_b32_e32 v26, v26, v48
	v_and_b32_e32 v48, 0xffffff00, v26
	v_sub_i16 v41, v48, v41 clamp
	v_lshlrev_b16_e32 v48, 8, v26
	v_and_b32_e32 v41, 0xffffff00, v41
	v_sub_i16 v40, v48, v40 clamp
	v_or_b32_sdwa v40, v40, v41 dst_sel:DWORD dst_unused:UNUSED_PAD src0_sel:BYTE_1 src1_sel:DWORD
	v_and_b32_sdwa v41, v26, s21 dst_sel:DWORD dst_unused:UNUSED_PAD src0_sel:WORD_1 src1_sel:DWORD
	v_sub_i16 v41, v41, v49 clamp
	v_lshlrev_b16_sdwa v26, v35, v26 dst_sel:DWORD dst_unused:UNUSED_PAD src0_sel:DWORD src1_sel:WORD_1
	v_and_b32_e32 v41, 0xffffff00, v41
	v_sub_i16 v26, v26, v47 clamp
	v_or_b32_sdwa v26, v26, v41 dst_sel:WORD_1 dst_unused:UNUSED_PAD src0_sel:BYTE_1 src1_sel:DWORD
	v_lshlrev_b16_e32 v47, 8, v50
	v_or_b32_sdwa v40, v40, v26 dst_sel:DWORD dst_unused:UNUSED_PAD src0_sel:WORD_0 src1_sel:DWORD
	v_xor_b32_e32 v26, v27, v55
	v_and_b32_e32 v27, 0xffffff00, v26
	v_sub_i16 v27, v27, v52 clamp
	v_lshlrev_b16_e32 v41, 8, v26
	v_and_b32_e32 v27, 0xffffff00, v27
	v_sub_i16 v41, v41, v47 clamp
	v_or_b32_sdwa v27, v41, v27 dst_sel:DWORD dst_unused:UNUSED_PAD src0_sel:BYTE_1 src1_sel:DWORD
	v_and_b32_sdwa v41, v26, s21 dst_sel:DWORD dst_unused:UNUSED_PAD src0_sel:WORD_1 src1_sel:DWORD
	v_sub_i16 v41, v41, v56 clamp
	v_lshlrev_b16_sdwa v26, v35, v26 dst_sel:DWORD dst_unused:UNUSED_PAD src0_sel:DWORD src1_sel:WORD_1
	v_lshlrev_b16_e32 v47, 8, v53
	v_and_b32_e32 v41, 0xffffff00, v41
	v_sub_i16 v26, v26, v47 clamp
	v_or_b32_sdwa v26, v26, v41 dst_sel:WORD_1 dst_unused:UNUSED_PAD src0_sel:BYTE_1 src1_sel:DWORD
	v_lshrrev_b32_e32 v49, 29, v44
	v_or_b32_sdwa v41, v27, v26 dst_sel:DWORD dst_unused:UNUSED_PAD src0_sel:WORD_0 src1_sel:DWORD
	v_lshlrev_b32_e32 v27, 5, v46
	v_lshlrev_b32_e32 v26, 2, v43
	v_lshrrev_b16_e32 v27, 7, v27
	v_and_or_b32 v26, v26, s20, v42
	v_lshlrev_b16_e32 v42, 7, v45
	v_bfe_i32 v45, v27, 0, 1
	v_bfe_u32 v27, v44, 27, 1
	v_lshrrev_b32_e32 v43, 25, v44
	v_cmp_ne_u16_e32 vcc, 0, v27
	v_bfe_i32 v43, v43, 0, 1
	v_ashrrev_i16_e32 v42, 15, v42
	v_cndmask_b32_e64 v27, 0, -1, vcc
	v_lshlrev_b16_e32 v43, 8, v43
	v_lshlrev_b16_e32 v48, 8, v27
	v_or_b32_sdwa v47, v42, v43 dst_sel:DWORD dst_unused:UNUSED_PAD src0_sel:BYTE_0 src1_sel:DWORD
	v_or_b32_sdwa v27, v45, v48 dst_sel:WORD_1 dst_unused:UNUSED_PAD src0_sel:BYTE_0 src1_sel:DWORD
	v_bfe_i32 v49, v49, 0, 1
	v_or_b32_sdwa v47, v47, v27 dst_sel:DWORD dst_unused:UNUSED_PAD src0_sel:WORD_0 src1_sel:DWORD
	v_lshlrev_b32_e32 v27, 1, v46
	v_lshrrev_b16_e32 v27, 7, v27
	v_bfe_i32 v50, v27, 0, 1
	v_lshrrev_b32_e32 v27, 31, v44
	v_cmp_ne_u16_e32 vcc, 0, v27
	v_bfe_i32 v46, v46, 4, 1
	v_lshlrev_b16_e32 v44, 8, v49
	v_cndmask_b32_e64 v27, 0, -1, vcc
	v_lshlrev_b16_e32 v53, 8, v27
	v_lshlrev_b32_e32 v26, 3, v26
	v_or_b32_sdwa v49, v46, v44 dst_sel:DWORD dst_unused:UNUSED_PAD src0_sel:BYTE_0 src1_sel:DWORD
	v_or_b32_sdwa v27, v50, v53 dst_sel:WORD_1 dst_unused:UNUSED_PAD src0_sel:BYTE_0 src1_sel:DWORD
	v_lshlrev_b16_e32 v42, 8, v42
	v_or_b32_sdwa v49, v49, v27 dst_sel:DWORD dst_unused:UNUSED_PAD src0_sel:WORD_0 src1_sel:DWORD
	global_load_dwordx2 v[26:27], v26, s[16:17]
	v_lshlrev_b16_e32 v45, 8, v45
	v_mov_b32_e32 v52, 0
	v_dot4c_i32_i8_e32 v52, v40, v5
	v_dot4c_i32_i8_e32 v52, v41, v6
	s_waitcnt vmcnt(0)
	v_xor_b32_e32 v26, v26, v47
	v_and_b32_e32 v47, 0xffffff00, v26
	v_sub_i16 v43, v47, v43 clamp
	v_lshlrev_b16_e32 v47, 8, v26
	v_and_b32_e32 v43, 0xffffff00, v43
	v_sub_i16 v42, v47, v42 clamp
	v_or_b32_sdwa v42, v42, v43 dst_sel:DWORD dst_unused:UNUSED_PAD src0_sel:BYTE_1 src1_sel:DWORD
	v_and_b32_sdwa v43, v26, s21 dst_sel:DWORD dst_unused:UNUSED_PAD src0_sel:WORD_1 src1_sel:DWORD
	v_sub_i16 v43, v43, v48 clamp
	v_lshlrev_b16_sdwa v26, v35, v26 dst_sel:DWORD dst_unused:UNUSED_PAD src0_sel:DWORD src1_sel:WORD_1
	v_and_b32_e32 v43, 0xffffff00, v43
	v_sub_i16 v26, v26, v45 clamp
	v_or_b32_sdwa v26, v26, v43 dst_sel:WORD_1 dst_unused:UNUSED_PAD src0_sel:BYTE_1 src1_sel:DWORD
	s_nop 0
	v_or_b32_sdwa v42, v42, v26 dst_sel:DWORD dst_unused:UNUSED_PAD src0_sel:WORD_0 src1_sel:DWORD
	v_xor_b32_e32 v26, v27, v49
	v_and_b32_e32 v27, 0xffffff00, v26
	v_sub_i16 v27, v27, v44 clamp
	v_lshlrev_b16_e32 v43, 8, v26
	v_lshlrev_b16_e32 v44, 8, v46
	v_and_b32_e32 v27, 0xffffff00, v27
	v_sub_i16 v43, v43, v44 clamp
	v_or_b32_sdwa v27, v43, v27 dst_sel:DWORD dst_unused:UNUSED_PAD src0_sel:BYTE_1 src1_sel:DWORD
	v_and_b32_sdwa v43, v26, s21 dst_sel:DWORD dst_unused:UNUSED_PAD src0_sel:WORD_1 src1_sel:DWORD
	v_sub_i16 v43, v43, v53 clamp
	v_lshlrev_b16_sdwa v26, v35, v26 dst_sel:DWORD dst_unused:UNUSED_PAD src0_sel:DWORD src1_sel:WORD_1
	v_lshlrev_b16_e32 v44, 8, v50
	global_load_ushort v53, v[24:25], off
	v_add_u32_e32 v24, s15, v30
	v_and_b32_e32 v43, 0xffffff00, v43
	v_sub_i16 v26, v26, v44 clamp
	v_mad_i64_i32 v[24:25], s[22:23], v24, s19, v[18:19]
	v_or_b32_sdwa v26, v26, v43 dst_sel:WORD_1 dst_unused:UNUSED_PAD src0_sel:BYTE_1 src1_sel:DWORD
	v_lshl_add_u64 v[44:45], v[24:25], 0, v[20:21]
	v_or_b32_sdwa v43, v27, v26 dst_sel:DWORD dst_unused:UNUSED_PAD src0_sel:WORD_0 src1_sel:DWORD
	global_load_dword v46, v[44:45], off offset:2
	v_lshl_add_u64 v[26:27], v[24:25], 0, v[14:15]
	global_load_ubyte v57, v[26:27], off offset:66
	global_load_dword v58, v[44:45], off offset:34
	v_dot4c_i32_i8_e32 v52, v42, v7
	v_dot4c_i32_i8_e32 v52, v43, v54
	v_add_u32_e32 v30, 16, v30
	s_waitcnt vmcnt(2)
	v_and_b32_e32 v44, 0xff, v46
	s_waitcnt vmcnt(1)
	v_lshlrev_b32_e32 v45, 8, v57
	v_and_or_b32 v44, v45, s20, v44
	s_waitcnt vmcnt(0)
	v_lshlrev_b32_sdwa v45, v33, v58 dst_sel:DWORD dst_unused:UNUSED_PAD src0_sel:DWORD src1_sel:BYTE_0
	v_lshrrev_b16_e32 v45, 7, v45
	v_bfe_i32 v50, v45, 0, 1
	v_bfe_u32 v45, v58, 3, 1
	v_bfe_u32 v48, v58, 1, 7
	v_cmp_ne_u16_e32 vcc, 0, v45
	v_and_b32_e32 v47, 1, v58
	v_bfe_i32 v48, v48, 0, 1
	v_cndmask_b32_e64 v45, 0, -1, vcc
	v_sub_u16_e32 v47, 0, v47
	v_lshlrev_b16_e32 v48, 8, v48
	v_lshlrev_b16_e32 v61, 8, v45
	v_or_b32_sdwa v55, v47, v48 dst_sel:DWORD dst_unused:UNUSED_PAD src0_sel:BYTE_0 src1_sel:DWORD
	v_or_b32_sdwa v45, v50, v61 dst_sel:WORD_1 dst_unused:UNUSED_PAD src0_sel:BYTE_0 src1_sel:DWORD
	v_bfe_u32 v63, v58, 5, 3
	v_or_b32_sdwa v55, v55, v45 dst_sel:DWORD dst_unused:UNUSED_PAD src0_sel:WORD_0 src1_sel:DWORD
	v_lshlrev_b32_sdwa v45, v34, v58 dst_sel:DWORD dst_unused:UNUSED_PAD src0_sel:DWORD src1_sel:BYTE_0
	v_lshrrev_b16_e32 v45, 7, v45
	v_bfe_i32 v64, v45, 0, 1
	v_bfe_u32 v45, v58, 7, 1
	v_cmp_ne_u16_e32 vcc, 0, v45
	v_bfe_i32 v63, v63, 0, 1
	v_bfe_i32 v62, v58, 4, 1
	v_cndmask_b32_e64 v45, 0, -1, vcc
	v_lshlrev_b16_e32 v63, 8, v63
	v_lshlrev_b16_e32 v66, 8, v45
	v_lshlrev_b32_e32 v44, 3, v44
	v_or_b32_sdwa v65, v62, v63 dst_sel:DWORD dst_unused:UNUSED_PAD src0_sel:BYTE_0 src1_sel:DWORD
	v_or_b32_sdwa v45, v64, v66 dst_sel:WORD_1 dst_unused:UNUSED_PAD src0_sel:BYTE_0 src1_sel:DWORD
	v_lshlrev_b16_e32 v47, 8, v47
	v_or_b32_sdwa v65, v65, v45 dst_sel:DWORD dst_unused:UNUSED_PAD src0_sel:WORD_0 src1_sel:DWORD
	global_load_dwordx2 v[44:45], v44, s[16:17]
	v_lshlrev_b16_e32 v50, 8, v50
	v_lshrrev_b16_e32 v49, 8, v46
	v_lshrrev_b32_e32 v59, 16, v58
	v_lshrrev_b32_e32 v56, 24, v46
	;; [unrolled: 1-line block ×3, first 2 shown]
	s_waitcnt vmcnt(0)
	v_xor_b32_e32 v44, v44, v55
	v_and_b32_e32 v55, 0xffffff00, v44
	v_sub_i16 v48, v55, v48 clamp
	v_lshlrev_b16_e32 v55, 8, v44
	v_and_b32_e32 v48, 0xffffff00, v48
	v_sub_i16 v47, v55, v47 clamp
	v_or_b32_sdwa v47, v47, v48 dst_sel:DWORD dst_unused:UNUSED_PAD src0_sel:BYTE_1 src1_sel:DWORD
	v_and_b32_sdwa v48, v44, s21 dst_sel:DWORD dst_unused:UNUSED_PAD src0_sel:WORD_1 src1_sel:DWORD
	v_sub_i16 v48, v48, v61 clamp
	v_lshlrev_b16_sdwa v44, v35, v44 dst_sel:DWORD dst_unused:UNUSED_PAD src0_sel:DWORD src1_sel:WORD_1
	v_and_b32_e32 v48, 0xffffff00, v48
	v_sub_i16 v44, v44, v50 clamp
	v_or_b32_sdwa v44, v44, v48 dst_sel:WORD_1 dst_unused:UNUSED_PAD src0_sel:BYTE_1 src1_sel:DWORD
	v_lshlrev_b16_e32 v50, 8, v62
	v_or_b32_sdwa v47, v47, v44 dst_sel:DWORD dst_unused:UNUSED_PAD src0_sel:WORD_0 src1_sel:DWORD
	v_xor_b32_e32 v44, v45, v65
	v_and_b32_e32 v45, 0xffffff00, v44
	v_sub_i16 v45, v45, v63 clamp
	v_lshlrev_b16_e32 v48, 8, v44
	v_and_b32_e32 v45, 0xffffff00, v45
	v_sub_i16 v48, v48, v50 clamp
	v_or_b32_sdwa v45, v48, v45 dst_sel:DWORD dst_unused:UNUSED_PAD src0_sel:BYTE_1 src1_sel:DWORD
	v_and_b32_sdwa v48, v44, s21 dst_sel:DWORD dst_unused:UNUSED_PAD src0_sel:WORD_1 src1_sel:DWORD
	v_sub_i16 v48, v48, v66 clamp
	v_lshlrev_b16_sdwa v44, v35, v44 dst_sel:DWORD dst_unused:UNUSED_PAD src0_sel:DWORD src1_sel:WORD_1
	v_lshlrev_b16_e32 v50, 8, v64
	v_and_b32_e32 v48, 0xffffff00, v48
	v_sub_i16 v44, v44, v50 clamp
	v_or_b32_sdwa v44, v44, v48 dst_sel:WORD_1 dst_unused:UNUSED_PAD src0_sel:BYTE_1 src1_sel:DWORD
	v_mov_b32_e32 v55, 0
	v_or_b32_sdwa v48, v45, v44 dst_sel:DWORD dst_unused:UNUSED_PAD src0_sel:WORD_0 src1_sel:DWORD
	v_dot4c_i32_i8_e32 v55, v47, v9
	v_dot4c_i32_i8_e32 v55, v48, v10
	v_lshrrev_b16_e32 v10, 8, v58
	v_lshlrev_b32_e32 v44, 5, v10
	v_lshrrev_b16_e32 v44, 7, v44
	v_lshlrev_b32_e32 v9, 6, v57
	v_lshlrev_b16_e32 v45, 7, v58
	v_bfe_i32 v50, v44, 0, 1
	v_bfe_u32 v44, v10, 3, 1
	v_and_or_b32 v9, v9, s20, v49
	v_ashrrev_i16_e32 v49, 15, v45
	v_lshrrev_b32_e32 v45, 1, v10
	v_cmp_ne_u16_e32 vcc, 0, v44
	v_bfe_i32 v45, v45, 0, 1
	v_lshlrev_b16_e32 v61, 8, v45
	v_cndmask_b32_e64 v44, 0, -1, vcc
	v_lshlrev_b16_e32 v62, 8, v44
	v_or_b32_sdwa v45, v49, v61 dst_sel:DWORD dst_unused:UNUSED_PAD src0_sel:BYTE_0 src1_sel:DWORD
	v_or_b32_sdwa v44, v50, v62 dst_sel:WORD_1 dst_unused:UNUSED_PAD src0_sel:BYTE_0 src1_sel:DWORD
	v_bfe_i32 v64, v10, 4, 1
	v_or_b32_sdwa v63, v45, v44 dst_sel:DWORD dst_unused:UNUSED_PAD src0_sel:WORD_0 src1_sel:DWORD
	v_lshlrev_b32_e32 v44, 1, v10
	v_lshrrev_b32_e32 v45, 5, v10
	v_lshrrev_b32_e32 v10, 7, v10
	v_cmp_ne_u16_e32 vcc, 0, v10
	v_bfe_i32 v45, v45, 0, 1
	v_lshrrev_b16_e32 v44, 7, v44
	v_cndmask_b32_e64 v10, 0, -1, vcc
	v_bfe_i32 v65, v44, 0, 1
	v_lshlrev_b16_e32 v66, 8, v45
	v_lshlrev_b16_e32 v10, 8, v10
	v_lshlrev_b32_e32 v9, 3, v9
	v_or_b32_sdwa v44, v64, v66 dst_sel:DWORD dst_unused:UNUSED_PAD src0_sel:BYTE_0 src1_sel:DWORD
	v_or_b32_sdwa v45, v65, v10 dst_sel:WORD_1 dst_unused:UNUSED_PAD src0_sel:BYTE_0 src1_sel:DWORD
	v_lshlrev_b16_e32 v49, 8, v49
	v_or_b32_sdwa v67, v44, v45 dst_sel:DWORD dst_unused:UNUSED_PAD src0_sel:WORD_0 src1_sel:DWORD
	global_load_dwordx2 v[44:45], v9, s[16:17]
	v_lshlrev_b16_e32 v50, 8, v50
	s_waitcnt vmcnt(0)
	v_xor_b32_e32 v9, v44, v63
	v_and_b32_e32 v44, 0xffffff00, v9
	v_sub_i16 v44, v44, v61 clamp
	v_lshlrev_b16_e32 v61, 8, v9
	v_and_b32_e32 v44, 0xffffff00, v44
	v_sub_i16 v49, v61, v49 clamp
	v_or_b32_sdwa v44, v49, v44 dst_sel:DWORD dst_unused:UNUSED_PAD src0_sel:BYTE_1 src1_sel:DWORD
	v_and_b32_sdwa v49, v9, s21 dst_sel:DWORD dst_unused:UNUSED_PAD src0_sel:WORD_1 src1_sel:DWORD
	v_sub_i16 v49, v49, v62 clamp
	v_lshlrev_b16_sdwa v9, v35, v9 dst_sel:DWORD dst_unused:UNUSED_PAD src0_sel:DWORD src1_sel:WORD_1
	v_and_b32_e32 v49, 0xffffff00, v49
	v_sub_i16 v9, v9, v50 clamp
	v_or_b32_sdwa v9, v9, v49 dst_sel:WORD_1 dst_unused:UNUSED_PAD src0_sel:BYTE_1 src1_sel:DWORD
	v_lshlrev_b16_e32 v50, 8, v64
	v_or_b32_sdwa v49, v44, v9 dst_sel:DWORD dst_unused:UNUSED_PAD src0_sel:WORD_0 src1_sel:DWORD
	v_xor_b32_e32 v9, v45, v67
	v_and_b32_e32 v44, 0xffffff00, v9
	v_sub_i16 v44, v44, v66 clamp
	v_lshlrev_b16_e32 v45, 8, v9
	v_and_b32_e32 v44, 0xffffff00, v44
	v_sub_i16 v45, v45, v50 clamp
	v_or_b32_sdwa v44, v45, v44 dst_sel:DWORD dst_unused:UNUSED_PAD src0_sel:BYTE_1 src1_sel:DWORD
	v_and_b32_sdwa v45, v9, s21 dst_sel:DWORD dst_unused:UNUSED_PAD src0_sel:WORD_1 src1_sel:DWORD
	v_sub_i16 v10, v45, v10 clamp
	v_lshlrev_b16_sdwa v9, v35, v9 dst_sel:DWORD dst_unused:UNUSED_PAD src0_sel:DWORD src1_sel:WORD_1
	v_lshlrev_b16_e32 v45, 8, v65
	v_and_b32_e32 v10, 0xffffff00, v10
	v_sub_i16 v9, v9, v45 clamp
	v_or_b32_sdwa v9, v9, v10 dst_sel:WORD_1 dst_unused:UNUSED_PAD src0_sel:BYTE_1 src1_sel:DWORD
	v_dot4c_i32_i8_e32 v55, v49, v11
	v_or_b32_sdwa v50, v44, v9 dst_sel:DWORD dst_unused:UNUSED_PAD src0_sel:WORD_0 src1_sel:DWORD
	v_dot4c_i32_i8_e32 v55, v50, v4
	v_bfe_u32 v4, v46, 16, 8
	v_lshlrev_b32_e32 v9, 4, v57
	v_and_b32_e32 v10, 1, v59
	v_bfe_u32 v11, v58, 19, 1
	v_and_or_b32 v4, v9, s20, v4
	v_lshlrev_b32_sdwa v9, v33, v58 dst_sel:DWORD dst_unused:UNUSED_PAD src0_sel:DWORD src1_sel:BYTE_2
	v_sub_u16_e32 v44, 0, v10
	v_bfe_u32 v10, v59, 1, 7
	v_cmp_ne_u16_e32 vcc, 0, v11
	v_bfe_i32 v10, v10, 0, 1
	v_lshrrev_b16_e32 v9, 7, v9
	v_cndmask_b32_e64 v11, 0, -1, vcc
	v_bfe_i32 v9, v9, 0, 1
	v_lshlrev_b16_e32 v45, 8, v10
	v_lshlrev_b16_e32 v46, 8, v11
	v_or_b32_sdwa v10, v44, v45 dst_sel:DWORD dst_unused:UNUSED_PAD src0_sel:BYTE_0 src1_sel:DWORD
	v_or_b32_sdwa v11, v9, v46 dst_sel:WORD_1 dst_unused:UNUSED_PAD src0_sel:BYTE_0 src1_sel:DWORD
	v_bfe_i32 v62, v58, 20, 1
	v_or_b32_sdwa v61, v10, v11 dst_sel:DWORD dst_unused:UNUSED_PAD src0_sel:WORD_0 src1_sel:DWORD
	v_lshlrev_b32_sdwa v10, v34, v58 dst_sel:DWORD dst_unused:UNUSED_PAD src0_sel:DWORD src1_sel:BYTE_2
	v_lshrrev_b16_e32 v10, 7, v10
	v_bfe_i32 v63, v10, 0, 1
	v_bfe_u32 v10, v59, 7, 1
	v_bfe_u32 v11, v59, 5, 3
	v_cmp_ne_u16_e32 vcc, 0, v10
	v_bfe_i32 v11, v11, 0, 1
	v_lshlrev_b16_e32 v64, 8, v11
	v_cndmask_b32_e64 v10, 0, -1, vcc
	v_lshlrev_b16_e32 v65, 8, v10
	v_lshlrev_b32_e32 v4, 3, v4
	v_or_b32_sdwa v11, v62, v64 dst_sel:DWORD dst_unused:UNUSED_PAD src0_sel:BYTE_0 src1_sel:DWORD
	v_or_b32_sdwa v10, v63, v65 dst_sel:WORD_1 dst_unused:UNUSED_PAD src0_sel:BYTE_0 src1_sel:DWORD
	v_lshlrev_b16_e32 v44, 8, v44
	v_or_b32_sdwa v66, v11, v10 dst_sel:DWORD dst_unused:UNUSED_PAD src0_sel:WORD_0 src1_sel:DWORD
	global_load_dwordx2 v[10:11], v4, s[16:17]
	v_lshlrev_b16_e32 v9, 8, v9
	s_waitcnt vmcnt(0)
	v_xor_b32_e32 v4, v10, v61
	v_and_b32_e32 v10, 0xffffff00, v4
	v_sub_i16 v10, v10, v45 clamp
	v_lshlrev_b16_e32 v45, 8, v4
	v_and_b32_e32 v10, 0xffffff00, v10
	v_sub_i16 v44, v45, v44 clamp
	v_or_b32_sdwa v10, v44, v10 dst_sel:DWORD dst_unused:UNUSED_PAD src0_sel:BYTE_1 src1_sel:DWORD
	v_and_b32_sdwa v44, v4, s21 dst_sel:DWORD dst_unused:UNUSED_PAD src0_sel:WORD_1 src1_sel:DWORD
	v_sub_i16 v44, v44, v46 clamp
	v_lshlrev_b16_sdwa v4, v35, v4 dst_sel:DWORD dst_unused:UNUSED_PAD src0_sel:DWORD src1_sel:WORD_1
	v_and_b32_e32 v44, 0xffffff00, v44
	v_sub_i16 v4, v4, v9 clamp
	v_or_b32_sdwa v4, v4, v44 dst_sel:WORD_1 dst_unused:UNUSED_PAD src0_sel:BYTE_1 src1_sel:DWORD
	v_lshlrev_b16_e32 v44, 8, v62
	v_or_b32_sdwa v9, v10, v4 dst_sel:DWORD dst_unused:UNUSED_PAD src0_sel:WORD_0 src1_sel:DWORD
	v_xor_b32_e32 v4, v11, v66
	v_and_b32_e32 v10, 0xffffff00, v4
	v_sub_i16 v10, v10, v64 clamp
	v_lshlrev_b16_e32 v11, 8, v4
	v_and_b32_e32 v10, 0xffffff00, v10
	v_sub_i16 v11, v11, v44 clamp
	v_or_b32_sdwa v10, v11, v10 dst_sel:DWORD dst_unused:UNUSED_PAD src0_sel:BYTE_1 src1_sel:DWORD
	v_and_b32_sdwa v11, v4, s21 dst_sel:DWORD dst_unused:UNUSED_PAD src0_sel:WORD_1 src1_sel:DWORD
	v_sub_i16 v11, v11, v65 clamp
	v_lshlrev_b16_sdwa v4, v35, v4 dst_sel:DWORD dst_unused:UNUSED_PAD src0_sel:DWORD src1_sel:WORD_1
	v_lshlrev_b16_e32 v44, 8, v63
	v_and_b32_e32 v11, 0xffffff00, v11
	v_sub_i16 v4, v4, v44 clamp
	v_or_b32_sdwa v4, v4, v11 dst_sel:WORD_1 dst_unused:UNUSED_PAD src0_sel:BYTE_1 src1_sel:DWORD
	v_bfe_u32 v11, v58, 27, 1
	v_or_b32_sdwa v44, v10, v4 dst_sel:DWORD dst_unused:UNUSED_PAD src0_sel:WORD_0 src1_sel:DWORD
	v_mov_b32_e32 v4, 0
	v_dot4c_i32_i8_e32 v4, v9, v5
	v_lshlrev_b16_e32 v10, 7, v59
	v_dot4c_i32_i8_e32 v4, v44, v6
	v_lshlrev_b32_e32 v6, 5, v60
	v_ashrrev_i16_e32 v45, 15, v10
	v_lshrrev_b32_e32 v10, 25, v58
	v_cmp_ne_u16_e32 vcc, 0, v11
	v_lshlrev_b32_e32 v5, 2, v57
	v_bfe_i32 v10, v10, 0, 1
	v_lshrrev_b16_e32 v6, 7, v6
	v_cndmask_b32_e64 v11, 0, -1, vcc
	v_and_or_b32 v5, v5, s20, v56
	v_bfe_i32 v6, v6, 0, 1
	v_lshlrev_b16_e32 v46, 8, v10
	v_lshlrev_b16_e32 v56, 8, v11
	v_or_b32_sdwa v10, v45, v46 dst_sel:DWORD dst_unused:UNUSED_PAD src0_sel:BYTE_0 src1_sel:DWORD
	v_or_b32_sdwa v11, v6, v56 dst_sel:WORD_1 dst_unused:UNUSED_PAD src0_sel:BYTE_0 src1_sel:DWORD
	v_bfe_i32 v59, v60, 4, 1
	v_or_b32_sdwa v57, v10, v11 dst_sel:DWORD dst_unused:UNUSED_PAD src0_sel:WORD_0 src1_sel:DWORD
	v_lshlrev_b32_e32 v10, 1, v60
	v_lshrrev_b16_e32 v10, 7, v10
	v_bfe_i32 v60, v10, 0, 1
	v_lshrrev_b32_e32 v10, 31, v58
	v_lshrrev_b32_e32 v11, 29, v58
	v_cmp_ne_u16_e32 vcc, 0, v10
	v_bfe_i32 v11, v11, 0, 1
	v_lshlrev_b16_e32 v58, 8, v11
	v_cndmask_b32_e64 v10, 0, -1, vcc
	v_lshlrev_b16_e32 v61, 8, v10
	v_lshlrev_b32_e32 v5, 3, v5
	v_or_b32_sdwa v11, v59, v58 dst_sel:DWORD dst_unused:UNUSED_PAD src0_sel:BYTE_0 src1_sel:DWORD
	v_or_b32_sdwa v10, v60, v61 dst_sel:WORD_1 dst_unused:UNUSED_PAD src0_sel:BYTE_0 src1_sel:DWORD
	v_lshlrev_b16_e32 v45, 8, v45
	v_or_b32_sdwa v62, v11, v10 dst_sel:DWORD dst_unused:UNUSED_PAD src0_sel:WORD_0 src1_sel:DWORD
	global_load_dwordx2 v[10:11], v5, s[16:17]
	v_lshlrev_b16_e32 v6, 8, v6
	v_cmp_le_u32_e32 vcc, s2, v30
	s_or_b64 s[8:9], vcc, s[8:9]
	s_waitcnt vmcnt(0)
	v_xor_b32_e32 v5, v10, v57
	v_and_b32_e32 v10, 0xffffff00, v5
	v_sub_i16 v10, v10, v46 clamp
	v_lshlrev_b16_e32 v46, 8, v5
	v_and_b32_e32 v10, 0xffffff00, v10
	v_sub_i16 v45, v46, v45 clamp
	v_or_b32_sdwa v10, v45, v10 dst_sel:DWORD dst_unused:UNUSED_PAD src0_sel:BYTE_1 src1_sel:DWORD
	v_and_b32_sdwa v45, v5, s21 dst_sel:DWORD dst_unused:UNUSED_PAD src0_sel:WORD_1 src1_sel:DWORD
	v_sub_i16 v45, v45, v56 clamp
	v_lshlrev_b16_sdwa v5, v35, v5 dst_sel:DWORD dst_unused:UNUSED_PAD src0_sel:DWORD src1_sel:WORD_1
	v_and_b32_e32 v45, 0xffffff00, v45
	v_sub_i16 v5, v5, v6 clamp
	v_or_b32_sdwa v5, v5, v45 dst_sel:WORD_1 dst_unused:UNUSED_PAD src0_sel:BYTE_1 src1_sel:DWORD
	s_nop 0
	v_or_b32_sdwa v45, v10, v5 dst_sel:DWORD dst_unused:UNUSED_PAD src0_sel:WORD_0 src1_sel:DWORD
	v_xor_b32_e32 v5, v11, v62
	v_and_b32_e32 v6, 0xffffff00, v5
	v_sub_i16 v6, v6, v58 clamp
	v_lshlrev_b16_e32 v10, 8, v5
	v_lshlrev_b16_e32 v11, 8, v59
	v_and_b32_e32 v6, 0xffffff00, v6
	v_sub_i16 v10, v10, v11 clamp
	v_or_b32_sdwa v6, v10, v6 dst_sel:DWORD dst_unused:UNUSED_PAD src0_sel:BYTE_1 src1_sel:DWORD
	v_and_b32_sdwa v10, v5, s21 dst_sel:DWORD dst_unused:UNUSED_PAD src0_sel:WORD_1 src1_sel:DWORD
	v_sub_i16 v10, v10, v61 clamp
	v_lshlrev_b16_sdwa v5, v35, v5 dst_sel:DWORD dst_unused:UNUSED_PAD src0_sel:DWORD src1_sel:WORD_1
	v_lshlrev_b16_e32 v11, 8, v60
	v_and_b32_e32 v10, 0xffffff00, v10
	v_sub_i16 v5, v5, v11 clamp
	v_or_b32_sdwa v5, v5, v10 dst_sel:WORD_1 dst_unused:UNUSED_PAD src0_sel:BYTE_1 src1_sel:DWORD
	v_dot4c_i32_i8_e32 v4, v45, v7
	v_or_b32_sdwa v46, v6, v5 dst_sel:DWORD dst_unused:UNUSED_PAD src0_sel:WORD_0 src1_sel:DWORD
	global_load_ushort v5, v[24:25], off
	global_load_ubyte v6, v[22:23], off offset:74
	global_load_ubyte v7, v[26:27], off offset:74
	v_dot4c_i32_i8_e32 v4, v46, v54
	v_add_u32_e32 v26, v52, v51
	v_lshrrev_b32_e32 v27, 31, v26
	v_add_u32_e32 v26, v26, v27
	v_ashrrev_i32_e32 v26, 1, v26
	s_waitcnt vmcnt(1)
	v_lshrrev_b32_e32 v23, 4, v6
	s_waitcnt vmcnt(0)
	v_lshrrev_b32_e32 v22, 4, v7
	v_mul_lo_u32 v11, v4, v22
	v_add_u32_e32 v4, v4, v55
	v_and_b32_e32 v25, 15, v6
	v_lshrrev_b32_e32 v27, 31, v4
	v_and_b32_e32 v24, 15, v7
	v_mul_lo_u32 v6, v51, v25
	v_mul_lo_u32 v10, v52, v23
	v_add_u32_e32 v4, v4, v27
	v_mul_lo_u32 v7, v55, v24
	v_ashrrev_i32_e32 v4, 1, v4
	v_add3_u32 v6, v10, v6, v26
	v_add3_u32 v4, v11, v7, v4
	v_ashrrev_i32_e32 v7, 31, v6
	v_lshrrev_b32_e32 v7, 30, v7
	v_add_u32_e32 v6, v6, v7
	v_ashrrev_i32_e32 v7, 31, v4
	v_lshrrev_b32_e32 v7, 30, v7
	v_add_u32_e32 v4, v4, v7
	v_ashrrev_i32_e32 v6, 2, v6
	v_ashrrev_i32_e32 v7, 2, v4
	v_cvt_f32_f16_e32 v11, v5
	v_cvt_f32_f16_e32 v10, v53
	v_cvt_f32_i32_e32 v7, v7
	v_cvt_f32_i32_e32 v6, v6
	v_pk_mul_f32 v[4:5], v[8:9], v[10:11] op_sel_hi:[0,1]
	v_pk_fma_f32 v[0:1], v[4:5], v[6:7], v[0:1]
	v_mad_u64_u32 v[4:5], s[16:17], v31, 36, s[24:25]
	v_mad_u64_u32 v[26:27], s[16:17], v14, 36, v[4:5]
	global_load_dword v51, v[26:27], off offset:32
	global_load_dwordx4 v[4:7], v[26:27], off offset:16
	global_load_dwordx4 v[52:55], v[26:27], off
	v_mov_b32_e32 v26, 0
	v_mov_b32_e32 v27, 0
	v_add_u32_e32 v31, 0x80, v31
	s_waitcnt vmcnt(1)
	v_dot4c_i32_i8_e32 v27, v40, v5
	s_waitcnt vmcnt(0)
	v_cvt_f32_f16_e32 v8, v52
	v_mov_b32_e32 v52, 0
	v_dot4c_i32_i8_e32 v26, v36, v53
	v_dot4c_i32_i8_e32 v52, v47, v53
	;; [unrolled: 1-line block ×8, first 2 shown]
	v_mov_b32_e32 v4, 0
	v_dot4c_i32_i8_e32 v27, v41, v6
	v_dot4c_i32_i8_e32 v4, v9, v5
	;; [unrolled: 1-line block ×7, first 2 shown]
	v_mul_lo_u32 v5, v26, v25
	v_add_u32_e32 v26, v27, v26
	v_mul_lo_u32 v7, v27, v23
	v_mul_lo_u32 v51, v4, v22
	v_add_u32_e32 v4, v4, v52
	v_lshrrev_b32_e32 v27, 31, v26
	v_add_u32_e32 v26, v26, v27
	v_lshrrev_b32_e32 v27, 31, v4
	v_ashrrev_i32_e32 v26, 1, v26
	v_add_u32_e32 v4, v4, v27
	v_mul_lo_u32 v6, v52, v24
	v_ashrrev_i32_e32 v4, 1, v4
	v_add3_u32 v5, v7, v5, v26
	v_add3_u32 v4, v51, v6, v4
	v_ashrrev_i32_e32 v6, 31, v5
	v_lshrrev_b32_e32 v6, 30, v6
	v_add_u32_e32 v5, v5, v6
	v_ashrrev_i32_e32 v6, 2, v5
	v_ashrrev_i32_e32 v5, 31, v4
	v_lshrrev_b32_e32 v5, 30, v5
	v_add_u32_e32 v4, v4, v5
	v_ashrrev_i32_e32 v7, 2, v4
	v_cvt_f32_i32_e32 v7, v7
	v_cvt_f32_i32_e32 v6, v6
	v_pk_mul_f32 v[4:5], v[8:9], v[10:11] op_sel_hi:[0,1]
	v_mov_b32_e32 v27, 0
	v_pk_fma_f32 v[2:3], v[4:5], v[6:7], v[2:3]
	v_mad_u64_u32 v[4:5], s[16:17], v32, 36, s[24:25]
	v_mad_u64_u32 v[56:57], s[16:17], v14, 36, v[4:5]
	global_load_dword v26, v[56:57], off offset:32
	global_load_dwordx4 v[4:7], v[56:57], off offset:16
	global_load_dwordx4 v[52:55], v[56:57], off
	v_add_u32_e32 v32, 0x80, v32
	s_waitcnt vmcnt(0)
	v_dot4c_i32_i8_e32 v27, v36, v53
	v_dot4c_i32_i8_e32 v27, v37, v54
	v_mov_b32_e32 v37, 0
	v_dot4c_i32_i8_e32 v37, v47, v53
	v_dot4c_i32_i8_e32 v37, v48, v54
	;; [unrolled: 1-line block ×5, first 2 shown]
	v_mov_b32_e32 v36, 0
	v_dot4c_i32_i8_e32 v37, v50, v4
	v_mov_b32_e32 v4, 0
	v_dot4c_i32_i8_e32 v36, v40, v5
	v_dot4c_i32_i8_e32 v4, v9, v5
	;; [unrolled: 1-line block ×8, first 2 shown]
	v_mul_lo_u32 v5, v27, v25
	v_mul_lo_u32 v6, v37, v24
	v_mul_lo_u32 v7, v36, v23
	v_mul_lo_u32 v9, v4, v22
	v_add_u32_e32 v22, v36, v27
	v_add_u32_e32 v4, v4, v37
	v_lshrrev_b32_e32 v23, 31, v22
	v_add_u32_e32 v22, v22, v23
	v_lshrrev_b32_e32 v23, 31, v4
	v_ashrrev_i32_e32 v22, 1, v22
	v_add_u32_e32 v4, v4, v23
	v_ashrrev_i32_e32 v4, 1, v4
	v_add3_u32 v5, v7, v5, v22
	v_add3_u32 v4, v9, v6, v4
	v_ashrrev_i32_e32 v6, 31, v5
	v_lshrrev_b32_e32 v6, 30, v6
	v_add_u32_e32 v5, v5, v6
	v_ashrrev_i32_e32 v6, 2, v5
	v_ashrrev_i32_e32 v5, 31, v4
	v_lshrrev_b32_e32 v5, 30, v5
	v_add_u32_e32 v4, v4, v5
	v_cvt_f32_f16_e32 v8, v52
	v_ashrrev_i32_e32 v7, 2, v4
	v_cvt_f32_i32_e32 v7, v7
	v_cvt_f32_i32_e32 v6, v6
	v_pk_mul_f32 v[4:5], v[8:9], v[10:11] op_sel_hi:[0,1]
	v_pk_fma_f32 v[12:13], v[4:5], v[6:7], v[12:13]
	s_andn2_b64 exec, exec, s[8:9]
	s_cbranch_execnz .LBB186_2
; %bb.3:
	s_or_b64 exec, exec, s[8:9]
	scratch_store_dwordx4 off, v[0:3], off
	scratch_store_dwordx2 off, v[12:13], off offset:16
.LBB186_4:
	s_or_b64 exec, exec, s[6:7]
	v_cmp_eq_u32_e32 vcc, 0, v29
	v_cmp_ne_u32_e64 s[6:7], 0, v29
	v_lshlrev_b32_e32 v4, 2, v28
	s_and_saveexec_b64 s[8:9], s[6:7]
	s_cbranch_execz .LBB186_6
; %bb.5:
	v_mul_u32_u24_e32 v5, 0x600, v29
	s_movk_i32 s2, 0xfa00
	v_add3_u32 v5, v5, v4, s2
	ds_write2st64_b32 v5, v0, v1 offset1:1
	ds_write2st64_b32 v5, v2, v3 offset0:2 offset1:3
	ds_write2st64_b32 v5, v12, v13 offset0:4 offset1:5
.LBB186_6:
	s_or_b64 exec, exec, s[8:9]
	s_waitcnt lgkmcnt(0)
	s_barrier
	s_and_saveexec_b64 s[6:7], vcc
	s_cbranch_execz .LBB186_13
; %bb.7:
	scratch_load_dwordx2 v[2:3], off, off
	v_mbcnt_lo_u32_b32 v0, -1, 0
	ds_read2st64_b32 v[6:7], v4 offset1:1
	v_mbcnt_hi_u32_b32 v12, -1, v0
	v_and_b32_e32 v0, 64, v12
	v_xor_b32_e32 v1, 32, v12
	v_add_u32_e32 v13, 64, v0
	v_cmp_lt_i32_e32 vcc, v1, v13
	v_xor_b32_e32 v5, 16, v12
	v_xor_b32_e32 v10, 8, v12
	v_cndmask_b32_e32 v0, v12, v1, vcc
	v_lshlrev_b32_e32 v0, 2, v0
	v_cmp_lt_i32_e32 vcc, v5, v13
	v_xor_b32_e32 v11, 4, v12
	v_xor_b32_e32 v14, 1, v12
	v_cndmask_b32_e32 v1, v12, v5, vcc
	v_lshlrev_b32_e32 v1, 2, v1
	v_cmp_lt_i32_e32 vcc, v10, v13
	v_xor_b32_e32 v5, 2, v12
	s_load_dwordx2 s[0:1], s[0:1], 0x38
	s_mul_i32 s2, s3, s14
	s_mul_i32 s4, s4, s18
	s_add_i32 s2, s2, s5
	s_mov_b32 s3, 0
	s_add_i32 s2, s2, s4
	s_lshl_b64 s[2:3], s[2:3], 2
	s_waitcnt lgkmcnt(0)
	s_add_u32 s2, s0, s2
	s_addc_u32 s3, s1, s3
	s_waitcnt vmcnt(0)
	v_pk_add_f32 v[2:3], v[6:7], v[2:3]
	ds_bpermute_b32 v6, v0, v2
	ds_bpermute_b32 v7, v0, v3
	s_waitcnt lgkmcnt(0)
	v_pk_add_f32 v[6:7], v[2:3], v[6:7]
	ds_bpermute_b32 v8, v1, v6
	ds_bpermute_b32 v9, v1, v7
	v_cndmask_b32_e32 v2, v12, v10, vcc
	v_lshlrev_b32_e32 v2, 2, v2
	v_cmp_lt_i32_e32 vcc, v11, v13
	s_waitcnt lgkmcnt(0)
	v_pk_add_f32 v[6:7], v[6:7], v[8:9]
	ds_bpermute_b32 v8, v2, v6
	ds_bpermute_b32 v9, v2, v7
	v_cndmask_b32_e32 v3, v12, v11, vcc
	v_lshlrev_b32_e32 v3, 2, v3
	v_cmp_lt_i32_e32 vcc, v5, v13
	;; [unrolled: 7-line block ×3, first 2 shown]
	s_waitcnt lgkmcnt(0)
	v_pk_add_f32 v[8:9], v[6:7], v[8:9]
	ds_bpermute_b32 v10, v5, v8
	ds_bpermute_b32 v11, v5, v9
	v_cndmask_b32_e32 v6, v12, v14, vcc
	v_lshlrev_b32_e32 v6, 2, v6
	v_or_b32_e32 v7, s5, v28
	v_cmp_gt_u32_e32 vcc, 2, v28
	s_waitcnt lgkmcnt(0)
	v_pk_add_f32 v[8:9], v[8:9], v[10:11]
	ds_bpermute_b32 v10, v6, v8
	ds_bpermute_b32 v11, v6, v9
	v_cmp_gt_u32_e64 s[0:1], s10, v7
	s_and_b64 s[0:1], vcc, s[0:1]
	s_waitcnt lgkmcnt(0)
	v_pk_add_f32 v[8:9], v[8:9], v[10:11]
	scratch_store_dwordx2 off, v[8:9], off
	s_and_saveexec_b64 s[4:5], s[0:1]
	s_cbranch_execz .LBB186_9
; %bb.8:
	scratch_load_dword v7, v4, off
	s_waitcnt vmcnt(0)
	global_store_dword v4, v7, s[2:3]
.LBB186_9:
	s_or_b64 exec, exec, s[4:5]
	scratch_load_dwordx2 v[8:9], off, off offset:8
	ds_read2st64_b32 v[10:11], v4 offset0:2 offset1:3
	s_waitcnt vmcnt(0) lgkmcnt(0)
	v_pk_add_f32 v[8:9], v[10:11], v[8:9]
	ds_bpermute_b32 v10, v0, v8
	ds_bpermute_b32 v11, v0, v9
	s_waitcnt lgkmcnt(0)
	v_pk_add_f32 v[8:9], v[8:9], v[10:11]
	ds_bpermute_b32 v10, v1, v8
	ds_bpermute_b32 v11, v1, v9
	s_waitcnt lgkmcnt(0)
	;; [unrolled: 4-line block ×6, first 2 shown]
	v_pk_add_f32 v[8:9], v[8:9], v[10:11]
	scratch_store_dwordx2 off, v[8:9], off offset:8
	s_and_saveexec_b64 s[4:5], s[0:1]
	s_cbranch_execz .LBB186_11
; %bb.10:
	scratch_load_dword v7, v4, off offset:8
	v_add_u32_e32 v8, s10, v28
	v_mov_b32_e32 v9, 0
	v_lshl_add_u64 v[8:9], v[8:9], 2, s[2:3]
	s_waitcnt vmcnt(0)
	global_store_dword v[8:9], v7, off
.LBB186_11:
	s_or_b64 exec, exec, s[4:5]
	scratch_load_dwordx2 v[8:9], off, off offset:16
	ds_read2st64_b32 v[10:11], v4 offset0:4 offset1:5
	s_waitcnt vmcnt(0) lgkmcnt(0)
	v_pk_add_f32 v[8:9], v[10:11], v[8:9]
	ds_bpermute_b32 v10, v0, v8
	ds_bpermute_b32 v11, v0, v9
	s_waitcnt lgkmcnt(0)
	v_pk_add_f32 v[8:9], v[8:9], v[10:11]
	ds_bpermute_b32 v0, v1, v8
	ds_bpermute_b32 v1, v1, v9
	s_waitcnt lgkmcnt(0)
	;; [unrolled: 4-line block ×6, first 2 shown]
	v_pk_add_f32 v[0:1], v[0:1], v[2:3]
	scratch_store_dwordx2 off, v[0:1], off offset:16
	s_and_b64 exec, exec, s[0:1]
	s_cbranch_execz .LBB186_13
; %bb.12:
	scratch_load_dword v2, v4, off offset:16
	v_lshl_or_b32 v0, s10, 1, v28
	v_mov_b32_e32 v1, 0
	v_lshl_add_u64 v[0:1], v[0:1], 2, s[2:3]
	s_waitcnt vmcnt(0)
	global_store_dword v[0:1], v2, off
.LBB186_13:
	s_endpgm
	.section	.rodata,"a",@progbits
	.p2align	6, 0x0
	.amdhsa_kernel _ZL13mul_mat_vec_qIL9ggml_type22ELi3ELb0ELb0EEvPKvS2_PKi31ggml_cuda_mm_fusion_args_devicePfj15HIP_vector_typeIjLj3EEjjjS8_jjjS8_jjjj
		.amdhsa_group_segment_fixed_size 1536
		.amdhsa_private_segment_fixed_size 32
		.amdhsa_kernarg_size 144
		.amdhsa_user_sgpr_count 2
		.amdhsa_user_sgpr_dispatch_ptr 0
		.amdhsa_user_sgpr_queue_ptr 0
		.amdhsa_user_sgpr_kernarg_segment_ptr 1
		.amdhsa_user_sgpr_dispatch_id 0
		.amdhsa_user_sgpr_kernarg_preload_length 0
		.amdhsa_user_sgpr_kernarg_preload_offset 0
		.amdhsa_user_sgpr_private_segment_size 0
		.amdhsa_uses_dynamic_stack 0
		.amdhsa_enable_private_segment 1
		.amdhsa_system_sgpr_workgroup_id_x 1
		.amdhsa_system_sgpr_workgroup_id_y 1
		.amdhsa_system_sgpr_workgroup_id_z 1
		.amdhsa_system_sgpr_workgroup_info 0
		.amdhsa_system_vgpr_workitem_id 1
		.amdhsa_next_free_vgpr 68
		.amdhsa_next_free_sgpr 30
		.amdhsa_accum_offset 68
		.amdhsa_reserve_vcc 1
		.amdhsa_float_round_mode_32 0
		.amdhsa_float_round_mode_16_64 0
		.amdhsa_float_denorm_mode_32 3
		.amdhsa_float_denorm_mode_16_64 3
		.amdhsa_dx10_clamp 1
		.amdhsa_ieee_mode 1
		.amdhsa_fp16_overflow 0
		.amdhsa_tg_split 0
		.amdhsa_exception_fp_ieee_invalid_op 0
		.amdhsa_exception_fp_denorm_src 0
		.amdhsa_exception_fp_ieee_div_zero 0
		.amdhsa_exception_fp_ieee_overflow 0
		.amdhsa_exception_fp_ieee_underflow 0
		.amdhsa_exception_fp_ieee_inexact 0
		.amdhsa_exception_int_div_zero 0
	.end_amdhsa_kernel
	.section	.text._ZL13mul_mat_vec_qIL9ggml_type22ELi3ELb0ELb0EEvPKvS2_PKi31ggml_cuda_mm_fusion_args_devicePfj15HIP_vector_typeIjLj3EEjjjS8_jjjS8_jjjj,"axG",@progbits,_ZL13mul_mat_vec_qIL9ggml_type22ELi3ELb0ELb0EEvPKvS2_PKi31ggml_cuda_mm_fusion_args_devicePfj15HIP_vector_typeIjLj3EEjjjS8_jjjS8_jjjj,comdat
.Lfunc_end186:
	.size	_ZL13mul_mat_vec_qIL9ggml_type22ELi3ELb0ELb0EEvPKvS2_PKi31ggml_cuda_mm_fusion_args_devicePfj15HIP_vector_typeIjLj3EEjjjS8_jjjS8_jjjj, .Lfunc_end186-_ZL13mul_mat_vec_qIL9ggml_type22ELi3ELb0ELb0EEvPKvS2_PKi31ggml_cuda_mm_fusion_args_devicePfj15HIP_vector_typeIjLj3EEjjjS8_jjjS8_jjjj
                                        ; -- End function
	.section	.AMDGPU.csdata,"",@progbits
; Kernel info:
; codeLenInByte = 6024
; NumSgprs: 36
; NumVgprs: 68
; NumAgprs: 0
; TotalNumVgprs: 68
; ScratchSize: 32
; MemoryBound: 0
; FloatMode: 240
; IeeeMode: 1
; LDSByteSize: 1536 bytes/workgroup (compile time only)
; SGPRBlocks: 4
; VGPRBlocks: 8
; NumSGPRsForWavesPerEU: 36
; NumVGPRsForWavesPerEU: 68
; AccumOffset: 68
; Occupancy: 7
; WaveLimiterHint : 0
; COMPUTE_PGM_RSRC2:SCRATCH_EN: 1
; COMPUTE_PGM_RSRC2:USER_SGPR: 2
; COMPUTE_PGM_RSRC2:TRAP_HANDLER: 0
; COMPUTE_PGM_RSRC2:TGID_X_EN: 1
; COMPUTE_PGM_RSRC2:TGID_Y_EN: 1
; COMPUTE_PGM_RSRC2:TGID_Z_EN: 1
; COMPUTE_PGM_RSRC2:TIDIG_COMP_CNT: 1
; COMPUTE_PGM_RSRC3_GFX90A:ACCUM_OFFSET: 16
; COMPUTE_PGM_RSRC3_GFX90A:TG_SPLIT: 0
	.section	.text._ZL13mul_mat_vec_qIL9ggml_type22ELi4ELb0ELb0EEvPKvS2_PKi31ggml_cuda_mm_fusion_args_devicePfj15HIP_vector_typeIjLj3EEjjjS8_jjjS8_jjjj,"axG",@progbits,_ZL13mul_mat_vec_qIL9ggml_type22ELi4ELb0ELb0EEvPKvS2_PKi31ggml_cuda_mm_fusion_args_devicePfj15HIP_vector_typeIjLj3EEjjjS8_jjjS8_jjjj,comdat
	.globl	_ZL13mul_mat_vec_qIL9ggml_type22ELi4ELb0ELb0EEvPKvS2_PKi31ggml_cuda_mm_fusion_args_devicePfj15HIP_vector_typeIjLj3EEjjjS8_jjjS8_jjjj ; -- Begin function _ZL13mul_mat_vec_qIL9ggml_type22ELi4ELb0ELb0EEvPKvS2_PKi31ggml_cuda_mm_fusion_args_devicePfj15HIP_vector_typeIjLj3EEjjjS8_jjjS8_jjjj
	.p2align	8
	.type	_ZL13mul_mat_vec_qIL9ggml_type22ELi4ELb0ELb0EEvPKvS2_PKi31ggml_cuda_mm_fusion_args_devicePfj15HIP_vector_typeIjLj3EEjjjS8_jjjS8_jjjj,@function
_ZL13mul_mat_vec_qIL9ggml_type22ELi4ELb0ELb0EEvPKvS2_PKi31ggml_cuda_mm_fusion_args_devicePfj15HIP_vector_typeIjLj3EEjjjS8_jjjS8_jjjj: ; @_ZL13mul_mat_vec_qIL9ggml_type22ELi4ELb0ELb0EEvPKvS2_PKi31ggml_cuda_mm_fusion_args_devicePfj15HIP_vector_typeIjLj3EEjjjS8_jjjS8_jjjj
; %bb.0:
	s_mov_b32 s20, 0
	v_bfe_u32 v17, v0, 10, 10
	v_and_b32_e32 v16, 0x3ff, v0
	s_mov_b32 s21, s20
	v_lshl_add_u32 v4, v17, 6, v16
	s_mov_b32 s22, s20
	s_mov_b32 s23, s20
	v_mov_b64_e32 v[0:1], s[20:21]
	s_load_dword s6, s[0:1], 0x40
	s_load_dwordx4 s[8:11], s[0:1], 0x50
	s_load_dword s27, s[0:1], 0x60
	s_load_dwordx4 s[12:15], s[0:1], 0x68
	;; [unrolled: 2-line block ×3, first 2 shown]
	s_lshl_b32 s5, s2, 1
	s_waitcnt lgkmcnt(0)
	s_lshr_b32 s2, s6, 8
	v_mov_b64_e32 v[2:3], s[22:23]
	v_lshrrev_b32_e32 v34, 3, v4
	scratch_store_dwordx4 off, v[0:3], off offset:16
	scratch_store_dwordx4 off, v[0:3], off
	v_cmp_gt_u32_e32 vcc, s2, v34
	v_mov_b32_e32 v7, 0
	v_mov_b32_e32 v0, 0
	;; [unrolled: 1-line block ×8, first 2 shown]
	s_and_saveexec_b64 s[6:7], vcc
	s_cbranch_execz .LBB187_4
; %bb.1:
	s_load_dwordx4 s[20:23], s[0:1], 0x0
	s_mul_i32 s17, s4, s17
	s_mul_i32 s24, s17, 36
	;; [unrolled: 1-line block ×3, first 2 shown]
	s_mul_hi_u32 s19, s17, 36
	s_waitcnt lgkmcnt(0)
	s_add_u32 s24, s22, s24
	s_addc_u32 s19, s23, s19
	s_mul_i32 s28, s13, 36
	s_mul_hi_u32 s29, s13, 36
	s_add_u32 s24, s24, s28
	s_mul_hi_u32 s11, s11, s3
	s_addc_u32 s25, s19, s29
	s_add_i32 s11, s3, s11
	s_lshr_b32 s11, s11, s27
	s_mul_i32 s11, s11, s12
	s_mul_hi_u32 s12, s15, s4
	s_add_i32 s12, s4, s12
	s_lshr_b32 s12, s12, s26
	s_mul_i32 s12, s12, s16
	s_mul_i32 s13, s5, s8
	s_add_i32 s15, s12, s11
	s_add_i32 s12, s5, 1
	v_lshlrev_b32_e32 v2, 3, v34
	s_add_i32 s11, s15, s13
	s_mul_i32 s8, s8, s12
	v_mad_u64_u32 v[20:21], s[12:13], s9, 3, v[2:3]
	s_add_i32 s15, s15, s8
	v_add_u32_e32 v35, s9, v2
	v_lshl_add_u32 v21, s9, 1, v2
	s_movk_i32 s8, 0x120
	v_mov_b64_e32 v[2:3], s[28:29]
	v_mad_u64_u32 v[2:3], s[8:9], v34, s8, v[2:3]
	v_and_b32_e32 v18, 7, v16
	v_mad_u64_u32 v[2:3], s[8:9], s17, 36, v[2:3]
	v_mad_u64_u32 v[2:3], s[8:9], v18, 36, v[2:3]
	v_lshlrev_b32_e32 v0, 1, v18
	v_mov_b32_e32 v19, 0
	v_lshl_add_u64 v[2:3], v[2:3], 0, s[22:23]
	v_lshl_add_u64 v[22:23], v[2:3], 0, 32
	s_mov_b64 s[8:9], 0
	s_movk_i32 s19, 0x52
	v_mov_b64_e32 v[24:25], s[20:21]
	v_lshlrev_b32_e32 v26, 1, v0
	v_mov_b32_e32 v27, v19
	s_movk_i32 s20, 0x300
	s_movk_i32 s21, 0xff00
	s_mov_b64 s[12:13], 0x1200
	v_mov_b32_e32 v36, 5
	v_mov_b32_e32 v37, 1
	;; [unrolled: 1-line block ×11, first 2 shown]
.LBB187_2:                              ; =>This Inner Loop Header: Depth=1
	v_add_u32_e32 v28, s11, v34
	v_mad_i64_i32 v[30:31], s[16:17], v28, s19, v[24:25]
	v_lshl_add_u64 v[32:33], v[30:31], 0, v[26:27]
	global_load_dword v54, v[22:23], off
	global_load_dwordx4 v[8:11], v[22:23], off offset:-16
	global_load_dwordx4 v[12:15], v[22:23], off offset:-32
	global_load_dword v43, v[32:33], off offset:2
	v_lshl_add_u64 v[28:29], v[30:31], 0, v[18:19]
	global_load_ubyte v46, v[28:29], off offset:66
	global_load_dword v47, v[32:33], off offset:34
	s_getpc_b64 s[16:17]
	s_add_u32 s16, s16, _ZL9iq2s_grid@rel32@lo+4
	s_addc_u32 s17, s17, _ZL9iq2s_grid@rel32@hi+12
	v_lshl_add_u64 v[22:23], v[22:23], 0, s[12:13]
	s_waitcnt vmcnt(3)
	v_cvt_f32_f16_e32 v12, v12
	s_waitcnt vmcnt(2)
	v_and_b32_e32 v32, 0xff, v43
	s_waitcnt vmcnt(1)
	v_lshlrev_b32_e32 v33, 8, v46
	v_and_or_b32 v32, v33, s20, v32
	s_waitcnt vmcnt(0)
	v_lshlrev_b32_sdwa v33, v36, v47 dst_sel:DWORD dst_unused:UNUSED_PAD src0_sel:DWORD src1_sel:BYTE_0
	v_lshrrev_b16_e32 v33, 7, v33
	v_bfe_i32 v42, v33, 0, 1
	v_bfe_u32 v33, v47, 3, 1
	v_bfe_u32 v40, v47, 1, 7
	v_cmp_ne_u16_e32 vcc, 0, v33
	v_and_b32_e32 v39, 1, v47
	v_bfe_i32 v40, v40, 0, 1
	v_cndmask_b32_e64 v33, 0, -1, vcc
	v_sub_u16_e32 v39, 0, v39
	v_lshlrev_b16_e32 v40, 8, v40
	v_lshlrev_b16_e32 v50, 8, v33
	v_or_b32_sdwa v44, v39, v40 dst_sel:DWORD dst_unused:UNUSED_PAD src0_sel:BYTE_0 src1_sel:DWORD
	v_or_b32_sdwa v33, v42, v50 dst_sel:WORD_1 dst_unused:UNUSED_PAD src0_sel:BYTE_0 src1_sel:DWORD
	v_bfe_u32 v52, v47, 5, 3
	v_or_b32_sdwa v44, v44, v33 dst_sel:DWORD dst_unused:UNUSED_PAD src0_sel:WORD_0 src1_sel:DWORD
	v_lshlrev_b32_sdwa v33, v37, v47 dst_sel:DWORD dst_unused:UNUSED_PAD src0_sel:DWORD src1_sel:BYTE_0
	v_lshrrev_b16_e32 v33, 7, v33
	v_bfe_i32 v53, v33, 0, 1
	v_bfe_u32 v33, v47, 7, 1
	v_cmp_ne_u16_e32 vcc, 0, v33
	v_bfe_i32 v52, v52, 0, 1
	v_bfe_i32 v51, v47, 4, 1
	v_cndmask_b32_e64 v33, 0, -1, vcc
	v_lshlrev_b16_e32 v52, 8, v52
	v_lshlrev_b16_e32 v56, 8, v33
	v_lshlrev_b32_e32 v32, 3, v32
	v_or_b32_sdwa v55, v51, v52 dst_sel:DWORD dst_unused:UNUSED_PAD src0_sel:BYTE_0 src1_sel:DWORD
	v_or_b32_sdwa v33, v53, v56 dst_sel:WORD_1 dst_unused:UNUSED_PAD src0_sel:BYTE_0 src1_sel:DWORD
	v_lshlrev_b16_e32 v39, 8, v39
	v_or_b32_sdwa v55, v55, v33 dst_sel:DWORD dst_unused:UNUSED_PAD src0_sel:WORD_0 src1_sel:DWORD
	global_load_dwordx2 v[32:33], v32, s[16:17]
	v_lshlrev_b16_e32 v42, 8, v42
	v_lshrrev_b16_e32 v41, 8, v43
	v_lshrrev_b32_e32 v48, 16, v47
	v_lshrrev_b32_e32 v45, 24, v43
	;; [unrolled: 1-line block ×3, first 2 shown]
	s_waitcnt vmcnt(0)
	v_xor_b32_e32 v32, v32, v44
	v_and_b32_e32 v44, 0xffffff00, v32
	v_sub_i16 v40, v44, v40 clamp
	v_lshlrev_b16_e32 v44, 8, v32
	v_and_b32_e32 v40, 0xffffff00, v40
	v_sub_i16 v39, v44, v39 clamp
	v_or_b32_sdwa v39, v39, v40 dst_sel:DWORD dst_unused:UNUSED_PAD src0_sel:BYTE_1 src1_sel:DWORD
	v_and_b32_sdwa v40, v32, s21 dst_sel:DWORD dst_unused:UNUSED_PAD src0_sel:WORD_1 src1_sel:DWORD
	v_sub_i16 v40, v40, v50 clamp
	v_lshlrev_b16_sdwa v32, v38, v32 dst_sel:DWORD dst_unused:UNUSED_PAD src0_sel:DWORD src1_sel:WORD_1
	v_and_b32_e32 v40, 0xffffff00, v40
	v_sub_i16 v32, v32, v42 clamp
	v_or_b32_sdwa v32, v32, v40 dst_sel:WORD_1 dst_unused:UNUSED_PAD src0_sel:BYTE_1 src1_sel:DWORD
	v_lshlrev_b16_e32 v42, 8, v51
	v_or_b32_sdwa v39, v39, v32 dst_sel:DWORD dst_unused:UNUSED_PAD src0_sel:WORD_0 src1_sel:DWORD
	v_xor_b32_e32 v32, v33, v55
	v_and_b32_e32 v33, 0xffffff00, v32
	v_sub_i16 v33, v33, v52 clamp
	v_lshlrev_b16_e32 v40, 8, v32
	v_and_b32_e32 v33, 0xffffff00, v33
	v_sub_i16 v40, v40, v42 clamp
	v_or_b32_sdwa v33, v40, v33 dst_sel:DWORD dst_unused:UNUSED_PAD src0_sel:BYTE_1 src1_sel:DWORD
	v_and_b32_sdwa v40, v32, s21 dst_sel:DWORD dst_unused:UNUSED_PAD src0_sel:WORD_1 src1_sel:DWORD
	v_sub_i16 v40, v40, v56 clamp
	v_lshlrev_b16_sdwa v32, v38, v32 dst_sel:DWORD dst_unused:UNUSED_PAD src0_sel:DWORD src1_sel:WORD_1
	v_lshlrev_b16_e32 v42, 8, v53
	v_and_b32_e32 v40, 0xffffff00, v40
	v_sub_i16 v32, v32, v42 clamp
	v_or_b32_sdwa v32, v32, v40 dst_sel:WORD_1 dst_unused:UNUSED_PAD src0_sel:BYTE_1 src1_sel:DWORD
	v_lshlrev_b16_e32 v42, 7, v47
	v_or_b32_sdwa v40, v33, v32 dst_sel:DWORD dst_unused:UNUSED_PAD src0_sel:WORD_0 src1_sel:DWORD
	v_lshrrev_b16_e32 v33, 8, v47
	v_lshlrev_b32_e32 v32, 6, v46
	v_bfe_u32 v50, v33, 3, 1
	v_and_or_b32 v32, v32, s20, v41
	v_lshlrev_b32_e32 v41, 5, v33
	v_lshrrev_b32_e32 v44, 1, v33
	v_cmp_ne_u16_e32 vcc, 0, v50
	v_bfe_i32 v44, v44, 0, 1
	v_lshrrev_b16_e32 v41, 7, v41
	v_cndmask_b32_e64 v50, 0, -1, vcc
	v_ashrrev_i16_e32 v42, 15, v42
	v_bfe_i32 v41, v41, 0, 1
	v_lshlrev_b16_e32 v44, 8, v44
	v_lshlrev_b16_e32 v50, 8, v50
	v_or_b32_sdwa v52, v42, v44 dst_sel:DWORD dst_unused:UNUSED_PAD src0_sel:BYTE_0 src1_sel:DWORD
	v_or_b32_sdwa v53, v41, v50 dst_sel:WORD_1 dst_unused:UNUSED_PAD src0_sel:BYTE_0 src1_sel:DWORD
	v_bfe_i32 v55, v33, 4, 1
	v_or_b32_sdwa v52, v52, v53 dst_sel:DWORD dst_unused:UNUSED_PAD src0_sel:WORD_0 src1_sel:DWORD
	v_lshlrev_b32_e32 v53, 1, v33
	v_lshrrev_b32_e32 v56, 5, v33
	v_lshrrev_b32_e32 v33, 7, v33
	v_cmp_ne_u16_e32 vcc, 0, v33
	v_bfe_i32 v56, v56, 0, 1
	v_lshrrev_b16_e32 v53, 7, v53
	v_cndmask_b32_e64 v33, 0, -1, vcc
	v_bfe_i32 v53, v53, 0, 1
	v_lshlrev_b16_e32 v56, 8, v56
	v_lshlrev_b16_e32 v58, 8, v33
	v_lshlrev_b32_e32 v32, 3, v32
	v_or_b32_sdwa v57, v55, v56 dst_sel:DWORD dst_unused:UNUSED_PAD src0_sel:BYTE_0 src1_sel:DWORD
	v_or_b32_sdwa v33, v53, v58 dst_sel:WORD_1 dst_unused:UNUSED_PAD src0_sel:BYTE_0 src1_sel:DWORD
	v_lshlrev_b16_e32 v42, 8, v42
	v_or_b32_sdwa v57, v57, v33 dst_sel:DWORD dst_unused:UNUSED_PAD src0_sel:WORD_0 src1_sel:DWORD
	global_load_dwordx2 v[32:33], v32, s[16:17]
	v_lshlrev_b16_e32 v41, 8, v41
	v_mov_b32_e32 v51, 0
	v_dot4c_i32_i8_e32 v51, v39, v13
	v_dot4c_i32_i8_e32 v51, v40, v14
	s_waitcnt vmcnt(0)
	v_xor_b32_e32 v32, v32, v52
	v_and_b32_e32 v52, 0xffffff00, v32
	v_sub_i16 v44, v52, v44 clamp
	v_lshlrev_b16_e32 v52, 8, v32
	v_and_b32_e32 v44, 0xffffff00, v44
	v_sub_i16 v42, v52, v42 clamp
	v_or_b32_sdwa v42, v42, v44 dst_sel:DWORD dst_unused:UNUSED_PAD src0_sel:BYTE_1 src1_sel:DWORD
	v_and_b32_sdwa v44, v32, s21 dst_sel:DWORD dst_unused:UNUSED_PAD src0_sel:WORD_1 src1_sel:DWORD
	v_sub_i16 v44, v44, v50 clamp
	v_lshlrev_b16_sdwa v32, v38, v32 dst_sel:DWORD dst_unused:UNUSED_PAD src0_sel:DWORD src1_sel:WORD_1
	v_and_b32_e32 v44, 0xffffff00, v44
	v_sub_i16 v32, v32, v41 clamp
	v_or_b32_sdwa v32, v32, v44 dst_sel:WORD_1 dst_unused:UNUSED_PAD src0_sel:BYTE_1 src1_sel:DWORD
	v_lshlrev_b16_e32 v44, 8, v55
	v_or_b32_sdwa v41, v42, v32 dst_sel:DWORD dst_unused:UNUSED_PAD src0_sel:WORD_0 src1_sel:DWORD
	v_xor_b32_e32 v32, v33, v57
	v_and_b32_e32 v33, 0xffffff00, v32
	v_sub_i16 v33, v33, v56 clamp
	v_lshlrev_b16_e32 v42, 8, v32
	v_and_b32_e32 v33, 0xffffff00, v33
	v_sub_i16 v42, v42, v44 clamp
	v_or_b32_sdwa v33, v42, v33 dst_sel:DWORD dst_unused:UNUSED_PAD src0_sel:BYTE_1 src1_sel:DWORD
	v_and_b32_sdwa v42, v32, s21 dst_sel:DWORD dst_unused:UNUSED_PAD src0_sel:WORD_1 src1_sel:DWORD
	v_sub_i16 v42, v42, v58 clamp
	v_lshlrev_b16_sdwa v32, v38, v32 dst_sel:DWORD dst_unused:UNUSED_PAD src0_sel:DWORD src1_sel:WORD_1
	v_lshlrev_b16_e32 v44, 8, v53
	v_and_b32_e32 v42, 0xffffff00, v42
	v_sub_i16 v32, v32, v44 clamp
	v_or_b32_sdwa v32, v32, v42 dst_sel:WORD_1 dst_unused:UNUSED_PAD src0_sel:BYTE_1 src1_sel:DWORD
	v_bfe_u32 v44, v48, 1, 7
	v_or_b32_sdwa v42, v33, v32 dst_sel:DWORD dst_unused:UNUSED_PAD src0_sel:WORD_0 src1_sel:DWORD
	v_bfe_u32 v32, v43, 16, 8
	v_lshlrev_b32_e32 v33, 4, v46
	v_and_or_b32 v32, v33, s20, v32
	v_lshlrev_b32_sdwa v33, v36, v47 dst_sel:DWORD dst_unused:UNUSED_PAD src0_sel:DWORD src1_sel:BYTE_2
	v_lshrrev_b16_e32 v33, 7, v33
	v_bfe_i32 v50, v33, 0, 1
	v_bfe_u32 v33, v47, 19, 1
	v_cmp_ne_u16_e32 vcc, 0, v33
	v_and_b32_e32 v43, 1, v48
	v_bfe_i32 v44, v44, 0, 1
	v_cndmask_b32_e64 v33, 0, -1, vcc
	v_sub_u16_e32 v43, 0, v43
	v_lshlrev_b16_e32 v44, 8, v44
	v_lshlrev_b16_e32 v53, 8, v33
	v_or_b32_sdwa v52, v43, v44 dst_sel:DWORD dst_unused:UNUSED_PAD src0_sel:BYTE_0 src1_sel:DWORD
	v_or_b32_sdwa v33, v50, v53 dst_sel:WORD_1 dst_unused:UNUSED_PAD src0_sel:BYTE_0 src1_sel:DWORD
	v_bfe_u32 v56, v48, 5, 3
	v_or_b32_sdwa v52, v52, v33 dst_sel:DWORD dst_unused:UNUSED_PAD src0_sel:WORD_0 src1_sel:DWORD
	v_lshlrev_b32_sdwa v33, v37, v47 dst_sel:DWORD dst_unused:UNUSED_PAD src0_sel:DWORD src1_sel:BYTE_2
	v_lshrrev_b16_e32 v33, 7, v33
	v_bfe_i32 v57, v33, 0, 1
	v_bfe_u32 v33, v48, 7, 1
	v_cmp_ne_u16_e32 vcc, 0, v33
	v_bfe_i32 v56, v56, 0, 1
	v_bfe_i32 v55, v47, 20, 1
	v_cndmask_b32_e64 v33, 0, -1, vcc
	v_lshlrev_b16_e32 v56, 8, v56
	v_lshlrev_b16_e32 v59, 8, v33
	v_lshlrev_b32_e32 v32, 3, v32
	v_or_b32_sdwa v58, v55, v56 dst_sel:DWORD dst_unused:UNUSED_PAD src0_sel:BYTE_0 src1_sel:DWORD
	v_or_b32_sdwa v33, v57, v59 dst_sel:WORD_1 dst_unused:UNUSED_PAD src0_sel:BYTE_0 src1_sel:DWORD
	v_lshlrev_b16_e32 v43, 8, v43
	v_or_b32_sdwa v58, v58, v33 dst_sel:DWORD dst_unused:UNUSED_PAD src0_sel:WORD_0 src1_sel:DWORD
	global_load_dwordx2 v[32:33], v32, s[16:17]
	v_lshlrev_b16_e32 v50, 8, v50
	v_dot4c_i32_i8_e32 v51, v41, v15
	v_dot4c_i32_i8_e32 v51, v42, v8
	s_waitcnt vmcnt(0)
	v_xor_b32_e32 v32, v32, v52
	v_and_b32_e32 v52, 0xffffff00, v32
	v_sub_i16 v44, v52, v44 clamp
	v_lshlrev_b16_e32 v52, 8, v32
	v_and_b32_e32 v44, 0xffffff00, v44
	v_sub_i16 v43, v52, v43 clamp
	v_or_b32_sdwa v43, v43, v44 dst_sel:DWORD dst_unused:UNUSED_PAD src0_sel:BYTE_1 src1_sel:DWORD
	v_and_b32_sdwa v44, v32, s21 dst_sel:DWORD dst_unused:UNUSED_PAD src0_sel:WORD_1 src1_sel:DWORD
	v_sub_i16 v44, v44, v53 clamp
	v_lshlrev_b16_sdwa v32, v38, v32 dst_sel:DWORD dst_unused:UNUSED_PAD src0_sel:DWORD src1_sel:WORD_1
	v_and_b32_e32 v44, 0xffffff00, v44
	v_sub_i16 v32, v32, v50 clamp
	v_or_b32_sdwa v32, v32, v44 dst_sel:WORD_1 dst_unused:UNUSED_PAD src0_sel:BYTE_1 src1_sel:DWORD
	v_lshlrev_b16_e32 v50, 8, v55
	v_or_b32_sdwa v43, v43, v32 dst_sel:DWORD dst_unused:UNUSED_PAD src0_sel:WORD_0 src1_sel:DWORD
	v_xor_b32_e32 v32, v33, v58
	v_and_b32_e32 v33, 0xffffff00, v32
	v_sub_i16 v33, v33, v56 clamp
	v_lshlrev_b16_e32 v44, 8, v32
	v_and_b32_e32 v33, 0xffffff00, v33
	v_sub_i16 v44, v44, v50 clamp
	v_or_b32_sdwa v33, v44, v33 dst_sel:DWORD dst_unused:UNUSED_PAD src0_sel:BYTE_1 src1_sel:DWORD
	v_and_b32_sdwa v44, v32, s21 dst_sel:DWORD dst_unused:UNUSED_PAD src0_sel:WORD_1 src1_sel:DWORD
	v_sub_i16 v44, v44, v59 clamp
	v_lshlrev_b16_sdwa v32, v38, v32 dst_sel:DWORD dst_unused:UNUSED_PAD src0_sel:DWORD src1_sel:WORD_1
	v_lshlrev_b16_e32 v50, 8, v57
	v_and_b32_e32 v44, 0xffffff00, v44
	v_sub_i16 v32, v32, v50 clamp
	v_or_b32_sdwa v32, v32, v44 dst_sel:WORD_1 dst_unused:UNUSED_PAD src0_sel:BYTE_1 src1_sel:DWORD
	v_lshrrev_b32_e32 v55, 29, v47
	v_or_b32_sdwa v44, v33, v32 dst_sel:DWORD dst_unused:UNUSED_PAD src0_sel:WORD_0 src1_sel:DWORD
	v_lshlrev_b32_e32 v33, 5, v49
	v_lshlrev_b32_e32 v32, 2, v46
	v_lshrrev_b16_e32 v33, 7, v33
	v_and_or_b32 v32, v32, s20, v45
	v_lshlrev_b16_e32 v45, 7, v48
	v_bfe_i32 v48, v33, 0, 1
	v_bfe_u32 v33, v47, 27, 1
	v_lshrrev_b32_e32 v46, 25, v47
	v_cmp_ne_u16_e32 vcc, 0, v33
	v_bfe_i32 v46, v46, 0, 1
	v_ashrrev_i16_e32 v45, 15, v45
	v_cndmask_b32_e64 v33, 0, -1, vcc
	v_lshlrev_b16_e32 v46, 8, v46
	v_lshlrev_b16_e32 v53, 8, v33
	v_or_b32_sdwa v50, v45, v46 dst_sel:DWORD dst_unused:UNUSED_PAD src0_sel:BYTE_0 src1_sel:DWORD
	v_or_b32_sdwa v33, v48, v53 dst_sel:WORD_1 dst_unused:UNUSED_PAD src0_sel:BYTE_0 src1_sel:DWORD
	v_bfe_i32 v55, v55, 0, 1
	v_or_b32_sdwa v50, v50, v33 dst_sel:DWORD dst_unused:UNUSED_PAD src0_sel:WORD_0 src1_sel:DWORD
	v_lshlrev_b32_e32 v33, 1, v49
	v_lshrrev_b16_e32 v33, 7, v33
	v_bfe_i32 v56, v33, 0, 1
	v_lshrrev_b32_e32 v33, 31, v47
	v_cmp_ne_u16_e32 vcc, 0, v33
	v_bfe_i32 v49, v49, 4, 1
	v_lshlrev_b16_e32 v47, 8, v55
	v_cndmask_b32_e64 v33, 0, -1, vcc
	v_lshlrev_b16_e32 v57, 8, v33
	v_lshlrev_b32_e32 v32, 3, v32
	v_or_b32_sdwa v55, v49, v47 dst_sel:DWORD dst_unused:UNUSED_PAD src0_sel:BYTE_0 src1_sel:DWORD
	v_or_b32_sdwa v33, v56, v57 dst_sel:WORD_1 dst_unused:UNUSED_PAD src0_sel:BYTE_0 src1_sel:DWORD
	v_lshlrev_b16_e32 v45, 8, v45
	v_or_b32_sdwa v55, v55, v33 dst_sel:DWORD dst_unused:UNUSED_PAD src0_sel:WORD_0 src1_sel:DWORD
	global_load_dwordx2 v[32:33], v32, s[16:17]
	v_lshlrev_b16_e32 v48, 8, v48
	v_mov_b32_e32 v52, 0
	v_dot4c_i32_i8_e32 v52, v43, v9
	v_dot4c_i32_i8_e32 v52, v44, v10
	s_waitcnt vmcnt(0)
	v_xor_b32_e32 v32, v32, v50
	v_and_b32_e32 v50, 0xffffff00, v32
	v_sub_i16 v46, v50, v46 clamp
	v_lshlrev_b16_e32 v50, 8, v32
	v_and_b32_e32 v46, 0xffffff00, v46
	v_sub_i16 v45, v50, v45 clamp
	v_or_b32_sdwa v45, v45, v46 dst_sel:DWORD dst_unused:UNUSED_PAD src0_sel:BYTE_1 src1_sel:DWORD
	v_and_b32_sdwa v46, v32, s21 dst_sel:DWORD dst_unused:UNUSED_PAD src0_sel:WORD_1 src1_sel:DWORD
	v_sub_i16 v46, v46, v53 clamp
	v_lshlrev_b16_sdwa v32, v38, v32 dst_sel:DWORD dst_unused:UNUSED_PAD src0_sel:DWORD src1_sel:WORD_1
	v_and_b32_e32 v46, 0xffffff00, v46
	v_sub_i16 v32, v32, v48 clamp
	v_or_b32_sdwa v32, v32, v46 dst_sel:WORD_1 dst_unused:UNUSED_PAD src0_sel:BYTE_1 src1_sel:DWORD
	global_load_ushort v53, v[30:31], off
	v_or_b32_sdwa v45, v45, v32 dst_sel:DWORD dst_unused:UNUSED_PAD src0_sel:WORD_0 src1_sel:DWORD
	v_xor_b32_e32 v32, v33, v55
	v_and_b32_e32 v33, 0xffffff00, v32
	v_sub_i16 v33, v33, v47 clamp
	v_lshlrev_b16_e32 v46, 8, v32
	v_lshlrev_b16_e32 v47, 8, v49
	v_and_b32_e32 v33, 0xffffff00, v33
	v_sub_i16 v46, v46, v47 clamp
	v_or_b32_sdwa v33, v46, v33 dst_sel:DWORD dst_unused:UNUSED_PAD src0_sel:BYTE_1 src1_sel:DWORD
	v_and_b32_sdwa v46, v32, s21 dst_sel:DWORD dst_unused:UNUSED_PAD src0_sel:WORD_1 src1_sel:DWORD
	v_sub_i16 v46, v46, v57 clamp
	v_lshlrev_b16_sdwa v32, v38, v32 dst_sel:DWORD dst_unused:UNUSED_PAD src0_sel:DWORD src1_sel:WORD_1
	v_lshlrev_b16_e32 v47, 8, v56
	v_add_u32_e32 v30, s15, v34
	v_and_b32_e32 v46, 0xffffff00, v46
	v_sub_i16 v32, v32, v47 clamp
	v_mad_i64_i32 v[30:31], s[22:23], v30, s19, v[24:25]
	v_or_b32_sdwa v32, v32, v46 dst_sel:WORD_1 dst_unused:UNUSED_PAD src0_sel:BYTE_1 src1_sel:DWORD
	v_lshl_add_u64 v[48:49], v[30:31], 0, v[26:27]
	v_or_b32_sdwa v46, v33, v32 dst_sel:DWORD dst_unused:UNUSED_PAD src0_sel:WORD_0 src1_sel:DWORD
	global_load_dword v50, v[48:49], off offset:2
	v_lshl_add_u64 v[32:33], v[30:31], 0, v[18:19]
	global_load_ubyte v59, v[32:33], off offset:66
	global_load_dword v60, v[48:49], off offset:34
	v_dot4c_i32_i8_e32 v52, v45, v11
	v_dot4c_i32_i8_e32 v52, v46, v54
	v_add_u32_e32 v34, 16, v34
	s_waitcnt vmcnt(2)
	v_and_b32_e32 v47, 0xff, v50
	s_waitcnt vmcnt(1)
	v_lshlrev_b32_e32 v48, 8, v59
	v_and_or_b32 v47, v48, s20, v47
	s_waitcnt vmcnt(0)
	v_lshlrev_b32_sdwa v48, v36, v60 dst_sel:DWORD dst_unused:UNUSED_PAD src0_sel:DWORD src1_sel:BYTE_0
	v_lshrrev_b16_e32 v48, 7, v48
	v_and_b32_e32 v49, 1, v60
	v_bfe_i32 v57, v48, 0, 1
	v_bfe_u32 v48, v60, 3, 1
	v_sub_u16_e32 v55, 0, v49
	v_bfe_u32 v49, v60, 1, 7
	v_cmp_ne_u16_e32 vcc, 0, v48
	v_bfe_i32 v49, v49, 0, 1
	v_lshlrev_b16_e32 v63, 8, v49
	v_cndmask_b32_e64 v48, 0, -1, vcc
	v_lshlrev_b16_e32 v64, 8, v48
	v_or_b32_sdwa v49, v55, v63 dst_sel:DWORD dst_unused:UNUSED_PAD src0_sel:BYTE_0 src1_sel:DWORD
	v_or_b32_sdwa v48, v57, v64 dst_sel:WORD_1 dst_unused:UNUSED_PAD src0_sel:BYTE_0 src1_sel:DWORD
	v_bfe_i32 v66, v60, 4, 1
	v_or_b32_sdwa v65, v49, v48 dst_sel:DWORD dst_unused:UNUSED_PAD src0_sel:WORD_0 src1_sel:DWORD
	v_lshlrev_b32_sdwa v48, v37, v60 dst_sel:DWORD dst_unused:UNUSED_PAD src0_sel:DWORD src1_sel:BYTE_0
	v_lshrrev_b16_e32 v48, 7, v48
	v_bfe_i32 v67, v48, 0, 1
	v_bfe_u32 v48, v60, 7, 1
	v_bfe_u32 v49, v60, 5, 3
	v_cmp_ne_u16_e32 vcc, 0, v48
	v_bfe_i32 v49, v49, 0, 1
	v_lshlrev_b16_e32 v68, 8, v49
	v_cndmask_b32_e64 v48, 0, -1, vcc
	v_lshlrev_b16_e32 v69, 8, v48
	v_lshlrev_b32_e32 v47, 3, v47
	v_or_b32_sdwa v49, v66, v68 dst_sel:DWORD dst_unused:UNUSED_PAD src0_sel:BYTE_0 src1_sel:DWORD
	v_or_b32_sdwa v48, v67, v69 dst_sel:WORD_1 dst_unused:UNUSED_PAD src0_sel:BYTE_0 src1_sel:DWORD
	v_lshlrev_b16_e32 v55, 8, v55
	v_or_b32_sdwa v70, v49, v48 dst_sel:DWORD dst_unused:UNUSED_PAD src0_sel:WORD_0 src1_sel:DWORD
	global_load_dwordx2 v[48:49], v47, s[16:17]
	v_lshlrev_b16_e32 v57, 8, v57
	v_lshrrev_b16_e32 v56, 8, v50
	v_lshrrev_b32_e32 v61, 16, v60
	v_lshrrev_b32_e32 v58, 24, v50
	;; [unrolled: 1-line block ×3, first 2 shown]
	s_waitcnt vmcnt(0)
	v_xor_b32_e32 v47, v48, v65
	v_and_b32_e32 v48, 0xffffff00, v47
	v_sub_i16 v48, v48, v63 clamp
	v_lshlrev_b16_e32 v63, 8, v47
	v_and_b32_e32 v48, 0xffffff00, v48
	v_sub_i16 v55, v63, v55 clamp
	v_or_b32_sdwa v48, v55, v48 dst_sel:DWORD dst_unused:UNUSED_PAD src0_sel:BYTE_1 src1_sel:DWORD
	v_and_b32_sdwa v55, v47, s21 dst_sel:DWORD dst_unused:UNUSED_PAD src0_sel:WORD_1 src1_sel:DWORD
	v_sub_i16 v55, v55, v64 clamp
	v_lshlrev_b16_sdwa v47, v38, v47 dst_sel:DWORD dst_unused:UNUSED_PAD src0_sel:DWORD src1_sel:WORD_1
	v_and_b32_e32 v55, 0xffffff00, v55
	v_sub_i16 v47, v47, v57 clamp
	v_or_b32_sdwa v47, v47, v55 dst_sel:WORD_1 dst_unused:UNUSED_PAD src0_sel:BYTE_1 src1_sel:DWORD
	v_lshlrev_b16_e32 v57, 8, v66
	v_or_b32_sdwa v47, v48, v47 dst_sel:DWORD dst_unused:UNUSED_PAD src0_sel:WORD_0 src1_sel:DWORD
	v_xor_b32_e32 v48, v49, v70
	v_and_b32_e32 v49, 0xffffff00, v48
	v_sub_i16 v49, v49, v68 clamp
	v_lshlrev_b16_e32 v55, 8, v48
	v_and_b32_e32 v49, 0xffffff00, v49
	v_sub_i16 v55, v55, v57 clamp
	v_or_b32_sdwa v49, v55, v49 dst_sel:DWORD dst_unused:UNUSED_PAD src0_sel:BYTE_1 src1_sel:DWORD
	v_and_b32_sdwa v55, v48, s21 dst_sel:DWORD dst_unused:UNUSED_PAD src0_sel:WORD_1 src1_sel:DWORD
	v_sub_i16 v55, v55, v69 clamp
	v_lshlrev_b16_sdwa v48, v38, v48 dst_sel:DWORD dst_unused:UNUSED_PAD src0_sel:DWORD src1_sel:WORD_1
	v_lshlrev_b16_e32 v57, 8, v67
	v_and_b32_e32 v55, 0xffffff00, v55
	v_sub_i16 v48, v48, v57 clamp
	v_or_b32_sdwa v48, v48, v55 dst_sel:WORD_1 dst_unused:UNUSED_PAD src0_sel:BYTE_1 src1_sel:DWORD
	v_mov_b32_e32 v55, 0
	v_or_b32_sdwa v48, v49, v48 dst_sel:DWORD dst_unused:UNUSED_PAD src0_sel:WORD_0 src1_sel:DWORD
	v_dot4c_i32_i8_e32 v55, v47, v13
	v_dot4c_i32_i8_e32 v55, v48, v14
	v_lshlrev_b32_e32 v13, 6, v59
	v_lshrrev_b16_e32 v14, 8, v60
	v_and_or_b32 v13, v13, s20, v56
	v_lshlrev_b16_e32 v56, 7, v60
	v_bfe_u32 v57, v14, 3, 1
	v_lshlrev_b32_e32 v49, 5, v14
	v_ashrrev_i16_e32 v63, 15, v56
	v_lshrrev_b32_e32 v56, 1, v14
	v_cmp_ne_u16_e32 vcc, 0, v57
	v_bfe_i32 v56, v56, 0, 1
	v_lshrrev_b16_e32 v49, 7, v49
	v_cndmask_b32_e64 v57, 0, -1, vcc
	v_bfe_i32 v49, v49, 0, 1
	v_lshlrev_b16_e32 v64, 8, v56
	v_lshlrev_b16_e32 v65, 8, v57
	v_or_b32_sdwa v56, v63, v64 dst_sel:DWORD dst_unused:UNUSED_PAD src0_sel:BYTE_0 src1_sel:DWORD
	v_or_b32_sdwa v57, v49, v65 dst_sel:WORD_1 dst_unused:UNUSED_PAD src0_sel:BYTE_0 src1_sel:DWORD
	v_bfe_i32 v67, v14, 4, 1
	v_or_b32_sdwa v66, v56, v57 dst_sel:DWORD dst_unused:UNUSED_PAD src0_sel:WORD_0 src1_sel:DWORD
	v_lshlrev_b32_e32 v56, 1, v14
	v_lshrrev_b32_e32 v57, 5, v14
	v_lshrrev_b32_e32 v14, 7, v14
	v_cmp_ne_u16_e32 vcc, 0, v14
	v_bfe_i32 v57, v57, 0, 1
	v_lshrrev_b16_e32 v56, 7, v56
	v_cndmask_b32_e64 v14, 0, -1, vcc
	v_bfe_i32 v68, v56, 0, 1
	v_lshlrev_b16_e32 v69, 8, v57
	v_lshlrev_b16_e32 v14, 8, v14
	v_lshlrev_b32_e32 v13, 3, v13
	v_or_b32_sdwa v56, v67, v69 dst_sel:DWORD dst_unused:UNUSED_PAD src0_sel:BYTE_0 src1_sel:DWORD
	v_or_b32_sdwa v57, v68, v14 dst_sel:WORD_1 dst_unused:UNUSED_PAD src0_sel:BYTE_0 src1_sel:DWORD
	v_lshlrev_b16_e32 v63, 8, v63
	v_or_b32_sdwa v70, v56, v57 dst_sel:DWORD dst_unused:UNUSED_PAD src0_sel:WORD_0 src1_sel:DWORD
	global_load_dwordx2 v[56:57], v13, s[16:17]
	v_lshlrev_b16_e32 v49, 8, v49
	s_waitcnt vmcnt(0)
	v_xor_b32_e32 v13, v56, v66
	v_and_b32_e32 v56, 0xffffff00, v13
	v_sub_i16 v56, v56, v64 clamp
	v_lshlrev_b16_e32 v64, 8, v13
	v_and_b32_e32 v56, 0xffffff00, v56
	v_sub_i16 v63, v64, v63 clamp
	v_or_b32_sdwa v56, v63, v56 dst_sel:DWORD dst_unused:UNUSED_PAD src0_sel:BYTE_1 src1_sel:DWORD
	v_and_b32_sdwa v63, v13, s21 dst_sel:DWORD dst_unused:UNUSED_PAD src0_sel:WORD_1 src1_sel:DWORD
	v_sub_i16 v63, v63, v65 clamp
	v_lshlrev_b16_sdwa v13, v38, v13 dst_sel:DWORD dst_unused:UNUSED_PAD src0_sel:DWORD src1_sel:WORD_1
	v_and_b32_e32 v63, 0xffffff00, v63
	v_sub_i16 v13, v13, v49 clamp
	v_or_b32_sdwa v13, v13, v63 dst_sel:WORD_1 dst_unused:UNUSED_PAD src0_sel:BYTE_1 src1_sel:DWORD
	v_xor_b32_e32 v49, v57, v70
	v_or_b32_sdwa v13, v56, v13 dst_sel:DWORD dst_unused:UNUSED_PAD src0_sel:WORD_0 src1_sel:DWORD
	v_and_b32_e32 v56, 0xffffff00, v49
	v_sub_i16 v56, v56, v69 clamp
	v_lshlrev_b16_e32 v57, 8, v49
	v_lshlrev_b16_e32 v63, 8, v67
	v_and_b32_e32 v56, 0xffffff00, v56
	v_sub_i16 v57, v57, v63 clamp
	v_or_b32_sdwa v56, v57, v56 dst_sel:DWORD dst_unused:UNUSED_PAD src0_sel:BYTE_1 src1_sel:DWORD
	v_and_b32_sdwa v57, v49, s21 dst_sel:DWORD dst_unused:UNUSED_PAD src0_sel:WORD_1 src1_sel:DWORD
	v_sub_i16 v14, v57, v14 clamp
	v_lshlrev_b16_sdwa v49, v38, v49 dst_sel:DWORD dst_unused:UNUSED_PAD src0_sel:DWORD src1_sel:WORD_1
	v_lshlrev_b16_e32 v57, 8, v68
	v_and_b32_e32 v14, 0xffffff00, v14
	v_sub_i16 v49, v49, v57 clamp
	v_or_b32_sdwa v14, v49, v14 dst_sel:WORD_1 dst_unused:UNUSED_PAD src0_sel:BYTE_1 src1_sel:DWORD
	v_dot4c_i32_i8_e32 v55, v13, v15
	v_or_b32_sdwa v14, v56, v14 dst_sel:DWORD dst_unused:UNUSED_PAD src0_sel:WORD_0 src1_sel:DWORD
	v_dot4c_i32_i8_e32 v55, v14, v8
	v_bfe_u32 v8, v50, 16, 8
	v_lshlrev_b32_e32 v15, 4, v59
	v_bfe_u32 v56, v60, 19, 1
	v_and_or_b32 v8, v15, s20, v8
	v_lshlrev_b32_sdwa v15, v36, v60 dst_sel:DWORD dst_unused:UNUSED_PAD src0_sel:DWORD src1_sel:BYTE_2
	v_bfe_u32 v50, v61, 1, 7
	v_cmp_ne_u16_e32 vcc, 0, v56
	v_and_b32_e32 v49, 1, v61
	v_bfe_i32 v50, v50, 0, 1
	v_lshrrev_b16_e32 v15, 7, v15
	v_cndmask_b32_e64 v56, 0, -1, vcc
	v_sub_u16_e32 v49, 0, v49
	v_bfe_i32 v15, v15, 0, 1
	v_lshlrev_b16_e32 v50, 8, v50
	v_lshlrev_b16_e32 v63, 8, v56
	v_or_b32_sdwa v57, v49, v50 dst_sel:DWORD dst_unused:UNUSED_PAD src0_sel:BYTE_0 src1_sel:DWORD
	v_or_b32_sdwa v56, v15, v63 dst_sel:WORD_1 dst_unused:UNUSED_PAD src0_sel:BYTE_0 src1_sel:DWORD
	v_bfe_i32 v65, v60, 20, 1
	v_or_b32_sdwa v64, v57, v56 dst_sel:DWORD dst_unused:UNUSED_PAD src0_sel:WORD_0 src1_sel:DWORD
	v_lshlrev_b32_sdwa v56, v37, v60 dst_sel:DWORD dst_unused:UNUSED_PAD src0_sel:DWORD src1_sel:BYTE_2
	v_lshrrev_b16_e32 v56, 7, v56
	v_bfe_i32 v66, v56, 0, 1
	v_bfe_u32 v56, v61, 7, 1
	v_bfe_u32 v57, v61, 5, 3
	v_cmp_ne_u16_e32 vcc, 0, v56
	v_bfe_i32 v57, v57, 0, 1
	v_lshlrev_b16_e32 v67, 8, v57
	v_cndmask_b32_e64 v56, 0, -1, vcc
	v_lshlrev_b16_e32 v68, 8, v56
	v_lshlrev_b32_e32 v8, 3, v8
	v_or_b32_sdwa v57, v65, v67 dst_sel:DWORD dst_unused:UNUSED_PAD src0_sel:BYTE_0 src1_sel:DWORD
	v_or_b32_sdwa v56, v66, v68 dst_sel:WORD_1 dst_unused:UNUSED_PAD src0_sel:BYTE_0 src1_sel:DWORD
	v_lshlrev_b16_e32 v49, 8, v49
	v_or_b32_sdwa v69, v57, v56 dst_sel:DWORD dst_unused:UNUSED_PAD src0_sel:WORD_0 src1_sel:DWORD
	global_load_dwordx2 v[56:57], v8, s[16:17]
	v_lshlrev_b16_e32 v15, 8, v15
	s_waitcnt vmcnt(0)
	v_xor_b32_e32 v8, v56, v64
	v_and_b32_e32 v56, 0xffffff00, v8
	v_sub_i16 v50, v56, v50 clamp
	v_lshlrev_b16_e32 v56, 8, v8
	v_and_b32_e32 v50, 0xffffff00, v50
	v_sub_i16 v49, v56, v49 clamp
	v_or_b32_sdwa v49, v49, v50 dst_sel:DWORD dst_unused:UNUSED_PAD src0_sel:BYTE_1 src1_sel:DWORD
	v_and_b32_sdwa v50, v8, s21 dst_sel:DWORD dst_unused:UNUSED_PAD src0_sel:WORD_1 src1_sel:DWORD
	v_sub_i16 v50, v50, v63 clamp
	v_lshlrev_b16_sdwa v8, v38, v8 dst_sel:DWORD dst_unused:UNUSED_PAD src0_sel:DWORD src1_sel:WORD_1
	v_and_b32_e32 v50, 0xffffff00, v50
	v_sub_i16 v8, v8, v15 clamp
	v_or_b32_sdwa v8, v8, v50 dst_sel:WORD_1 dst_unused:UNUSED_PAD src0_sel:BYTE_1 src1_sel:DWORD
	v_lshlrev_b16_e32 v56, 8, v65
	v_or_b32_sdwa v15, v49, v8 dst_sel:DWORD dst_unused:UNUSED_PAD src0_sel:WORD_0 src1_sel:DWORD
	v_xor_b32_e32 v8, v57, v69
	v_and_b32_e32 v49, 0xffffff00, v8
	v_sub_i16 v49, v49, v67 clamp
	v_lshlrev_b16_e32 v50, 8, v8
	v_and_b32_e32 v49, 0xffffff00, v49
	v_sub_i16 v50, v50, v56 clamp
	v_or_b32_sdwa v49, v50, v49 dst_sel:DWORD dst_unused:UNUSED_PAD src0_sel:BYTE_1 src1_sel:DWORD
	v_and_b32_sdwa v50, v8, s21 dst_sel:DWORD dst_unused:UNUSED_PAD src0_sel:WORD_1 src1_sel:DWORD
	v_sub_i16 v50, v50, v68 clamp
	v_lshlrev_b16_sdwa v8, v38, v8 dst_sel:DWORD dst_unused:UNUSED_PAD src0_sel:DWORD src1_sel:WORD_1
	v_lshlrev_b16_e32 v56, 8, v66
	v_and_b32_e32 v50, 0xffffff00, v50
	v_sub_i16 v8, v8, v56 clamp
	v_or_b32_sdwa v8, v8, v50 dst_sel:WORD_1 dst_unused:UNUSED_PAD src0_sel:BYTE_1 src1_sel:DWORD
	v_bfe_u32 v57, v60, 27, 1
	v_or_b32_sdwa v49, v49, v8 dst_sel:DWORD dst_unused:UNUSED_PAD src0_sel:WORD_0 src1_sel:DWORD
	v_mov_b32_e32 v8, 0
	v_dot4c_i32_i8_e32 v8, v15, v9
	v_dot4c_i32_i8_e32 v8, v49, v10
	v_lshlrev_b32_e32 v10, 5, v62
	v_lshrrev_b32_e32 v56, 25, v60
	v_cmp_ne_u16_e32 vcc, 0, v57
	v_lshlrev_b32_e32 v9, 2, v59
	v_lshlrev_b16_e32 v50, 7, v61
	v_bfe_i32 v56, v56, 0, 1
	v_lshrrev_b16_e32 v10, 7, v10
	v_cndmask_b32_e64 v57, 0, -1, vcc
	v_and_or_b32 v9, v9, s20, v58
	v_ashrrev_i16_e32 v50, 15, v50
	v_bfe_i32 v10, v10, 0, 1
	v_lshlrev_b16_e32 v58, 8, v56
	v_lshlrev_b16_e32 v59, 8, v57
	v_or_b32_sdwa v56, v50, v58 dst_sel:DWORD dst_unused:UNUSED_PAD src0_sel:BYTE_0 src1_sel:DWORD
	v_or_b32_sdwa v57, v10, v59 dst_sel:WORD_1 dst_unused:UNUSED_PAD src0_sel:BYTE_0 src1_sel:DWORD
	v_lshlrev_b32_e32 v9, 3, v9
	v_or_b32_sdwa v61, v56, v57 dst_sel:DWORD dst_unused:UNUSED_PAD src0_sel:WORD_0 src1_sel:DWORD
	v_lshlrev_b32_e32 v56, 1, v62
	v_lshrrev_b16_e32 v56, 7, v56
	v_bfe_i32 v63, v56, 0, 1
	v_lshrrev_b32_e32 v56, 31, v60
	v_lshrrev_b32_e32 v57, 29, v60
	v_cmp_ne_u16_e32 vcc, 0, v56
	v_bfe_i32 v57, v57, 0, 1
	v_bfe_i32 v62, v62, 4, 1
	v_cndmask_b32_e64 v56, 0, -1, vcc
	v_lshlrev_b16_e32 v60, 8, v57
	v_lshlrev_b16_e32 v64, 8, v56
	v_or_b32_sdwa v57, v62, v60 dst_sel:DWORD dst_unused:UNUSED_PAD src0_sel:BYTE_0 src1_sel:DWORD
	v_or_b32_sdwa v56, v63, v64 dst_sel:WORD_1 dst_unused:UNUSED_PAD src0_sel:BYTE_0 src1_sel:DWORD
	v_lshlrev_b16_e32 v50, 8, v50
	v_or_b32_sdwa v65, v57, v56 dst_sel:DWORD dst_unused:UNUSED_PAD src0_sel:WORD_0 src1_sel:DWORD
	global_load_dwordx2 v[56:57], v9, s[16:17]
	v_lshlrev_b16_e32 v10, 8, v10
	v_cmp_le_u32_e32 vcc, s2, v34
	s_or_b64 s[8:9], vcc, s[8:9]
	s_waitcnt vmcnt(0)
	v_xor_b32_e32 v9, v56, v61
	v_and_b32_e32 v56, 0xffffff00, v9
	v_sub_i16 v56, v56, v58 clamp
	v_lshlrev_b16_e32 v58, 8, v9
	v_and_b32_e32 v56, 0xffffff00, v56
	v_sub_i16 v50, v58, v50 clamp
	v_or_b32_sdwa v50, v50, v56 dst_sel:DWORD dst_unused:UNUSED_PAD src0_sel:BYTE_1 src1_sel:DWORD
	v_and_b32_sdwa v56, v9, s21 dst_sel:DWORD dst_unused:UNUSED_PAD src0_sel:WORD_1 src1_sel:DWORD
	v_sub_i16 v56, v56, v59 clamp
	v_lshlrev_b16_sdwa v9, v38, v9 dst_sel:DWORD dst_unused:UNUSED_PAD src0_sel:DWORD src1_sel:WORD_1
	v_and_b32_e32 v56, 0xffffff00, v56
	v_sub_i16 v9, v9, v10 clamp
	v_or_b32_sdwa v9, v9, v56 dst_sel:WORD_1 dst_unused:UNUSED_PAD src0_sel:BYTE_1 src1_sel:DWORD
	s_nop 0
	v_or_b32_sdwa v10, v50, v9 dst_sel:DWORD dst_unused:UNUSED_PAD src0_sel:WORD_0 src1_sel:DWORD
	v_xor_b32_e32 v9, v57, v65
	v_and_b32_e32 v50, 0xffffff00, v9
	v_sub_i16 v50, v50, v60 clamp
	v_lshlrev_b16_e32 v56, 8, v9
	v_lshlrev_b16_e32 v57, 8, v62
	v_and_b32_e32 v50, 0xffffff00, v50
	v_sub_i16 v56, v56, v57 clamp
	v_or_b32_sdwa v50, v56, v50 dst_sel:DWORD dst_unused:UNUSED_PAD src0_sel:BYTE_1 src1_sel:DWORD
	v_and_b32_sdwa v56, v9, s21 dst_sel:DWORD dst_unused:UNUSED_PAD src0_sel:WORD_1 src1_sel:DWORD
	v_sub_i16 v56, v56, v64 clamp
	v_lshlrev_b16_sdwa v9, v38, v9 dst_sel:DWORD dst_unused:UNUSED_PAD src0_sel:DWORD src1_sel:WORD_1
	v_lshlrev_b16_e32 v57, 8, v63
	v_and_b32_e32 v56, 0xffffff00, v56
	v_sub_i16 v9, v9, v57 clamp
	v_or_b32_sdwa v9, v9, v56 dst_sel:WORD_1 dst_unused:UNUSED_PAD src0_sel:BYTE_1 src1_sel:DWORD
	v_dot4c_i32_i8_e32 v8, v10, v11
	v_or_b32_sdwa v50, v50, v9 dst_sel:DWORD dst_unused:UNUSED_PAD src0_sel:WORD_0 src1_sel:DWORD
	v_dot4c_i32_i8_e32 v8, v50, v54
	global_load_ushort v9, v[30:31], off
	global_load_ubyte v54, v[28:29], off offset:74
	global_load_ubyte v56, v[32:33], off offset:74
	s_waitcnt vmcnt(2)
	v_cvt_f32_f16_e32 v9, v9
	s_waitcnt vmcnt(1)
	v_and_b32_e32 v30, 15, v54
	s_waitcnt vmcnt(0)
	v_lshrrev_b32_e32 v11, 4, v56
	v_lshrrev_b32_e32 v28, 4, v54
	v_mul_lo_u32 v31, v51, v30
	v_add_u32_e32 v51, v52, v51
	v_mul_lo_u32 v33, v52, v28
	v_mul_lo_u32 v54, v8, v11
	v_add_u32_e32 v8, v8, v55
	v_lshrrev_b32_e32 v52, 31, v51
	v_add_u32_e32 v51, v51, v52
	v_lshrrev_b32_e32 v52, 31, v8
	v_and_b32_e32 v29, 15, v56
	v_ashrrev_i32_e32 v51, 1, v51
	v_add_u32_e32 v8, v8, v52
	v_mul_lo_u32 v32, v55, v29
	v_ashrrev_i32_e32 v8, 1, v8
	v_add3_u32 v31, v33, v31, v51
	v_add3_u32 v8, v54, v32, v8
	v_ashrrev_i32_e32 v32, 31, v31
	v_lshrrev_b32_e32 v32, 30, v32
	v_add_u32_e32 v31, v31, v32
	v_ashrrev_i32_e32 v32, 31, v8
	v_lshrrev_b32_e32 v32, 30, v32
	v_add_u32_e32 v8, v8, v32
	v_ashrrev_i32_e32 v31, 2, v31
	v_ashrrev_i32_e32 v51, 2, v8
	v_cvt_f32_f16_e32 v8, v53
	v_cvt_f32_i32_e32 v53, v51
	v_cvt_f32_i32_e32 v52, v31
	v_mov_b32_e32 v51, 0
	v_pk_mul_f32 v[32:33], v[12:13], v[8:9] op_sel_hi:[0,1]
	v_pk_fma_f32 v[0:1], v[32:33], v[52:53], v[0:1]
	v_mad_u64_u32 v[32:33], s[16:17], v35, 36, s[24:25]
	v_mad_u64_u32 v[32:33], s[16:17], v18, 36, v[32:33]
	global_load_dword v31, v[32:33], off offset:32
	global_load_dwordx4 v[52:55], v[32:33], off offset:16
	global_load_dwordx4 v[56:59], v[32:33], off
	v_mov_b32_e32 v32, 0
	v_mov_b32_e32 v33, 0
	v_add_u32_e32 v35, 0x80, v35
	s_waitcnt vmcnt(1)
	v_dot4c_i32_i8_e32 v33, v43, v53
	s_waitcnt vmcnt(0)
	v_dot4c_i32_i8_e32 v32, v39, v57
	v_dot4c_i32_i8_e32 v51, v47, v57
	;; [unrolled: 1-line block ×8, first 2 shown]
	v_mov_b32_e32 v52, 0
	v_dot4c_i32_i8_e32 v33, v44, v54
	v_dot4c_i32_i8_e32 v52, v15, v53
	;; [unrolled: 1-line block ×7, first 2 shown]
	v_mul_lo_u32 v31, v32, v30
	v_add_u32_e32 v32, v33, v32
	v_mul_lo_u32 v54, v33, v28
	v_lshrrev_b32_e32 v33, 31, v32
	v_mul_lo_u32 v53, v51, v29
	v_add_u32_e32 v51, v52, v51
	v_add_u32_e32 v32, v32, v33
	v_ashrrev_i32_e32 v32, 1, v32
	v_lshrrev_b32_e32 v33, 31, v51
	v_add_u32_e32 v33, v51, v33
	v_add3_u32 v31, v54, v31, v32
	v_mul_lo_u32 v55, v52, v11
	v_ashrrev_i32_e32 v33, 1, v33
	v_ashrrev_i32_e32 v32, 31, v31
	v_add3_u32 v33, v55, v53, v33
	v_lshrrev_b32_e32 v32, 30, v32
	v_add_u32_e32 v31, v31, v32
	v_ashrrev_i32_e32 v32, 31, v33
	v_lshrrev_b32_e32 v32, 30, v32
	v_add_u32_e32 v32, v33, v32
	v_cvt_f32_f16_e32 v12, v56
	v_ashrrev_i32_e32 v31, 2, v31
	v_ashrrev_i32_e32 v51, 2, v32
	v_cvt_f32_i32_e32 v53, v51
	v_cvt_f32_i32_e32 v52, v31
	v_pk_mul_f32 v[32:33], v[12:13], v[8:9] op_sel_hi:[0,1]
	v_mov_b32_e32 v51, 0
	v_pk_fma_f32 v[2:3], v[32:33], v[52:53], v[2:3]
	v_mad_u64_u32 v[32:33], s[16:17], v21, 36, s[24:25]
	v_mad_u64_u32 v[32:33], s[16:17], v18, 36, v[32:33]
	global_load_dword v31, v[32:33], off offset:32
	global_load_dwordx4 v[52:55], v[32:33], off offset:16
	global_load_dwordx4 v[56:59], v[32:33], off
	v_mov_b32_e32 v32, 0
	v_mov_b32_e32 v33, 0
	v_add_u32_e32 v21, 0x80, v21
	s_waitcnt vmcnt(1)
	v_dot4c_i32_i8_e32 v33, v43, v53
	s_waitcnt vmcnt(0)
	v_dot4c_i32_i8_e32 v32, v39, v57
	v_dot4c_i32_i8_e32 v51, v47, v57
	;; [unrolled: 1-line block ×8, first 2 shown]
	v_mov_b32_e32 v52, 0
	v_dot4c_i32_i8_e32 v33, v44, v54
	v_dot4c_i32_i8_e32 v52, v15, v53
	;; [unrolled: 1-line block ×7, first 2 shown]
	v_mul_lo_u32 v31, v32, v30
	v_add_u32_e32 v32, v33, v32
	v_mul_lo_u32 v54, v33, v28
	v_lshrrev_b32_e32 v33, 31, v32
	v_mul_lo_u32 v53, v51, v29
	v_add_u32_e32 v51, v52, v51
	v_add_u32_e32 v32, v32, v33
	v_ashrrev_i32_e32 v32, 1, v32
	v_lshrrev_b32_e32 v33, 31, v51
	v_add_u32_e32 v33, v51, v33
	v_add3_u32 v31, v54, v31, v32
	v_mul_lo_u32 v55, v52, v11
	v_ashrrev_i32_e32 v33, 1, v33
	v_ashrrev_i32_e32 v32, 31, v31
	v_add3_u32 v33, v55, v53, v33
	v_lshrrev_b32_e32 v32, 30, v32
	v_add_u32_e32 v31, v31, v32
	v_ashrrev_i32_e32 v32, 31, v33
	v_lshrrev_b32_e32 v32, 30, v32
	v_add_u32_e32 v32, v33, v32
	v_cvt_f32_f16_e32 v12, v56
	v_ashrrev_i32_e32 v31, 2, v31
	v_ashrrev_i32_e32 v51, 2, v32
	v_cvt_f32_i32_e32 v53, v51
	v_cvt_f32_i32_e32 v52, v31
	v_pk_mul_f32 v[32:33], v[12:13], v[8:9] op_sel_hi:[0,1]
	v_pk_fma_f32 v[4:5], v[32:33], v[52:53], v[4:5]
	v_mad_u64_u32 v[32:33], s[16:17], v20, 36, s[24:25]
	v_mad_u64_u32 v[32:33], s[16:17], v18, 36, v[32:33]
	global_load_dword v31, v[32:33], off offset:32
	global_load_dwordx4 v[52:55], v[32:33], off offset:16
	global_load_dwordx4 v[56:59], v[32:33], off
	v_mov_b32_e32 v32, 0
	v_mov_b32_e32 v33, 0
	v_add_u32_e32 v20, 0x80, v20
	s_waitcnt vmcnt(1)
	v_dot4c_i32_i8_e32 v33, v43, v53
	s_waitcnt vmcnt(0)
	v_dot4c_i32_i8_e32 v32, v39, v57
	v_mov_b32_e32 v39, 0
	v_dot4c_i32_i8_e32 v39, v47, v57
	v_dot4c_i32_i8_e32 v39, v48, v58
	;; [unrolled: 1-line block ×3, first 2 shown]
	v_mov_b32_e32 v13, 0
	v_dot4c_i32_i8_e32 v32, v40, v58
	v_dot4c_i32_i8_e32 v33, v44, v54
	;; [unrolled: 1-line block ×11, first 2 shown]
	v_mul_lo_u32 v15, v33, v28
	v_add_u32_e32 v28, v33, v32
	v_mul_lo_u32 v14, v39, v29
	v_mul_lo_u32 v11, v13, v11
	v_add_u32_e32 v13, v13, v39
	v_lshrrev_b32_e32 v29, 31, v28
	v_add_u32_e32 v28, v28, v29
	v_lshrrev_b32_e32 v29, 31, v13
	v_mul_lo_u32 v10, v32, v30
	v_ashrrev_i32_e32 v28, 1, v28
	v_add_u32_e32 v13, v13, v29
	v_ashrrev_i32_e32 v13, 1, v13
	v_add3_u32 v10, v15, v10, v28
	v_add3_u32 v11, v11, v14, v13
	v_ashrrev_i32_e32 v13, 31, v10
	v_lshrrev_b32_e32 v13, 30, v13
	v_add_u32_e32 v10, v10, v13
	v_ashrrev_i32_e32 v13, 31, v11
	v_lshrrev_b32_e32 v13, 30, v13
	v_add_u32_e32 v11, v11, v13
	v_cvt_f32_f16_e32 v12, v56
	v_ashrrev_i32_e32 v10, 2, v10
	v_ashrrev_i32_e32 v11, 2, v11
	v_cvt_f32_i32_e32 v11, v11
	v_cvt_f32_i32_e32 v10, v10
	v_pk_mul_f32 v[8:9], v[12:13], v[8:9] op_sel_hi:[0,1]
	v_pk_fma_f32 v[6:7], v[8:9], v[10:11], v[6:7]
	s_andn2_b64 exec, exec, s[8:9]
	s_cbranch_execnz .LBB187_2
; %bb.3:
	s_or_b64 exec, exec, s[8:9]
	scratch_store_dwordx4 off, v[0:3], off
	scratch_store_dwordx4 off, v[4:7], off offset:16
.LBB187_4:
	s_or_b64 exec, exec, s[6:7]
	v_cmp_eq_u32_e32 vcc, 0, v17
	v_cmp_ne_u32_e64 s[6:7], 0, v17
	v_lshlrev_b32_e32 v8, 2, v16
	s_and_saveexec_b64 s[8:9], s[6:7]
	s_cbranch_execz .LBB187_6
; %bb.5:
	v_lshlrev_b32_e32 v9, 11, v17
	s_movk_i32 s2, 0xf800
	v_add3_u32 v9, v9, v8, s2
	ds_write2st64_b32 v9, v0, v1 offset1:1
	ds_write2st64_b32 v9, v2, v3 offset0:2 offset1:3
	ds_write2st64_b32 v9, v4, v5 offset0:4 offset1:5
	;; [unrolled: 1-line block ×3, first 2 shown]
.LBB187_6:
	s_or_b64 exec, exec, s[8:9]
	s_waitcnt lgkmcnt(0)
	s_barrier
	s_and_saveexec_b64 s[6:7], vcc
	s_cbranch_execz .LBB187_15
; %bb.7:
	scratch_load_dwordx2 v[2:3], off, off
	v_mbcnt_lo_u32_b32 v0, -1, 0
	ds_read2st64_b32 v[4:5], v8 offset1:1
	v_mbcnt_hi_u32_b32 v9, -1, v0
	v_and_b32_e32 v0, 64, v9
	v_xor_b32_e32 v1, 32, v9
	v_add_u32_e32 v12, 64, v0
	v_cmp_lt_i32_e32 vcc, v1, v12
	v_xor_b32_e32 v6, 16, v9
	v_xor_b32_e32 v10, 8, v9
	v_cndmask_b32_e32 v0, v9, v1, vcc
	v_lshlrev_b32_e32 v0, 2, v0
	v_cmp_lt_i32_e32 vcc, v6, v12
	v_xor_b32_e32 v11, 4, v9
	v_xor_b32_e32 v13, 2, v9
	v_cndmask_b32_e32 v1, v9, v6, vcc
	v_lshlrev_b32_e32 v1, 2, v1
	v_cmp_lt_i32_e32 vcc, v10, v12
	v_xor_b32_e32 v14, 1, v9
	s_load_dwordx2 s[0:1], s[0:1], 0x38
	s_mul_i32 s2, s3, s14
	s_mul_i32 s4, s4, s18
	s_add_i32 s2, s2, s5
	s_mov_b32 s3, 0
	s_add_i32 s2, s2, s4
	s_lshl_b64 s[2:3], s[2:3], 2
	s_waitcnt lgkmcnt(0)
	s_add_u32 s2, s0, s2
	s_addc_u32 s3, s1, s3
	s_waitcnt vmcnt(0)
	v_pk_add_f32 v[2:3], v[4:5], v[2:3]
	ds_bpermute_b32 v4, v0, v2
	ds_bpermute_b32 v5, v0, v3
	s_waitcnt lgkmcnt(0)
	v_pk_add_f32 v[4:5], v[2:3], v[4:5]
	ds_bpermute_b32 v6, v1, v4
	ds_bpermute_b32 v7, v1, v5
	v_cndmask_b32_e32 v2, v9, v10, vcc
	v_lshlrev_b32_e32 v2, 2, v2
	v_cmp_lt_i32_e32 vcc, v11, v12
	s_waitcnt lgkmcnt(0)
	v_pk_add_f32 v[4:5], v[4:5], v[6:7]
	ds_bpermute_b32 v6, v2, v4
	ds_bpermute_b32 v7, v2, v5
	v_cndmask_b32_e32 v3, v9, v11, vcc
	v_lshlrev_b32_e32 v3, 2, v3
	v_cmp_lt_i32_e32 vcc, v13, v12
	;; [unrolled: 7-line block ×3, first 2 shown]
	s_waitcnt lgkmcnt(0)
	v_pk_add_f32 v[6:7], v[6:7], v[10:11]
	ds_bpermute_b32 v10, v4, v6
	ds_bpermute_b32 v11, v4, v7
	v_cndmask_b32_e32 v5, v9, v14, vcc
	v_lshlrev_b32_e32 v5, 2, v5
	v_or_b32_e32 v9, s5, v16
	v_cmp_gt_u32_e32 vcc, 2, v16
	s_waitcnt lgkmcnt(0)
	v_pk_add_f32 v[6:7], v[6:7], v[10:11]
	ds_bpermute_b32 v10, v5, v6
	ds_bpermute_b32 v11, v5, v7
	v_cmp_gt_u32_e64 s[0:1], s10, v9
	s_and_b64 s[0:1], vcc, s[0:1]
	s_waitcnt lgkmcnt(0)
	v_pk_add_f32 v[6:7], v[6:7], v[10:11]
	scratch_store_dwordx2 off, v[6:7], off
	s_and_saveexec_b64 s[4:5], s[0:1]
	s_cbranch_execz .LBB187_9
; %bb.8:
	scratch_load_dword v6, v8, off
	s_waitcnt vmcnt(0)
	global_store_dword v8, v6, s[2:3]
.LBB187_9:
	s_or_b64 exec, exec, s[4:5]
	scratch_load_dwordx2 v[6:7], off, off offset:8
	ds_read2st64_b32 v[10:11], v8 offset0:2 offset1:3
	s_waitcnt vmcnt(0) lgkmcnt(0)
	v_pk_add_f32 v[6:7], v[10:11], v[6:7]
	ds_bpermute_b32 v10, v0, v6
	ds_bpermute_b32 v11, v0, v7
	s_waitcnt lgkmcnt(0)
	v_pk_add_f32 v[6:7], v[6:7], v[10:11]
	ds_bpermute_b32 v10, v1, v6
	ds_bpermute_b32 v11, v1, v7
	s_waitcnt lgkmcnt(0)
	;; [unrolled: 4-line block ×6, first 2 shown]
	v_pk_add_f32 v[6:7], v[6:7], v[10:11]
	scratch_store_dwordx2 off, v[6:7], off offset:8
	s_and_saveexec_b64 s[4:5], s[0:1]
	s_cbranch_execz .LBB187_11
; %bb.10:
	scratch_load_dword v9, v8, off offset:8
	v_add_u32_e32 v6, s10, v16
	v_mov_b32_e32 v7, 0
	v_lshl_add_u64 v[6:7], v[6:7], 2, s[2:3]
	s_waitcnt vmcnt(0)
	global_store_dword v[6:7], v9, off
.LBB187_11:
	s_or_b64 exec, exec, s[4:5]
	scratch_load_dwordx2 v[6:7], off, off offset:16
	ds_read2st64_b32 v[10:11], v8 offset0:4 offset1:5
	s_waitcnt vmcnt(0) lgkmcnt(0)
	v_pk_add_f32 v[6:7], v[10:11], v[6:7]
	ds_bpermute_b32 v10, v0, v6
	ds_bpermute_b32 v11, v0, v7
	s_waitcnt lgkmcnt(0)
	v_pk_add_f32 v[6:7], v[6:7], v[10:11]
	ds_bpermute_b32 v10, v1, v6
	ds_bpermute_b32 v11, v1, v7
	s_waitcnt lgkmcnt(0)
	;; [unrolled: 4-line block ×6, first 2 shown]
	v_pk_add_f32 v[6:7], v[6:7], v[10:11]
	scratch_store_dwordx2 off, v[6:7], off offset:16
	s_and_saveexec_b64 s[4:5], s[0:1]
	s_cbranch_execz .LBB187_13
; %bb.12:
	scratch_load_dword v9, v8, off offset:16
	v_lshl_or_b32 v6, s10, 1, v16
	v_mov_b32_e32 v7, 0
	v_lshl_add_u64 v[6:7], v[6:7], 2, s[2:3]
	s_waitcnt vmcnt(0)
	global_store_dword v[6:7], v9, off
.LBB187_13:
	s_or_b64 exec, exec, s[4:5]
	scratch_load_dwordx2 v[6:7], off, off offset:24
	ds_read2st64_b32 v[10:11], v8 offset0:6 offset1:7
	s_waitcnt vmcnt(0) lgkmcnt(0)
	v_pk_add_f32 v[6:7], v[10:11], v[6:7]
	ds_bpermute_b32 v10, v0, v6
	ds_bpermute_b32 v11, v0, v7
	s_waitcnt lgkmcnt(0)
	v_pk_add_f32 v[6:7], v[6:7], v[10:11]
	ds_bpermute_b32 v0, v1, v6
	ds_bpermute_b32 v1, v1, v7
	s_waitcnt lgkmcnt(0)
	;; [unrolled: 4-line block ×6, first 2 shown]
	v_pk_add_f32 v[0:1], v[0:1], v[2:3]
	scratch_store_dwordx2 off, v[0:1], off offset:24
	s_and_b64 exec, exec, s[0:1]
	s_cbranch_execz .LBB187_15
; %bb.14:
	scratch_load_dword v2, v8, off offset:24
	v_mad_u64_u32 v[0:1], s[0:1], s10, 3, v[16:17]
	v_mov_b32_e32 v1, 0
	v_lshl_add_u64 v[0:1], v[0:1], 2, s[2:3]
	s_waitcnt vmcnt(0)
	global_store_dword v[0:1], v2, off
.LBB187_15:
	s_endpgm
	.section	.rodata,"a",@progbits
	.p2align	6, 0x0
	.amdhsa_kernel _ZL13mul_mat_vec_qIL9ggml_type22ELi4ELb0ELb0EEvPKvS2_PKi31ggml_cuda_mm_fusion_args_devicePfj15HIP_vector_typeIjLj3EEjjjS8_jjjS8_jjjj
		.amdhsa_group_segment_fixed_size 2048
		.amdhsa_private_segment_fixed_size 48
		.amdhsa_kernarg_size 144
		.amdhsa_user_sgpr_count 2
		.amdhsa_user_sgpr_dispatch_ptr 0
		.amdhsa_user_sgpr_queue_ptr 0
		.amdhsa_user_sgpr_kernarg_segment_ptr 1
		.amdhsa_user_sgpr_dispatch_id 0
		.amdhsa_user_sgpr_kernarg_preload_length 0
		.amdhsa_user_sgpr_kernarg_preload_offset 0
		.amdhsa_user_sgpr_private_segment_size 0
		.amdhsa_uses_dynamic_stack 0
		.amdhsa_enable_private_segment 1
		.amdhsa_system_sgpr_workgroup_id_x 1
		.amdhsa_system_sgpr_workgroup_id_y 1
		.amdhsa_system_sgpr_workgroup_id_z 1
		.amdhsa_system_sgpr_workgroup_info 0
		.amdhsa_system_vgpr_workitem_id 1
		.amdhsa_next_free_vgpr 71
		.amdhsa_next_free_sgpr 30
		.amdhsa_accum_offset 72
		.amdhsa_reserve_vcc 1
		.amdhsa_float_round_mode_32 0
		.amdhsa_float_round_mode_16_64 0
		.amdhsa_float_denorm_mode_32 3
		.amdhsa_float_denorm_mode_16_64 3
		.amdhsa_dx10_clamp 1
		.amdhsa_ieee_mode 1
		.amdhsa_fp16_overflow 0
		.amdhsa_tg_split 0
		.amdhsa_exception_fp_ieee_invalid_op 0
		.amdhsa_exception_fp_denorm_src 0
		.amdhsa_exception_fp_ieee_div_zero 0
		.amdhsa_exception_fp_ieee_overflow 0
		.amdhsa_exception_fp_ieee_underflow 0
		.amdhsa_exception_fp_ieee_inexact 0
		.amdhsa_exception_int_div_zero 0
	.end_amdhsa_kernel
	.section	.text._ZL13mul_mat_vec_qIL9ggml_type22ELi4ELb0ELb0EEvPKvS2_PKi31ggml_cuda_mm_fusion_args_devicePfj15HIP_vector_typeIjLj3EEjjjS8_jjjS8_jjjj,"axG",@progbits,_ZL13mul_mat_vec_qIL9ggml_type22ELi4ELb0ELb0EEvPKvS2_PKi31ggml_cuda_mm_fusion_args_devicePfj15HIP_vector_typeIjLj3EEjjjS8_jjjS8_jjjj,comdat
.Lfunc_end187:
	.size	_ZL13mul_mat_vec_qIL9ggml_type22ELi4ELb0ELb0EEvPKvS2_PKi31ggml_cuda_mm_fusion_args_devicePfj15HIP_vector_typeIjLj3EEjjjS8_jjjS8_jjjj, .Lfunc_end187-_ZL13mul_mat_vec_qIL9ggml_type22ELi4ELb0ELb0EEvPKvS2_PKi31ggml_cuda_mm_fusion_args_devicePfj15HIP_vector_typeIjLj3EEjjjS8_jjjS8_jjjj
                                        ; -- End function
	.section	.AMDGPU.csdata,"",@progbits
; Kernel info:
; codeLenInByte = 6612
; NumSgprs: 36
; NumVgprs: 71
; NumAgprs: 0
; TotalNumVgprs: 71
; ScratchSize: 48
; MemoryBound: 0
; FloatMode: 240
; IeeeMode: 1
; LDSByteSize: 2048 bytes/workgroup (compile time only)
; SGPRBlocks: 4
; VGPRBlocks: 8
; NumSGPRsForWavesPerEU: 36
; NumVGPRsForWavesPerEU: 71
; AccumOffset: 72
; Occupancy: 7
; WaveLimiterHint : 0
; COMPUTE_PGM_RSRC2:SCRATCH_EN: 1
; COMPUTE_PGM_RSRC2:USER_SGPR: 2
; COMPUTE_PGM_RSRC2:TRAP_HANDLER: 0
; COMPUTE_PGM_RSRC2:TGID_X_EN: 1
; COMPUTE_PGM_RSRC2:TGID_Y_EN: 1
; COMPUTE_PGM_RSRC2:TGID_Z_EN: 1
; COMPUTE_PGM_RSRC2:TIDIG_COMP_CNT: 1
; COMPUTE_PGM_RSRC3_GFX90A:ACCUM_OFFSET: 17
; COMPUTE_PGM_RSRC3_GFX90A:TG_SPLIT: 0
	.section	.text._ZL13mul_mat_vec_qIL9ggml_type22ELi5ELb0ELb0EEvPKvS2_PKi31ggml_cuda_mm_fusion_args_devicePfj15HIP_vector_typeIjLj3EEjjjS8_jjjS8_jjjj,"axG",@progbits,_ZL13mul_mat_vec_qIL9ggml_type22ELi5ELb0ELb0EEvPKvS2_PKi31ggml_cuda_mm_fusion_args_devicePfj15HIP_vector_typeIjLj3EEjjjS8_jjjS8_jjjj,comdat
	.globl	_ZL13mul_mat_vec_qIL9ggml_type22ELi5ELb0ELb0EEvPKvS2_PKi31ggml_cuda_mm_fusion_args_devicePfj15HIP_vector_typeIjLj3EEjjjS8_jjjS8_jjjj ; -- Begin function _ZL13mul_mat_vec_qIL9ggml_type22ELi5ELb0ELb0EEvPKvS2_PKi31ggml_cuda_mm_fusion_args_devicePfj15HIP_vector_typeIjLj3EEjjjS8_jjjS8_jjjj
	.p2align	8
	.type	_ZL13mul_mat_vec_qIL9ggml_type22ELi5ELb0ELb0EEvPKvS2_PKi31ggml_cuda_mm_fusion_args_devicePfj15HIP_vector_typeIjLj3EEjjjS8_jjjS8_jjjj,@function
_ZL13mul_mat_vec_qIL9ggml_type22ELi5ELb0ELb0EEvPKvS2_PKi31ggml_cuda_mm_fusion_args_devicePfj15HIP_vector_typeIjLj3EEjjjS8_jjjS8_jjjj: ; @_ZL13mul_mat_vec_qIL9ggml_type22ELi5ELb0ELb0EEvPKvS2_PKi31ggml_cuda_mm_fusion_args_devicePfj15HIP_vector_typeIjLj3EEjjjS8_jjjS8_jjjj
; %bb.0:
	v_bfe_u32 v17, v0, 10, 10
	v_and_b32_e32 v16, 0x3ff, v0
	s_mov_b32 s20, 0
	s_load_dword s5, s[0:1], 0x40
	s_load_dwordx4 s[8:11], s[0:1], 0x50
	s_load_dword s27, s[0:1], 0x60
	s_load_dwordx4 s[12:15], s[0:1], 0x68
	;; [unrolled: 2-line block ×3, first 2 shown]
	v_lshl_or_b32 v4, v17, 6, v16
	s_mov_b32 s21, s20
	s_waitcnt lgkmcnt(0)
	s_lshr_b32 s5, s5, 8
	v_mov_b32_e32 v19, 0
	s_mov_b32 s22, s20
	s_mov_b32 s23, s20
	v_mov_b64_e32 v[0:1], s[20:21]
	v_lshrrev_b32_e32 v34, 3, v4
	s_lshl_b32 s2, s2, 1
	v_mov_b32_e32 v18, v19
	v_mov_b64_e32 v[2:3], s[22:23]
	v_cmp_gt_u32_e32 vcc, s5, v34
	scratch_store_dwordx2 off, v[18:19], off offset:32
	scratch_store_dwordx4 off, v[0:3], off offset:16
	scratch_store_dwordx4 off, v[0:3], off
	s_and_saveexec_b64 s[6:7], vcc
	s_cbranch_execz .LBB188_4
; %bb.1:
	s_load_dwordx4 s[20:23], s[0:1], 0x0
	s_mul_i32 s17, s4, s17
	s_mul_i32 s24, s17, 36
	s_mul_i32 s13, s3, s13
	s_mul_hi_u32 s19, s17, 36
	s_waitcnt lgkmcnt(0)
	s_add_u32 s24, s22, s24
	s_addc_u32 s19, s23, s19
	s_mul_i32 s28, s13, 36
	s_mul_hi_u32 s29, s13, 36
	s_add_u32 s24, s24, s28
	s_mul_hi_u32 s11, s11, s3
	s_addc_u32 s25, s19, s29
	s_add_i32 s11, s3, s11
	s_lshr_b32 s11, s11, s27
	s_mul_i32 s11, s11, s12
	s_mul_hi_u32 s12, s15, s4
	s_add_i32 s12, s4, s12
	s_lshr_b32 s12, s12, s26
	s_mul_i32 s12, s12, s16
	s_mul_i32 s13, s2, s8
	s_add_i32 s12, s12, s11
	s_add_i32 s11, s12, s13
	;; [unrolled: 1-line block ×3, first 2 shown]
	s_mul_i32 s8, s8, s13
	v_lshl_add_u32 v1, v17, 6, v16
	s_add_i32 s8, s12, s8
	v_lshrrev_b32_e32 v1, 3, v1
	s_movk_i32 s12, 0x120
	v_mov_b64_e32 v[2:3], s[28:29]
	v_mad_u64_u32 v[2:3], s[12:13], v1, s12, v[2:3]
	v_and_b32_e32 v18, 7, v16
	v_mad_u64_u32 v[2:3], s[12:13], s17, 36, v[2:3]
	v_mad_u64_u32 v[2:3], s[12:13], v18, 36, v[2:3]
	v_lshlrev_b32_e32 v0, 1, v18
	v_lshl_add_u64 v[2:3], v[2:3], 0, s[22:23]
	v_lshlrev_b32_e32 v35, 3, v34
	s_lshl_b32 s15, s9, 2
	s_mul_i32 s19, s9, 3
	s_lshl_b32 s26, s9, 1
	v_lshl_add_u64 v[20:21], v[2:3], 0, 16
	s_mov_b64 s[12:13], 0
	s_movk_i32 s22, 0x52
	v_mov_b64_e32 v[22:23], s[20:21]
	v_lshlrev_b32_e32 v24, 1, v0
	v_mov_b32_e32 v25, v19
	s_movk_i32 s23, 0x300
	s_movk_i32 s27, 0xff00
	s_mov_b64 s[16:17], 0x900
	v_mov_b32_e32 v36, 5
	v_mov_b32_e32 v37, 1
	;; [unrolled: 1-line block ×13, first 2 shown]
.LBB188_2:                              ; =>This Inner Loop Header: Depth=1
	v_add_u32_e32 v28, s11, v34
	v_mad_i64_i32 v[30:31], s[20:21], v28, s22, v[22:23]
	v_lshl_add_u64 v[32:33], v[30:31], 0, v[24:25]
	global_load_dword v54, v[20:21], off offset:16
	global_load_dwordx4 v[8:11], v[20:21], off
	global_load_dwordx4 v[12:15], v[20:21], off offset:-16
	global_load_dword v43, v[32:33], off offset:2
	v_lshl_add_u64 v[28:29], v[30:31], 0, v[18:19]
	global_load_ubyte v46, v[28:29], off offset:66
	global_load_dword v47, v[32:33], off offset:34
	s_getpc_b64 s[20:21]
	s_add_u32 s20, s20, _ZL9iq2s_grid@rel32@lo+4
	s_addc_u32 s21, s21, _ZL9iq2s_grid@rel32@hi+12
	v_lshl_add_u64 v[20:21], v[20:21], 0, s[16:17]
	s_waitcnt vmcnt(3)
	v_cvt_f32_f16_e32 v12, v12
	s_waitcnt vmcnt(2)
	v_and_b32_e32 v32, 0xff, v43
	s_waitcnt vmcnt(1)
	v_lshlrev_b32_e32 v33, 8, v46
	v_and_or_b32 v32, v33, s23, v32
	s_waitcnt vmcnt(0)
	v_lshlrev_b32_sdwa v33, v36, v47 dst_sel:DWORD dst_unused:UNUSED_PAD src0_sel:DWORD src1_sel:BYTE_0
	v_lshrrev_b16_e32 v33, 7, v33
	v_bfe_i32 v42, v33, 0, 1
	v_bfe_u32 v33, v47, 3, 1
	v_bfe_u32 v40, v47, 1, 7
	v_cmp_ne_u16_e32 vcc, 0, v33
	v_and_b32_e32 v39, 1, v47
	v_bfe_i32 v40, v40, 0, 1
	v_cndmask_b32_e64 v33, 0, -1, vcc
	v_sub_u16_e32 v39, 0, v39
	v_lshlrev_b16_e32 v40, 8, v40
	v_lshlrev_b16_e32 v50, 8, v33
	v_or_b32_sdwa v44, v39, v40 dst_sel:DWORD dst_unused:UNUSED_PAD src0_sel:BYTE_0 src1_sel:DWORD
	v_or_b32_sdwa v33, v42, v50 dst_sel:WORD_1 dst_unused:UNUSED_PAD src0_sel:BYTE_0 src1_sel:DWORD
	v_bfe_u32 v52, v47, 5, 3
	v_or_b32_sdwa v44, v44, v33 dst_sel:DWORD dst_unused:UNUSED_PAD src0_sel:WORD_0 src1_sel:DWORD
	v_lshlrev_b32_sdwa v33, v37, v47 dst_sel:DWORD dst_unused:UNUSED_PAD src0_sel:DWORD src1_sel:BYTE_0
	v_lshrrev_b16_e32 v33, 7, v33
	v_bfe_i32 v53, v33, 0, 1
	v_bfe_u32 v33, v47, 7, 1
	v_cmp_ne_u16_e32 vcc, 0, v33
	v_bfe_i32 v52, v52, 0, 1
	v_bfe_i32 v51, v47, 4, 1
	v_cndmask_b32_e64 v33, 0, -1, vcc
	v_lshlrev_b16_e32 v52, 8, v52
	v_lshlrev_b16_e32 v56, 8, v33
	v_lshlrev_b32_e32 v32, 3, v32
	v_or_b32_sdwa v55, v51, v52 dst_sel:DWORD dst_unused:UNUSED_PAD src0_sel:BYTE_0 src1_sel:DWORD
	v_or_b32_sdwa v33, v53, v56 dst_sel:WORD_1 dst_unused:UNUSED_PAD src0_sel:BYTE_0 src1_sel:DWORD
	v_lshlrev_b16_e32 v39, 8, v39
	v_or_b32_sdwa v55, v55, v33 dst_sel:DWORD dst_unused:UNUSED_PAD src0_sel:WORD_0 src1_sel:DWORD
	global_load_dwordx2 v[32:33], v32, s[20:21]
	v_lshlrev_b16_e32 v42, 8, v42
	v_lshrrev_b16_e32 v41, 8, v43
	v_lshrrev_b32_e32 v48, 16, v47
	v_lshrrev_b32_e32 v45, 24, v43
	;; [unrolled: 1-line block ×3, first 2 shown]
	s_waitcnt vmcnt(0)
	v_xor_b32_e32 v32, v32, v44
	v_and_b32_e32 v44, 0xffffff00, v32
	v_sub_i16 v40, v44, v40 clamp
	v_lshlrev_b16_e32 v44, 8, v32
	v_and_b32_e32 v40, 0xffffff00, v40
	v_sub_i16 v39, v44, v39 clamp
	v_or_b32_sdwa v39, v39, v40 dst_sel:DWORD dst_unused:UNUSED_PAD src0_sel:BYTE_1 src1_sel:DWORD
	v_and_b32_sdwa v40, v32, s27 dst_sel:DWORD dst_unused:UNUSED_PAD src0_sel:WORD_1 src1_sel:DWORD
	v_sub_i16 v40, v40, v50 clamp
	v_lshlrev_b16_sdwa v32, v38, v32 dst_sel:DWORD dst_unused:UNUSED_PAD src0_sel:DWORD src1_sel:WORD_1
	v_and_b32_e32 v40, 0xffffff00, v40
	v_sub_i16 v32, v32, v42 clamp
	v_or_b32_sdwa v32, v32, v40 dst_sel:WORD_1 dst_unused:UNUSED_PAD src0_sel:BYTE_1 src1_sel:DWORD
	v_lshlrev_b16_e32 v42, 8, v51
	v_or_b32_sdwa v39, v39, v32 dst_sel:DWORD dst_unused:UNUSED_PAD src0_sel:WORD_0 src1_sel:DWORD
	v_xor_b32_e32 v32, v33, v55
	v_and_b32_e32 v33, 0xffffff00, v32
	v_sub_i16 v33, v33, v52 clamp
	v_lshlrev_b16_e32 v40, 8, v32
	v_and_b32_e32 v33, 0xffffff00, v33
	v_sub_i16 v40, v40, v42 clamp
	v_or_b32_sdwa v33, v40, v33 dst_sel:DWORD dst_unused:UNUSED_PAD src0_sel:BYTE_1 src1_sel:DWORD
	v_and_b32_sdwa v40, v32, s27 dst_sel:DWORD dst_unused:UNUSED_PAD src0_sel:WORD_1 src1_sel:DWORD
	v_sub_i16 v40, v40, v56 clamp
	v_lshlrev_b16_sdwa v32, v38, v32 dst_sel:DWORD dst_unused:UNUSED_PAD src0_sel:DWORD src1_sel:WORD_1
	v_lshlrev_b16_e32 v42, 8, v53
	v_and_b32_e32 v40, 0xffffff00, v40
	v_sub_i16 v32, v32, v42 clamp
	v_or_b32_sdwa v32, v32, v40 dst_sel:WORD_1 dst_unused:UNUSED_PAD src0_sel:BYTE_1 src1_sel:DWORD
	v_lshlrev_b16_e32 v42, 7, v47
	v_or_b32_sdwa v40, v33, v32 dst_sel:DWORD dst_unused:UNUSED_PAD src0_sel:WORD_0 src1_sel:DWORD
	v_lshrrev_b16_e32 v33, 8, v47
	v_lshlrev_b32_e32 v32, 6, v46
	v_bfe_u32 v50, v33, 3, 1
	v_and_or_b32 v32, v32, s23, v41
	v_lshlrev_b32_e32 v41, 5, v33
	v_lshrrev_b32_e32 v44, 1, v33
	v_cmp_ne_u16_e32 vcc, 0, v50
	v_bfe_i32 v44, v44, 0, 1
	v_lshrrev_b16_e32 v41, 7, v41
	v_cndmask_b32_e64 v50, 0, -1, vcc
	v_ashrrev_i16_e32 v42, 15, v42
	v_bfe_i32 v41, v41, 0, 1
	v_lshlrev_b16_e32 v44, 8, v44
	v_lshlrev_b16_e32 v50, 8, v50
	v_or_b32_sdwa v52, v42, v44 dst_sel:DWORD dst_unused:UNUSED_PAD src0_sel:BYTE_0 src1_sel:DWORD
	v_or_b32_sdwa v53, v41, v50 dst_sel:WORD_1 dst_unused:UNUSED_PAD src0_sel:BYTE_0 src1_sel:DWORD
	v_bfe_i32 v55, v33, 4, 1
	v_or_b32_sdwa v52, v52, v53 dst_sel:DWORD dst_unused:UNUSED_PAD src0_sel:WORD_0 src1_sel:DWORD
	v_lshlrev_b32_e32 v53, 1, v33
	v_lshrrev_b32_e32 v56, 5, v33
	v_lshrrev_b32_e32 v33, 7, v33
	v_cmp_ne_u16_e32 vcc, 0, v33
	v_bfe_i32 v56, v56, 0, 1
	v_lshrrev_b16_e32 v53, 7, v53
	v_cndmask_b32_e64 v33, 0, -1, vcc
	v_bfe_i32 v53, v53, 0, 1
	v_lshlrev_b16_e32 v56, 8, v56
	v_lshlrev_b16_e32 v58, 8, v33
	v_lshlrev_b32_e32 v32, 3, v32
	v_or_b32_sdwa v57, v55, v56 dst_sel:DWORD dst_unused:UNUSED_PAD src0_sel:BYTE_0 src1_sel:DWORD
	v_or_b32_sdwa v33, v53, v58 dst_sel:WORD_1 dst_unused:UNUSED_PAD src0_sel:BYTE_0 src1_sel:DWORD
	v_lshlrev_b16_e32 v42, 8, v42
	v_or_b32_sdwa v57, v57, v33 dst_sel:DWORD dst_unused:UNUSED_PAD src0_sel:WORD_0 src1_sel:DWORD
	global_load_dwordx2 v[32:33], v32, s[20:21]
	v_lshlrev_b16_e32 v41, 8, v41
	v_mov_b32_e32 v51, 0
	v_dot4c_i32_i8_e32 v51, v39, v13
	v_dot4c_i32_i8_e32 v51, v40, v14
	s_waitcnt vmcnt(0)
	v_xor_b32_e32 v32, v32, v52
	v_and_b32_e32 v52, 0xffffff00, v32
	v_sub_i16 v44, v52, v44 clamp
	v_lshlrev_b16_e32 v52, 8, v32
	v_and_b32_e32 v44, 0xffffff00, v44
	v_sub_i16 v42, v52, v42 clamp
	v_or_b32_sdwa v42, v42, v44 dst_sel:DWORD dst_unused:UNUSED_PAD src0_sel:BYTE_1 src1_sel:DWORD
	v_and_b32_sdwa v44, v32, s27 dst_sel:DWORD dst_unused:UNUSED_PAD src0_sel:WORD_1 src1_sel:DWORD
	v_sub_i16 v44, v44, v50 clamp
	v_lshlrev_b16_sdwa v32, v38, v32 dst_sel:DWORD dst_unused:UNUSED_PAD src0_sel:DWORD src1_sel:WORD_1
	v_and_b32_e32 v44, 0xffffff00, v44
	v_sub_i16 v32, v32, v41 clamp
	v_or_b32_sdwa v32, v32, v44 dst_sel:WORD_1 dst_unused:UNUSED_PAD src0_sel:BYTE_1 src1_sel:DWORD
	v_lshlrev_b16_e32 v44, 8, v55
	v_or_b32_sdwa v41, v42, v32 dst_sel:DWORD dst_unused:UNUSED_PAD src0_sel:WORD_0 src1_sel:DWORD
	v_xor_b32_e32 v32, v33, v57
	v_and_b32_e32 v33, 0xffffff00, v32
	v_sub_i16 v33, v33, v56 clamp
	v_lshlrev_b16_e32 v42, 8, v32
	v_and_b32_e32 v33, 0xffffff00, v33
	v_sub_i16 v42, v42, v44 clamp
	v_or_b32_sdwa v33, v42, v33 dst_sel:DWORD dst_unused:UNUSED_PAD src0_sel:BYTE_1 src1_sel:DWORD
	v_and_b32_sdwa v42, v32, s27 dst_sel:DWORD dst_unused:UNUSED_PAD src0_sel:WORD_1 src1_sel:DWORD
	v_sub_i16 v42, v42, v58 clamp
	v_lshlrev_b16_sdwa v32, v38, v32 dst_sel:DWORD dst_unused:UNUSED_PAD src0_sel:DWORD src1_sel:WORD_1
	v_lshlrev_b16_e32 v44, 8, v53
	v_and_b32_e32 v42, 0xffffff00, v42
	v_sub_i16 v32, v32, v44 clamp
	v_or_b32_sdwa v32, v32, v42 dst_sel:WORD_1 dst_unused:UNUSED_PAD src0_sel:BYTE_1 src1_sel:DWORD
	v_bfe_u32 v44, v48, 1, 7
	v_or_b32_sdwa v42, v33, v32 dst_sel:DWORD dst_unused:UNUSED_PAD src0_sel:WORD_0 src1_sel:DWORD
	v_bfe_u32 v32, v43, 16, 8
	v_lshlrev_b32_e32 v33, 4, v46
	v_and_or_b32 v32, v33, s23, v32
	v_lshlrev_b32_sdwa v33, v36, v47 dst_sel:DWORD dst_unused:UNUSED_PAD src0_sel:DWORD src1_sel:BYTE_2
	v_lshrrev_b16_e32 v33, 7, v33
	v_bfe_i32 v50, v33, 0, 1
	v_bfe_u32 v33, v47, 19, 1
	v_cmp_ne_u16_e32 vcc, 0, v33
	v_and_b32_e32 v43, 1, v48
	v_bfe_i32 v44, v44, 0, 1
	v_cndmask_b32_e64 v33, 0, -1, vcc
	v_sub_u16_e32 v43, 0, v43
	v_lshlrev_b16_e32 v44, 8, v44
	v_lshlrev_b16_e32 v53, 8, v33
	v_or_b32_sdwa v52, v43, v44 dst_sel:DWORD dst_unused:UNUSED_PAD src0_sel:BYTE_0 src1_sel:DWORD
	v_or_b32_sdwa v33, v50, v53 dst_sel:WORD_1 dst_unused:UNUSED_PAD src0_sel:BYTE_0 src1_sel:DWORD
	v_bfe_u32 v56, v48, 5, 3
	v_or_b32_sdwa v52, v52, v33 dst_sel:DWORD dst_unused:UNUSED_PAD src0_sel:WORD_0 src1_sel:DWORD
	v_lshlrev_b32_sdwa v33, v37, v47 dst_sel:DWORD dst_unused:UNUSED_PAD src0_sel:DWORD src1_sel:BYTE_2
	v_lshrrev_b16_e32 v33, 7, v33
	v_bfe_i32 v57, v33, 0, 1
	v_bfe_u32 v33, v48, 7, 1
	v_cmp_ne_u16_e32 vcc, 0, v33
	v_bfe_i32 v56, v56, 0, 1
	v_bfe_i32 v55, v47, 20, 1
	v_cndmask_b32_e64 v33, 0, -1, vcc
	v_lshlrev_b16_e32 v56, 8, v56
	v_lshlrev_b16_e32 v59, 8, v33
	v_lshlrev_b32_e32 v32, 3, v32
	v_or_b32_sdwa v58, v55, v56 dst_sel:DWORD dst_unused:UNUSED_PAD src0_sel:BYTE_0 src1_sel:DWORD
	v_or_b32_sdwa v33, v57, v59 dst_sel:WORD_1 dst_unused:UNUSED_PAD src0_sel:BYTE_0 src1_sel:DWORD
	v_lshlrev_b16_e32 v43, 8, v43
	v_or_b32_sdwa v58, v58, v33 dst_sel:DWORD dst_unused:UNUSED_PAD src0_sel:WORD_0 src1_sel:DWORD
	global_load_dwordx2 v[32:33], v32, s[20:21]
	v_lshlrev_b16_e32 v50, 8, v50
	v_dot4c_i32_i8_e32 v51, v41, v15
	v_dot4c_i32_i8_e32 v51, v42, v8
	s_waitcnt vmcnt(0)
	v_xor_b32_e32 v32, v32, v52
	v_and_b32_e32 v52, 0xffffff00, v32
	v_sub_i16 v44, v52, v44 clamp
	v_lshlrev_b16_e32 v52, 8, v32
	v_and_b32_e32 v44, 0xffffff00, v44
	v_sub_i16 v43, v52, v43 clamp
	v_or_b32_sdwa v43, v43, v44 dst_sel:DWORD dst_unused:UNUSED_PAD src0_sel:BYTE_1 src1_sel:DWORD
	v_and_b32_sdwa v44, v32, s27 dst_sel:DWORD dst_unused:UNUSED_PAD src0_sel:WORD_1 src1_sel:DWORD
	v_sub_i16 v44, v44, v53 clamp
	v_lshlrev_b16_sdwa v32, v38, v32 dst_sel:DWORD dst_unused:UNUSED_PAD src0_sel:DWORD src1_sel:WORD_1
	v_and_b32_e32 v44, 0xffffff00, v44
	v_sub_i16 v32, v32, v50 clamp
	v_or_b32_sdwa v32, v32, v44 dst_sel:WORD_1 dst_unused:UNUSED_PAD src0_sel:BYTE_1 src1_sel:DWORD
	v_lshlrev_b16_e32 v50, 8, v55
	v_or_b32_sdwa v43, v43, v32 dst_sel:DWORD dst_unused:UNUSED_PAD src0_sel:WORD_0 src1_sel:DWORD
	v_xor_b32_e32 v32, v33, v58
	v_and_b32_e32 v33, 0xffffff00, v32
	v_sub_i16 v33, v33, v56 clamp
	v_lshlrev_b16_e32 v44, 8, v32
	v_and_b32_e32 v33, 0xffffff00, v33
	v_sub_i16 v44, v44, v50 clamp
	v_or_b32_sdwa v33, v44, v33 dst_sel:DWORD dst_unused:UNUSED_PAD src0_sel:BYTE_1 src1_sel:DWORD
	v_and_b32_sdwa v44, v32, s27 dst_sel:DWORD dst_unused:UNUSED_PAD src0_sel:WORD_1 src1_sel:DWORD
	v_sub_i16 v44, v44, v59 clamp
	v_lshlrev_b16_sdwa v32, v38, v32 dst_sel:DWORD dst_unused:UNUSED_PAD src0_sel:DWORD src1_sel:WORD_1
	v_lshlrev_b16_e32 v50, 8, v57
	v_and_b32_e32 v44, 0xffffff00, v44
	v_sub_i16 v32, v32, v50 clamp
	v_or_b32_sdwa v32, v32, v44 dst_sel:WORD_1 dst_unused:UNUSED_PAD src0_sel:BYTE_1 src1_sel:DWORD
	v_lshrrev_b32_e32 v55, 29, v47
	v_or_b32_sdwa v44, v33, v32 dst_sel:DWORD dst_unused:UNUSED_PAD src0_sel:WORD_0 src1_sel:DWORD
	v_lshlrev_b32_e32 v33, 5, v49
	v_lshlrev_b32_e32 v32, 2, v46
	v_lshrrev_b16_e32 v33, 7, v33
	v_and_or_b32 v32, v32, s23, v45
	v_lshlrev_b16_e32 v45, 7, v48
	v_bfe_i32 v48, v33, 0, 1
	v_bfe_u32 v33, v47, 27, 1
	v_lshrrev_b32_e32 v46, 25, v47
	v_cmp_ne_u16_e32 vcc, 0, v33
	v_bfe_i32 v46, v46, 0, 1
	v_ashrrev_i16_e32 v45, 15, v45
	v_cndmask_b32_e64 v33, 0, -1, vcc
	v_lshlrev_b16_e32 v46, 8, v46
	v_lshlrev_b16_e32 v53, 8, v33
	v_or_b32_sdwa v50, v45, v46 dst_sel:DWORD dst_unused:UNUSED_PAD src0_sel:BYTE_0 src1_sel:DWORD
	v_or_b32_sdwa v33, v48, v53 dst_sel:WORD_1 dst_unused:UNUSED_PAD src0_sel:BYTE_0 src1_sel:DWORD
	v_bfe_i32 v55, v55, 0, 1
	v_or_b32_sdwa v50, v50, v33 dst_sel:DWORD dst_unused:UNUSED_PAD src0_sel:WORD_0 src1_sel:DWORD
	v_lshlrev_b32_e32 v33, 1, v49
	v_lshrrev_b16_e32 v33, 7, v33
	v_bfe_i32 v56, v33, 0, 1
	v_lshrrev_b32_e32 v33, 31, v47
	v_cmp_ne_u16_e32 vcc, 0, v33
	v_bfe_i32 v49, v49, 4, 1
	v_lshlrev_b16_e32 v47, 8, v55
	v_cndmask_b32_e64 v33, 0, -1, vcc
	v_lshlrev_b16_e32 v57, 8, v33
	v_lshlrev_b32_e32 v32, 3, v32
	v_or_b32_sdwa v55, v49, v47 dst_sel:DWORD dst_unused:UNUSED_PAD src0_sel:BYTE_0 src1_sel:DWORD
	v_or_b32_sdwa v33, v56, v57 dst_sel:WORD_1 dst_unused:UNUSED_PAD src0_sel:BYTE_0 src1_sel:DWORD
	v_lshlrev_b16_e32 v45, 8, v45
	v_or_b32_sdwa v55, v55, v33 dst_sel:DWORD dst_unused:UNUSED_PAD src0_sel:WORD_0 src1_sel:DWORD
	global_load_dwordx2 v[32:33], v32, s[20:21]
	v_lshlrev_b16_e32 v48, 8, v48
	v_mov_b32_e32 v52, 0
	v_dot4c_i32_i8_e32 v52, v43, v9
	v_dot4c_i32_i8_e32 v52, v44, v10
	s_waitcnt vmcnt(0)
	v_xor_b32_e32 v32, v32, v50
	v_and_b32_e32 v50, 0xffffff00, v32
	v_sub_i16 v46, v50, v46 clamp
	v_lshlrev_b16_e32 v50, 8, v32
	v_and_b32_e32 v46, 0xffffff00, v46
	v_sub_i16 v45, v50, v45 clamp
	v_or_b32_sdwa v45, v45, v46 dst_sel:DWORD dst_unused:UNUSED_PAD src0_sel:BYTE_1 src1_sel:DWORD
	v_and_b32_sdwa v46, v32, s27 dst_sel:DWORD dst_unused:UNUSED_PAD src0_sel:WORD_1 src1_sel:DWORD
	v_sub_i16 v46, v46, v53 clamp
	v_lshlrev_b16_sdwa v32, v38, v32 dst_sel:DWORD dst_unused:UNUSED_PAD src0_sel:DWORD src1_sel:WORD_1
	v_and_b32_e32 v46, 0xffffff00, v46
	v_sub_i16 v32, v32, v48 clamp
	v_or_b32_sdwa v32, v32, v46 dst_sel:WORD_1 dst_unused:UNUSED_PAD src0_sel:BYTE_1 src1_sel:DWORD
	global_load_ushort v53, v[30:31], off
	v_or_b32_sdwa v45, v45, v32 dst_sel:DWORD dst_unused:UNUSED_PAD src0_sel:WORD_0 src1_sel:DWORD
	v_xor_b32_e32 v32, v33, v55
	v_and_b32_e32 v33, 0xffffff00, v32
	v_sub_i16 v33, v33, v47 clamp
	v_lshlrev_b16_e32 v46, 8, v32
	v_lshlrev_b16_e32 v47, 8, v49
	v_and_b32_e32 v33, 0xffffff00, v33
	v_sub_i16 v46, v46, v47 clamp
	v_or_b32_sdwa v33, v46, v33 dst_sel:DWORD dst_unused:UNUSED_PAD src0_sel:BYTE_1 src1_sel:DWORD
	v_and_b32_sdwa v46, v32, s27 dst_sel:DWORD dst_unused:UNUSED_PAD src0_sel:WORD_1 src1_sel:DWORD
	v_sub_i16 v46, v46, v57 clamp
	v_lshlrev_b16_sdwa v32, v38, v32 dst_sel:DWORD dst_unused:UNUSED_PAD src0_sel:DWORD src1_sel:WORD_1
	v_lshlrev_b16_e32 v47, 8, v56
	v_add_u32_e32 v30, s8, v34
	v_and_b32_e32 v46, 0xffffff00, v46
	v_sub_i16 v32, v32, v47 clamp
	v_mad_i64_i32 v[30:31], s[28:29], v30, s22, v[22:23]
	v_or_b32_sdwa v32, v32, v46 dst_sel:WORD_1 dst_unused:UNUSED_PAD src0_sel:BYTE_1 src1_sel:DWORD
	v_lshl_add_u64 v[48:49], v[30:31], 0, v[24:25]
	v_or_b32_sdwa v46, v33, v32 dst_sel:DWORD dst_unused:UNUSED_PAD src0_sel:WORD_0 src1_sel:DWORD
	global_load_dword v50, v[48:49], off offset:2
	v_lshl_add_u64 v[32:33], v[30:31], 0, v[18:19]
	global_load_ubyte v59, v[32:33], off offset:66
	global_load_dword v60, v[48:49], off offset:34
	v_dot4c_i32_i8_e32 v52, v45, v11
	v_dot4c_i32_i8_e32 v52, v46, v54
	v_add_u32_e32 v34, 8, v34
	s_waitcnt vmcnt(2)
	v_and_b32_e32 v47, 0xff, v50
	s_waitcnt vmcnt(1)
	v_lshlrev_b32_e32 v48, 8, v59
	v_and_or_b32 v47, v48, s23, v47
	s_waitcnt vmcnt(0)
	v_lshlrev_b32_sdwa v48, v36, v60 dst_sel:DWORD dst_unused:UNUSED_PAD src0_sel:DWORD src1_sel:BYTE_0
	v_lshrrev_b16_e32 v48, 7, v48
	v_and_b32_e32 v49, 1, v60
	v_bfe_i32 v57, v48, 0, 1
	v_bfe_u32 v48, v60, 3, 1
	v_sub_u16_e32 v55, 0, v49
	v_bfe_u32 v49, v60, 1, 7
	v_cmp_ne_u16_e32 vcc, 0, v48
	v_bfe_i32 v49, v49, 0, 1
	v_lshlrev_b16_e32 v63, 8, v49
	v_cndmask_b32_e64 v48, 0, -1, vcc
	v_lshlrev_b16_e32 v64, 8, v48
	v_or_b32_sdwa v49, v55, v63 dst_sel:DWORD dst_unused:UNUSED_PAD src0_sel:BYTE_0 src1_sel:DWORD
	v_or_b32_sdwa v48, v57, v64 dst_sel:WORD_1 dst_unused:UNUSED_PAD src0_sel:BYTE_0 src1_sel:DWORD
	v_bfe_i32 v66, v60, 4, 1
	v_or_b32_sdwa v65, v49, v48 dst_sel:DWORD dst_unused:UNUSED_PAD src0_sel:WORD_0 src1_sel:DWORD
	v_lshlrev_b32_sdwa v48, v37, v60 dst_sel:DWORD dst_unused:UNUSED_PAD src0_sel:DWORD src1_sel:BYTE_0
	v_lshrrev_b16_e32 v48, 7, v48
	v_bfe_i32 v67, v48, 0, 1
	v_bfe_u32 v48, v60, 7, 1
	v_bfe_u32 v49, v60, 5, 3
	v_cmp_ne_u16_e32 vcc, 0, v48
	v_bfe_i32 v49, v49, 0, 1
	v_lshlrev_b16_e32 v68, 8, v49
	v_cndmask_b32_e64 v48, 0, -1, vcc
	v_lshlrev_b16_e32 v69, 8, v48
	v_lshlrev_b32_e32 v47, 3, v47
	v_or_b32_sdwa v49, v66, v68 dst_sel:DWORD dst_unused:UNUSED_PAD src0_sel:BYTE_0 src1_sel:DWORD
	v_or_b32_sdwa v48, v67, v69 dst_sel:WORD_1 dst_unused:UNUSED_PAD src0_sel:BYTE_0 src1_sel:DWORD
	v_lshlrev_b16_e32 v55, 8, v55
	v_or_b32_sdwa v70, v49, v48 dst_sel:DWORD dst_unused:UNUSED_PAD src0_sel:WORD_0 src1_sel:DWORD
	global_load_dwordx2 v[48:49], v47, s[20:21]
	v_lshlrev_b16_e32 v57, 8, v57
	v_lshrrev_b16_e32 v56, 8, v50
	v_lshrrev_b32_e32 v61, 16, v60
	v_lshrrev_b32_e32 v58, 24, v50
	;; [unrolled: 1-line block ×3, first 2 shown]
	s_waitcnt vmcnt(0)
	v_xor_b32_e32 v47, v48, v65
	v_and_b32_e32 v48, 0xffffff00, v47
	v_sub_i16 v48, v48, v63 clamp
	v_lshlrev_b16_e32 v63, 8, v47
	v_and_b32_e32 v48, 0xffffff00, v48
	v_sub_i16 v55, v63, v55 clamp
	v_or_b32_sdwa v48, v55, v48 dst_sel:DWORD dst_unused:UNUSED_PAD src0_sel:BYTE_1 src1_sel:DWORD
	v_and_b32_sdwa v55, v47, s27 dst_sel:DWORD dst_unused:UNUSED_PAD src0_sel:WORD_1 src1_sel:DWORD
	v_sub_i16 v55, v55, v64 clamp
	v_lshlrev_b16_sdwa v47, v38, v47 dst_sel:DWORD dst_unused:UNUSED_PAD src0_sel:DWORD src1_sel:WORD_1
	v_and_b32_e32 v55, 0xffffff00, v55
	v_sub_i16 v47, v47, v57 clamp
	v_or_b32_sdwa v47, v47, v55 dst_sel:WORD_1 dst_unused:UNUSED_PAD src0_sel:BYTE_1 src1_sel:DWORD
	v_lshlrev_b16_e32 v57, 8, v66
	v_or_b32_sdwa v47, v48, v47 dst_sel:DWORD dst_unused:UNUSED_PAD src0_sel:WORD_0 src1_sel:DWORD
	v_xor_b32_e32 v48, v49, v70
	v_and_b32_e32 v49, 0xffffff00, v48
	v_sub_i16 v49, v49, v68 clamp
	v_lshlrev_b16_e32 v55, 8, v48
	v_and_b32_e32 v49, 0xffffff00, v49
	v_sub_i16 v55, v55, v57 clamp
	v_or_b32_sdwa v49, v55, v49 dst_sel:DWORD dst_unused:UNUSED_PAD src0_sel:BYTE_1 src1_sel:DWORD
	v_and_b32_sdwa v55, v48, s27 dst_sel:DWORD dst_unused:UNUSED_PAD src0_sel:WORD_1 src1_sel:DWORD
	v_sub_i16 v55, v55, v69 clamp
	v_lshlrev_b16_sdwa v48, v38, v48 dst_sel:DWORD dst_unused:UNUSED_PAD src0_sel:DWORD src1_sel:WORD_1
	v_lshlrev_b16_e32 v57, 8, v67
	v_and_b32_e32 v55, 0xffffff00, v55
	v_sub_i16 v48, v48, v57 clamp
	v_or_b32_sdwa v48, v48, v55 dst_sel:WORD_1 dst_unused:UNUSED_PAD src0_sel:BYTE_1 src1_sel:DWORD
	v_mov_b32_e32 v55, 0
	v_or_b32_sdwa v48, v49, v48 dst_sel:DWORD dst_unused:UNUSED_PAD src0_sel:WORD_0 src1_sel:DWORD
	v_dot4c_i32_i8_e32 v55, v47, v13
	v_dot4c_i32_i8_e32 v55, v48, v14
	v_lshlrev_b32_e32 v13, 6, v59
	v_lshrrev_b16_e32 v14, 8, v60
	v_and_or_b32 v13, v13, s23, v56
	v_lshlrev_b16_e32 v56, 7, v60
	v_bfe_u32 v57, v14, 3, 1
	v_lshlrev_b32_e32 v49, 5, v14
	v_ashrrev_i16_e32 v63, 15, v56
	v_lshrrev_b32_e32 v56, 1, v14
	v_cmp_ne_u16_e32 vcc, 0, v57
	v_bfe_i32 v56, v56, 0, 1
	v_lshrrev_b16_e32 v49, 7, v49
	v_cndmask_b32_e64 v57, 0, -1, vcc
	v_bfe_i32 v49, v49, 0, 1
	v_lshlrev_b16_e32 v64, 8, v56
	v_lshlrev_b16_e32 v65, 8, v57
	v_or_b32_sdwa v56, v63, v64 dst_sel:DWORD dst_unused:UNUSED_PAD src0_sel:BYTE_0 src1_sel:DWORD
	v_or_b32_sdwa v57, v49, v65 dst_sel:WORD_1 dst_unused:UNUSED_PAD src0_sel:BYTE_0 src1_sel:DWORD
	v_bfe_i32 v67, v14, 4, 1
	v_or_b32_sdwa v66, v56, v57 dst_sel:DWORD dst_unused:UNUSED_PAD src0_sel:WORD_0 src1_sel:DWORD
	v_lshlrev_b32_e32 v56, 1, v14
	v_lshrrev_b32_e32 v57, 5, v14
	v_lshrrev_b32_e32 v14, 7, v14
	v_cmp_ne_u16_e32 vcc, 0, v14
	v_bfe_i32 v57, v57, 0, 1
	v_lshrrev_b16_e32 v56, 7, v56
	v_cndmask_b32_e64 v14, 0, -1, vcc
	v_bfe_i32 v68, v56, 0, 1
	v_lshlrev_b16_e32 v69, 8, v57
	v_lshlrev_b16_e32 v14, 8, v14
	v_lshlrev_b32_e32 v13, 3, v13
	v_or_b32_sdwa v56, v67, v69 dst_sel:DWORD dst_unused:UNUSED_PAD src0_sel:BYTE_0 src1_sel:DWORD
	v_or_b32_sdwa v57, v68, v14 dst_sel:WORD_1 dst_unused:UNUSED_PAD src0_sel:BYTE_0 src1_sel:DWORD
	v_lshlrev_b16_e32 v63, 8, v63
	v_or_b32_sdwa v70, v56, v57 dst_sel:DWORD dst_unused:UNUSED_PAD src0_sel:WORD_0 src1_sel:DWORD
	global_load_dwordx2 v[56:57], v13, s[20:21]
	v_lshlrev_b16_e32 v49, 8, v49
	s_waitcnt vmcnt(0)
	v_xor_b32_e32 v13, v56, v66
	v_and_b32_e32 v56, 0xffffff00, v13
	v_sub_i16 v56, v56, v64 clamp
	v_lshlrev_b16_e32 v64, 8, v13
	v_and_b32_e32 v56, 0xffffff00, v56
	v_sub_i16 v63, v64, v63 clamp
	v_or_b32_sdwa v56, v63, v56 dst_sel:DWORD dst_unused:UNUSED_PAD src0_sel:BYTE_1 src1_sel:DWORD
	v_and_b32_sdwa v63, v13, s27 dst_sel:DWORD dst_unused:UNUSED_PAD src0_sel:WORD_1 src1_sel:DWORD
	v_sub_i16 v63, v63, v65 clamp
	v_lshlrev_b16_sdwa v13, v38, v13 dst_sel:DWORD dst_unused:UNUSED_PAD src0_sel:DWORD src1_sel:WORD_1
	v_and_b32_e32 v63, 0xffffff00, v63
	v_sub_i16 v13, v13, v49 clamp
	v_or_b32_sdwa v13, v13, v63 dst_sel:WORD_1 dst_unused:UNUSED_PAD src0_sel:BYTE_1 src1_sel:DWORD
	v_xor_b32_e32 v49, v57, v70
	v_or_b32_sdwa v13, v56, v13 dst_sel:DWORD dst_unused:UNUSED_PAD src0_sel:WORD_0 src1_sel:DWORD
	v_and_b32_e32 v56, 0xffffff00, v49
	v_sub_i16 v56, v56, v69 clamp
	v_lshlrev_b16_e32 v57, 8, v49
	v_lshlrev_b16_e32 v63, 8, v67
	v_and_b32_e32 v56, 0xffffff00, v56
	v_sub_i16 v57, v57, v63 clamp
	v_or_b32_sdwa v56, v57, v56 dst_sel:DWORD dst_unused:UNUSED_PAD src0_sel:BYTE_1 src1_sel:DWORD
	v_and_b32_sdwa v57, v49, s27 dst_sel:DWORD dst_unused:UNUSED_PAD src0_sel:WORD_1 src1_sel:DWORD
	v_sub_i16 v14, v57, v14 clamp
	v_lshlrev_b16_sdwa v49, v38, v49 dst_sel:DWORD dst_unused:UNUSED_PAD src0_sel:DWORD src1_sel:WORD_1
	v_lshlrev_b16_e32 v57, 8, v68
	v_and_b32_e32 v14, 0xffffff00, v14
	v_sub_i16 v49, v49, v57 clamp
	v_or_b32_sdwa v14, v49, v14 dst_sel:WORD_1 dst_unused:UNUSED_PAD src0_sel:BYTE_1 src1_sel:DWORD
	v_dot4c_i32_i8_e32 v55, v13, v15
	v_or_b32_sdwa v14, v56, v14 dst_sel:DWORD dst_unused:UNUSED_PAD src0_sel:WORD_0 src1_sel:DWORD
	v_dot4c_i32_i8_e32 v55, v14, v8
	v_bfe_u32 v8, v50, 16, 8
	v_lshlrev_b32_e32 v15, 4, v59
	v_bfe_u32 v56, v60, 19, 1
	v_and_or_b32 v8, v15, s23, v8
	v_lshlrev_b32_sdwa v15, v36, v60 dst_sel:DWORD dst_unused:UNUSED_PAD src0_sel:DWORD src1_sel:BYTE_2
	v_bfe_u32 v50, v61, 1, 7
	v_cmp_ne_u16_e32 vcc, 0, v56
	v_and_b32_e32 v49, 1, v61
	v_bfe_i32 v50, v50, 0, 1
	v_lshrrev_b16_e32 v15, 7, v15
	v_cndmask_b32_e64 v56, 0, -1, vcc
	v_sub_u16_e32 v49, 0, v49
	v_bfe_i32 v15, v15, 0, 1
	v_lshlrev_b16_e32 v50, 8, v50
	v_lshlrev_b16_e32 v63, 8, v56
	v_or_b32_sdwa v57, v49, v50 dst_sel:DWORD dst_unused:UNUSED_PAD src0_sel:BYTE_0 src1_sel:DWORD
	v_or_b32_sdwa v56, v15, v63 dst_sel:WORD_1 dst_unused:UNUSED_PAD src0_sel:BYTE_0 src1_sel:DWORD
	v_bfe_i32 v65, v60, 20, 1
	v_or_b32_sdwa v64, v57, v56 dst_sel:DWORD dst_unused:UNUSED_PAD src0_sel:WORD_0 src1_sel:DWORD
	v_lshlrev_b32_sdwa v56, v37, v60 dst_sel:DWORD dst_unused:UNUSED_PAD src0_sel:DWORD src1_sel:BYTE_2
	v_lshrrev_b16_e32 v56, 7, v56
	v_bfe_i32 v66, v56, 0, 1
	v_bfe_u32 v56, v61, 7, 1
	v_bfe_u32 v57, v61, 5, 3
	v_cmp_ne_u16_e32 vcc, 0, v56
	v_bfe_i32 v57, v57, 0, 1
	v_lshlrev_b16_e32 v67, 8, v57
	v_cndmask_b32_e64 v56, 0, -1, vcc
	v_lshlrev_b16_e32 v68, 8, v56
	v_lshlrev_b32_e32 v8, 3, v8
	v_or_b32_sdwa v57, v65, v67 dst_sel:DWORD dst_unused:UNUSED_PAD src0_sel:BYTE_0 src1_sel:DWORD
	v_or_b32_sdwa v56, v66, v68 dst_sel:WORD_1 dst_unused:UNUSED_PAD src0_sel:BYTE_0 src1_sel:DWORD
	v_lshlrev_b16_e32 v49, 8, v49
	v_or_b32_sdwa v69, v57, v56 dst_sel:DWORD dst_unused:UNUSED_PAD src0_sel:WORD_0 src1_sel:DWORD
	global_load_dwordx2 v[56:57], v8, s[20:21]
	v_lshlrev_b16_e32 v15, 8, v15
	s_waitcnt vmcnt(0)
	v_xor_b32_e32 v8, v56, v64
	v_and_b32_e32 v56, 0xffffff00, v8
	v_sub_i16 v50, v56, v50 clamp
	v_lshlrev_b16_e32 v56, 8, v8
	v_and_b32_e32 v50, 0xffffff00, v50
	v_sub_i16 v49, v56, v49 clamp
	v_or_b32_sdwa v49, v49, v50 dst_sel:DWORD dst_unused:UNUSED_PAD src0_sel:BYTE_1 src1_sel:DWORD
	v_and_b32_sdwa v50, v8, s27 dst_sel:DWORD dst_unused:UNUSED_PAD src0_sel:WORD_1 src1_sel:DWORD
	v_sub_i16 v50, v50, v63 clamp
	v_lshlrev_b16_sdwa v8, v38, v8 dst_sel:DWORD dst_unused:UNUSED_PAD src0_sel:DWORD src1_sel:WORD_1
	v_and_b32_e32 v50, 0xffffff00, v50
	v_sub_i16 v8, v8, v15 clamp
	v_or_b32_sdwa v8, v8, v50 dst_sel:WORD_1 dst_unused:UNUSED_PAD src0_sel:BYTE_1 src1_sel:DWORD
	v_lshlrev_b16_e32 v56, 8, v65
	v_or_b32_sdwa v15, v49, v8 dst_sel:DWORD dst_unused:UNUSED_PAD src0_sel:WORD_0 src1_sel:DWORD
	v_xor_b32_e32 v8, v57, v69
	v_and_b32_e32 v49, 0xffffff00, v8
	v_sub_i16 v49, v49, v67 clamp
	v_lshlrev_b16_e32 v50, 8, v8
	v_and_b32_e32 v49, 0xffffff00, v49
	v_sub_i16 v50, v50, v56 clamp
	v_or_b32_sdwa v49, v50, v49 dst_sel:DWORD dst_unused:UNUSED_PAD src0_sel:BYTE_1 src1_sel:DWORD
	v_and_b32_sdwa v50, v8, s27 dst_sel:DWORD dst_unused:UNUSED_PAD src0_sel:WORD_1 src1_sel:DWORD
	v_sub_i16 v50, v50, v68 clamp
	v_lshlrev_b16_sdwa v8, v38, v8 dst_sel:DWORD dst_unused:UNUSED_PAD src0_sel:DWORD src1_sel:WORD_1
	v_lshlrev_b16_e32 v56, 8, v66
	v_and_b32_e32 v50, 0xffffff00, v50
	v_sub_i16 v8, v8, v56 clamp
	v_or_b32_sdwa v8, v8, v50 dst_sel:WORD_1 dst_unused:UNUSED_PAD src0_sel:BYTE_1 src1_sel:DWORD
	v_bfe_u32 v57, v60, 27, 1
	v_or_b32_sdwa v49, v49, v8 dst_sel:DWORD dst_unused:UNUSED_PAD src0_sel:WORD_0 src1_sel:DWORD
	v_mov_b32_e32 v8, 0
	v_dot4c_i32_i8_e32 v8, v15, v9
	v_dot4c_i32_i8_e32 v8, v49, v10
	v_lshlrev_b32_e32 v10, 5, v62
	v_lshrrev_b32_e32 v56, 25, v60
	v_cmp_ne_u16_e32 vcc, 0, v57
	v_lshlrev_b32_e32 v9, 2, v59
	v_lshlrev_b16_e32 v50, 7, v61
	v_bfe_i32 v56, v56, 0, 1
	v_lshrrev_b16_e32 v10, 7, v10
	v_cndmask_b32_e64 v57, 0, -1, vcc
	v_and_or_b32 v9, v9, s23, v58
	v_ashrrev_i16_e32 v50, 15, v50
	v_bfe_i32 v10, v10, 0, 1
	v_lshlrev_b16_e32 v58, 8, v56
	v_lshlrev_b16_e32 v59, 8, v57
	v_or_b32_sdwa v56, v50, v58 dst_sel:DWORD dst_unused:UNUSED_PAD src0_sel:BYTE_0 src1_sel:DWORD
	v_or_b32_sdwa v57, v10, v59 dst_sel:WORD_1 dst_unused:UNUSED_PAD src0_sel:BYTE_0 src1_sel:DWORD
	v_lshlrev_b32_e32 v9, 3, v9
	v_or_b32_sdwa v61, v56, v57 dst_sel:DWORD dst_unused:UNUSED_PAD src0_sel:WORD_0 src1_sel:DWORD
	v_lshlrev_b32_e32 v56, 1, v62
	v_lshrrev_b16_e32 v56, 7, v56
	v_bfe_i32 v63, v56, 0, 1
	v_lshrrev_b32_e32 v56, 31, v60
	v_lshrrev_b32_e32 v57, 29, v60
	v_cmp_ne_u16_e32 vcc, 0, v56
	v_bfe_i32 v57, v57, 0, 1
	v_bfe_i32 v62, v62, 4, 1
	v_cndmask_b32_e64 v56, 0, -1, vcc
	v_lshlrev_b16_e32 v60, 8, v57
	v_lshlrev_b16_e32 v64, 8, v56
	v_or_b32_sdwa v57, v62, v60 dst_sel:DWORD dst_unused:UNUSED_PAD src0_sel:BYTE_0 src1_sel:DWORD
	v_or_b32_sdwa v56, v63, v64 dst_sel:WORD_1 dst_unused:UNUSED_PAD src0_sel:BYTE_0 src1_sel:DWORD
	v_lshlrev_b16_e32 v50, 8, v50
	v_or_b32_sdwa v65, v57, v56 dst_sel:DWORD dst_unused:UNUSED_PAD src0_sel:WORD_0 src1_sel:DWORD
	global_load_dwordx2 v[56:57], v9, s[20:21]
	v_lshlrev_b16_e32 v10, 8, v10
	v_cmp_le_u32_e32 vcc, s5, v34
	s_or_b64 s[12:13], vcc, s[12:13]
	s_waitcnt vmcnt(0)
	v_xor_b32_e32 v9, v56, v61
	v_and_b32_e32 v56, 0xffffff00, v9
	v_sub_i16 v56, v56, v58 clamp
	v_lshlrev_b16_e32 v58, 8, v9
	v_and_b32_e32 v56, 0xffffff00, v56
	v_sub_i16 v50, v58, v50 clamp
	v_or_b32_sdwa v50, v50, v56 dst_sel:DWORD dst_unused:UNUSED_PAD src0_sel:BYTE_1 src1_sel:DWORD
	v_and_b32_sdwa v56, v9, s27 dst_sel:DWORD dst_unused:UNUSED_PAD src0_sel:WORD_1 src1_sel:DWORD
	v_sub_i16 v56, v56, v59 clamp
	v_lshlrev_b16_sdwa v9, v38, v9 dst_sel:DWORD dst_unused:UNUSED_PAD src0_sel:DWORD src1_sel:WORD_1
	v_and_b32_e32 v56, 0xffffff00, v56
	v_sub_i16 v9, v9, v10 clamp
	v_or_b32_sdwa v9, v9, v56 dst_sel:WORD_1 dst_unused:UNUSED_PAD src0_sel:BYTE_1 src1_sel:DWORD
	s_nop 0
	v_or_b32_sdwa v10, v50, v9 dst_sel:DWORD dst_unused:UNUSED_PAD src0_sel:WORD_0 src1_sel:DWORD
	v_xor_b32_e32 v9, v57, v65
	v_and_b32_e32 v50, 0xffffff00, v9
	v_sub_i16 v50, v50, v60 clamp
	v_lshlrev_b16_e32 v56, 8, v9
	v_lshlrev_b16_e32 v57, 8, v62
	v_and_b32_e32 v50, 0xffffff00, v50
	v_sub_i16 v56, v56, v57 clamp
	v_or_b32_sdwa v50, v56, v50 dst_sel:DWORD dst_unused:UNUSED_PAD src0_sel:BYTE_1 src1_sel:DWORD
	v_and_b32_sdwa v56, v9, s27 dst_sel:DWORD dst_unused:UNUSED_PAD src0_sel:WORD_1 src1_sel:DWORD
	v_sub_i16 v56, v56, v64 clamp
	v_lshlrev_b16_sdwa v9, v38, v9 dst_sel:DWORD dst_unused:UNUSED_PAD src0_sel:DWORD src1_sel:WORD_1
	v_lshlrev_b16_e32 v57, 8, v63
	v_and_b32_e32 v56, 0xffffff00, v56
	v_sub_i16 v9, v9, v57 clamp
	v_or_b32_sdwa v9, v9, v56 dst_sel:WORD_1 dst_unused:UNUSED_PAD src0_sel:BYTE_1 src1_sel:DWORD
	v_dot4c_i32_i8_e32 v8, v10, v11
	v_or_b32_sdwa v50, v50, v9 dst_sel:DWORD dst_unused:UNUSED_PAD src0_sel:WORD_0 src1_sel:DWORD
	v_dot4c_i32_i8_e32 v8, v50, v54
	global_load_ushort v9, v[30:31], off
	global_load_ubyte v54, v[28:29], off offset:74
	global_load_ubyte v56, v[32:33], off offset:74
	s_waitcnt vmcnt(2)
	v_cvt_f32_f16_e32 v9, v9
	s_waitcnt vmcnt(1)
	v_and_b32_e32 v30, 15, v54
	s_waitcnt vmcnt(0)
	v_lshrrev_b32_e32 v11, 4, v56
	v_lshrrev_b32_e32 v28, 4, v54
	v_mul_lo_u32 v31, v51, v30
	v_add_u32_e32 v51, v52, v51
	v_mul_lo_u32 v33, v52, v28
	v_mul_lo_u32 v54, v8, v11
	v_add_u32_e32 v8, v8, v55
	v_lshrrev_b32_e32 v52, 31, v51
	v_add_u32_e32 v51, v51, v52
	v_lshrrev_b32_e32 v52, 31, v8
	v_and_b32_e32 v29, 15, v56
	v_ashrrev_i32_e32 v51, 1, v51
	v_add_u32_e32 v8, v8, v52
	v_mul_lo_u32 v32, v55, v29
	v_ashrrev_i32_e32 v8, 1, v8
	v_add3_u32 v31, v33, v31, v51
	v_add3_u32 v8, v54, v32, v8
	v_ashrrev_i32_e32 v32, 31, v31
	v_lshrrev_b32_e32 v32, 30, v32
	v_add_u32_e32 v31, v31, v32
	v_ashrrev_i32_e32 v32, 31, v8
	v_lshrrev_b32_e32 v32, 30, v32
	v_add_u32_e32 v8, v8, v32
	v_ashrrev_i32_e32 v31, 2, v31
	v_ashrrev_i32_e32 v51, 2, v8
	v_cvt_f32_f16_e32 v8, v53
	v_cvt_f32_i32_e32 v53, v51
	v_cvt_f32_i32_e32 v52, v31
	v_mov_b32_e32 v51, 0
	v_pk_mul_f32 v[32:33], v[12:13], v[8:9] op_sel_hi:[0,1]
	v_add_u32_e32 v12, s9, v35
	v_pk_fma_f32 v[4:5], v[32:33], v[52:53], v[4:5]
	v_mad_u64_u32 v[32:33], s[20:21], v12, 36, s[24:25]
	v_mad_u64_u32 v[32:33], s[20:21], v18, 36, v[32:33]
	global_load_dword v31, v[32:33], off offset:32
	global_load_dwordx4 v[52:55], v[32:33], off offset:16
	global_load_dwordx4 v[56:59], v[32:33], off
	v_mov_b32_e32 v32, 0
	v_mov_b32_e32 v33, 0
	s_waitcnt vmcnt(1)
	v_dot4c_i32_i8_e32 v33, v43, v53
	s_waitcnt vmcnt(0)
	v_dot4c_i32_i8_e32 v32, v39, v57
	v_dot4c_i32_i8_e32 v51, v47, v57
	;; [unrolled: 1-line block ×8, first 2 shown]
	v_mov_b32_e32 v52, 0
	v_dot4c_i32_i8_e32 v33, v44, v54
	v_dot4c_i32_i8_e32 v52, v15, v53
	;; [unrolled: 1-line block ×7, first 2 shown]
	v_mul_lo_u32 v31, v32, v30
	v_add_u32_e32 v32, v33, v32
	v_mul_lo_u32 v54, v33, v28
	v_lshrrev_b32_e32 v33, 31, v32
	v_mul_lo_u32 v53, v51, v29
	v_add_u32_e32 v51, v52, v51
	v_add_u32_e32 v32, v32, v33
	v_ashrrev_i32_e32 v32, 1, v32
	v_lshrrev_b32_e32 v33, 31, v51
	v_add_u32_e32 v33, v51, v33
	v_add3_u32 v31, v54, v31, v32
	v_mul_lo_u32 v55, v52, v11
	v_ashrrev_i32_e32 v33, 1, v33
	v_ashrrev_i32_e32 v32, 31, v31
	v_add3_u32 v33, v55, v53, v33
	v_lshrrev_b32_e32 v32, 30, v32
	v_add_u32_e32 v31, v31, v32
	v_ashrrev_i32_e32 v32, 31, v33
	v_lshrrev_b32_e32 v32, 30, v32
	v_add_u32_e32 v32, v33, v32
	v_cvt_f32_f16_e32 v12, v56
	v_ashrrev_i32_e32 v31, 2, v31
	v_ashrrev_i32_e32 v51, 2, v32
	v_cvt_f32_i32_e32 v53, v51
	v_cvt_f32_i32_e32 v52, v31
	v_pk_mul_f32 v[32:33], v[12:13], v[8:9] op_sel_hi:[0,1]
	v_add_u32_e32 v12, s26, v35
	v_mov_b32_e32 v51, 0
	v_pk_fma_f32 v[6:7], v[32:33], v[52:53], v[6:7]
	v_mad_u64_u32 v[32:33], s[20:21], v12, 36, s[24:25]
	v_mad_u64_u32 v[32:33], s[20:21], v18, 36, v[32:33]
	global_load_dword v31, v[32:33], off offset:32
	global_load_dwordx4 v[52:55], v[32:33], off offset:16
	global_load_dwordx4 v[56:59], v[32:33], off
	v_mov_b32_e32 v32, 0
	v_mov_b32_e32 v33, 0
	s_waitcnt vmcnt(1)
	v_dot4c_i32_i8_e32 v33, v43, v53
	s_waitcnt vmcnt(0)
	v_dot4c_i32_i8_e32 v32, v39, v57
	v_dot4c_i32_i8_e32 v51, v47, v57
	;; [unrolled: 1-line block ×8, first 2 shown]
	v_mov_b32_e32 v52, 0
	v_dot4c_i32_i8_e32 v33, v44, v54
	v_dot4c_i32_i8_e32 v52, v15, v53
	;; [unrolled: 1-line block ×7, first 2 shown]
	v_mul_lo_u32 v31, v32, v30
	v_add_u32_e32 v32, v33, v32
	v_mul_lo_u32 v54, v33, v28
	v_lshrrev_b32_e32 v33, 31, v32
	v_mul_lo_u32 v53, v51, v29
	v_add_u32_e32 v51, v52, v51
	v_add_u32_e32 v32, v32, v33
	v_ashrrev_i32_e32 v32, 1, v32
	v_lshrrev_b32_e32 v33, 31, v51
	v_add_u32_e32 v33, v51, v33
	v_add3_u32 v31, v54, v31, v32
	v_mul_lo_u32 v55, v52, v11
	v_ashrrev_i32_e32 v33, 1, v33
	v_ashrrev_i32_e32 v32, 31, v31
	v_add3_u32 v33, v55, v53, v33
	v_lshrrev_b32_e32 v32, 30, v32
	v_add_u32_e32 v31, v31, v32
	v_ashrrev_i32_e32 v32, 31, v33
	v_lshrrev_b32_e32 v32, 30, v32
	v_add_u32_e32 v32, v33, v32
	v_cvt_f32_f16_e32 v12, v56
	v_ashrrev_i32_e32 v31, 2, v31
	v_ashrrev_i32_e32 v51, 2, v32
	v_cvt_f32_i32_e32 v53, v51
	v_cvt_f32_i32_e32 v52, v31
	v_pk_mul_f32 v[32:33], v[12:13], v[8:9] op_sel_hi:[0,1]
	v_add_u32_e32 v12, s19, v35
	v_mov_b32_e32 v51, 0
	v_pk_fma_f32 v[0:1], v[32:33], v[52:53], v[0:1]
	v_mad_u64_u32 v[32:33], s[20:21], v12, 36, s[24:25]
	v_mad_u64_u32 v[32:33], s[20:21], v18, 36, v[32:33]
	global_load_dword v31, v[32:33], off offset:32
	global_load_dwordx4 v[52:55], v[32:33], off offset:16
	global_load_dwordx4 v[56:59], v[32:33], off
	v_mov_b32_e32 v32, 0
	v_mov_b32_e32 v33, 0
	s_waitcnt vmcnt(1)
	v_dot4c_i32_i8_e32 v33, v43, v53
	s_waitcnt vmcnt(0)
	v_dot4c_i32_i8_e32 v32, v39, v57
	v_dot4c_i32_i8_e32 v51, v47, v57
	;; [unrolled: 1-line block ×8, first 2 shown]
	v_mov_b32_e32 v52, 0
	v_dot4c_i32_i8_e32 v33, v44, v54
	v_dot4c_i32_i8_e32 v52, v15, v53
	;; [unrolled: 1-line block ×7, first 2 shown]
	v_mul_lo_u32 v31, v32, v30
	v_add_u32_e32 v32, v33, v32
	v_mul_lo_u32 v54, v33, v28
	v_lshrrev_b32_e32 v33, 31, v32
	v_mul_lo_u32 v53, v51, v29
	v_add_u32_e32 v51, v52, v51
	v_add_u32_e32 v32, v32, v33
	v_ashrrev_i32_e32 v32, 1, v32
	v_lshrrev_b32_e32 v33, 31, v51
	v_add_u32_e32 v33, v51, v33
	v_add3_u32 v31, v54, v31, v32
	v_mul_lo_u32 v55, v52, v11
	v_ashrrev_i32_e32 v33, 1, v33
	v_ashrrev_i32_e32 v32, 31, v31
	v_add3_u32 v33, v55, v53, v33
	v_lshrrev_b32_e32 v32, 30, v32
	v_add_u32_e32 v31, v31, v32
	v_ashrrev_i32_e32 v32, 31, v33
	v_lshrrev_b32_e32 v32, 30, v32
	v_add_u32_e32 v32, v33, v32
	v_cvt_f32_f16_e32 v12, v56
	v_ashrrev_i32_e32 v31, 2, v31
	v_ashrrev_i32_e32 v51, 2, v32
	v_cvt_f32_i32_e32 v53, v51
	v_cvt_f32_i32_e32 v52, v31
	v_pk_mul_f32 v[32:33], v[12:13], v[8:9] op_sel_hi:[0,1]
	v_add_u32_e32 v12, s15, v35
	v_add_u32_e32 v35, 64, v35
	v_pk_fma_f32 v[2:3], v[32:33], v[52:53], v[2:3]
	v_mad_u64_u32 v[32:33], s[20:21], v12, 36, s[24:25]
	v_mad_u64_u32 v[32:33], s[20:21], v18, 36, v[32:33]
	global_load_dword v31, v[32:33], off offset:32
	global_load_dwordx4 v[52:55], v[32:33], off offset:16
	global_load_dwordx4 v[56:59], v[32:33], off
	v_mov_b32_e32 v32, 0
	v_mov_b32_e32 v33, 0
	s_waitcnt vmcnt(1)
	v_dot4c_i32_i8_e32 v33, v43, v53
	s_waitcnt vmcnt(0)
	v_dot4c_i32_i8_e32 v32, v39, v57
	v_mov_b32_e32 v39, 0
	v_dot4c_i32_i8_e32 v39, v47, v57
	v_dot4c_i32_i8_e32 v39, v48, v58
	;; [unrolled: 1-line block ×3, first 2 shown]
	v_mov_b32_e32 v13, 0
	v_dot4c_i32_i8_e32 v32, v40, v58
	v_dot4c_i32_i8_e32 v33, v44, v54
	;; [unrolled: 1-line block ×11, first 2 shown]
	v_mul_lo_u32 v15, v33, v28
	v_add_u32_e32 v28, v33, v32
	v_mul_lo_u32 v14, v39, v29
	v_mul_lo_u32 v11, v13, v11
	v_add_u32_e32 v13, v13, v39
	v_lshrrev_b32_e32 v29, 31, v28
	v_add_u32_e32 v28, v28, v29
	v_lshrrev_b32_e32 v29, 31, v13
	v_mul_lo_u32 v10, v32, v30
	v_ashrrev_i32_e32 v28, 1, v28
	v_add_u32_e32 v13, v13, v29
	v_ashrrev_i32_e32 v13, 1, v13
	v_add3_u32 v10, v15, v10, v28
	v_add3_u32 v11, v11, v14, v13
	v_ashrrev_i32_e32 v13, 31, v10
	v_lshrrev_b32_e32 v13, 30, v13
	v_add_u32_e32 v10, v10, v13
	v_ashrrev_i32_e32 v13, 31, v11
	v_lshrrev_b32_e32 v13, 30, v13
	v_add_u32_e32 v11, v11, v13
	v_cvt_f32_f16_e32 v12, v56
	v_ashrrev_i32_e32 v10, 2, v10
	v_ashrrev_i32_e32 v11, 2, v11
	v_cvt_f32_i32_e32 v11, v11
	v_cvt_f32_i32_e32 v10, v10
	v_pk_mul_f32 v[8:9], v[12:13], v[8:9] op_sel_hi:[0,1]
	v_pk_fma_f32 v[26:27], v[8:9], v[10:11], v[26:27]
	s_andn2_b64 exec, exec, s[12:13]
	s_cbranch_execnz .LBB188_2
; %bb.3:
	s_or_b64 exec, exec, s[12:13]
	scratch_store_dwordx4 off, v[4:7], off
	scratch_store_dwordx4 off, v[0:3], off offset:16
	scratch_store_dwordx2 off, v[26:27], off offset:32
.LBB188_4:
	s_or_b64 exec, exec, s[6:7]
	s_mov_b32 s5, 0
	v_cmp_eq_u32_e32 vcc, 0, v17
	s_waitcnt lgkmcnt(0)
	; wave barrier
	s_and_saveexec_b64 s[6:7], vcc
	s_cbranch_execz .LBB188_15
; %bb.5:
	scratch_load_dwordx2 v[2:3], off, off
	v_mbcnt_lo_u32_b32 v0, -1, 0
	v_mbcnt_hi_u32_b32 v12, -1, v0
	s_load_dwordx2 s[6:7], s[0:1], 0x38
	s_mul_i32 s0, s3, s14
	v_or_b32_e32 v1, s2, v16
	v_and_b32_e32 v0, 64, v12
	s_mul_i32 s4, s4, s18
	s_add_i32 s2, s0, s2
	v_cmp_gt_u32_e64 s[0:1], s10, v1
	v_xor_b32_e32 v1, 32, v12
	v_add_u32_e32 v13, 64, v0
	s_add_i32 s4, s2, s4
	v_cmp_lt_i32_e64 s[2:3], v1, v13
	v_cmp_gt_u32_e32 vcc, 2, v16
	s_nop 0
	v_cndmask_b32_e64 v0, v12, v1, s[2:3]
	v_lshlrev_b32_e32 v0, 2, v0
	v_xor_b32_e32 v1, 16, v12
	v_cmp_lt_i32_e64 s[2:3], v1, v13
	s_waitcnt vmcnt(0)
	ds_bpermute_b32 v4, v0, v2
	ds_bpermute_b32 v5, v0, v3
	v_cndmask_b32_e64 v1, v12, v1, s[2:3]
	v_lshlrev_b32_e32 v1, 2, v1
	s_waitcnt lgkmcnt(0)
	v_pk_add_f32 v[4:5], v[2:3], v[4:5]
	ds_bpermute_b32 v6, v1, v4
	ds_bpermute_b32 v7, v1, v5
	v_xor_b32_e32 v2, 8, v12
	v_cmp_lt_i32_e64 s[2:3], v2, v13
	v_xor_b32_e32 v3, 4, v12
	s_waitcnt lgkmcnt(0)
	v_pk_add_f32 v[4:5], v[4:5], v[6:7]
	v_cndmask_b32_e64 v2, v12, v2, s[2:3]
	v_lshlrev_b32_e32 v2, 2, v2
	ds_bpermute_b32 v6, v2, v4
	ds_bpermute_b32 v7, v2, v5
	v_cmp_lt_i32_e64 s[2:3], v3, v13
	s_waitcnt lgkmcnt(0)
	v_pk_add_f32 v[6:7], v[4:5], v[6:7]
	v_cndmask_b32_e64 v3, v12, v3, s[2:3]
	v_lshlrev_b32_e32 v3, 2, v3
	ds_bpermute_b32 v8, v3, v6
	ds_bpermute_b32 v9, v3, v7
	v_xor_b32_e32 v4, 2, v12
	v_cmp_lt_i32_e64 s[2:3], v4, v13
	v_xor_b32_e32 v5, 1, v12
	s_waitcnt lgkmcnt(0)
	v_pk_add_f32 v[8:9], v[6:7], v[8:9]
	v_cndmask_b32_e64 v4, v12, v4, s[2:3]
	v_lshlrev_b32_e32 v4, 2, v4
	ds_bpermute_b32 v10, v4, v8
	ds_bpermute_b32 v11, v4, v9
	v_cmp_lt_i32_e64 s[2:3], v5, v13
	s_waitcnt lgkmcnt(0)
	v_pk_add_f32 v[8:9], v[8:9], v[10:11]
	v_cndmask_b32_e64 v5, v12, v5, s[2:3]
	v_lshlrev_b32_e32 v6, 2, v5
	ds_bpermute_b32 v10, v6, v8
	ds_bpermute_b32 v11, v6, v9
	s_lshl_b64 s[2:3], s[4:5], 2
	s_add_u32 s2, s6, s2
	s_addc_u32 s3, s7, s3
	s_and_b64 s[0:1], vcc, s[0:1]
	s_waitcnt lgkmcnt(0)
	v_pk_add_f32 v[8:9], v[8:9], v[10:11]
	v_lshlrev_b32_e32 v5, 2, v16
	scratch_store_dwordx2 off, v[8:9], off
	s_and_saveexec_b64 s[4:5], s[0:1]
	s_cbranch_execz .LBB188_7
; %bb.6:
	scratch_load_dword v7, v5, off
	s_waitcnt vmcnt(0)
	global_store_dword v5, v7, s[2:3]
.LBB188_7:
	s_or_b64 exec, exec, s[4:5]
	scratch_load_dwordx2 v[8:9], off, off offset:8
	s_waitcnt vmcnt(0)
	ds_bpermute_b32 v10, v0, v8
	ds_bpermute_b32 v11, v0, v9
	s_waitcnt lgkmcnt(0)
	v_pk_add_f32 v[8:9], v[8:9], v[10:11]
	ds_bpermute_b32 v10, v1, v8
	ds_bpermute_b32 v11, v1, v9
	s_waitcnt lgkmcnt(0)
	v_pk_add_f32 v[8:9], v[8:9], v[10:11]
	;; [unrolled: 4-line block ×6, first 2 shown]
	scratch_store_dwordx2 off, v[8:9], off offset:8
	s_and_saveexec_b64 s[4:5], s[0:1]
	s_cbranch_execz .LBB188_9
; %bb.8:
	scratch_load_dword v7, v5, off offset:8
	v_add_u32_e32 v8, s10, v16
	v_mov_b32_e32 v9, 0
	v_lshl_add_u64 v[8:9], v[8:9], 2, s[2:3]
	s_waitcnt vmcnt(0)
	global_store_dword v[8:9], v7, off
.LBB188_9:
	s_or_b64 exec, exec, s[4:5]
	scratch_load_dwordx2 v[8:9], off, off offset:16
	s_waitcnt vmcnt(0)
	ds_bpermute_b32 v10, v0, v8
	ds_bpermute_b32 v11, v0, v9
	s_waitcnt lgkmcnt(0)
	v_pk_add_f32 v[8:9], v[8:9], v[10:11]
	ds_bpermute_b32 v10, v1, v8
	ds_bpermute_b32 v11, v1, v9
	s_waitcnt lgkmcnt(0)
	v_pk_add_f32 v[8:9], v[8:9], v[10:11]
	;; [unrolled: 4-line block ×6, first 2 shown]
	scratch_store_dwordx2 off, v[8:9], off offset:16
	s_and_saveexec_b64 s[4:5], s[0:1]
	s_cbranch_execz .LBB188_11
; %bb.10:
	scratch_load_dword v7, v5, off offset:16
	v_lshl_or_b32 v8, s10, 1, v16
	v_mov_b32_e32 v9, 0
	v_lshl_add_u64 v[8:9], v[8:9], 2, s[2:3]
	s_waitcnt vmcnt(0)
	global_store_dword v[8:9], v7, off
.LBB188_11:
	s_or_b64 exec, exec, s[4:5]
	scratch_load_dwordx2 v[8:9], off, off offset:24
	s_waitcnt vmcnt(0)
	ds_bpermute_b32 v10, v0, v8
	ds_bpermute_b32 v11, v0, v9
	s_waitcnt lgkmcnt(0)
	v_pk_add_f32 v[8:9], v[8:9], v[10:11]
	ds_bpermute_b32 v10, v1, v8
	ds_bpermute_b32 v11, v1, v9
	s_waitcnt lgkmcnt(0)
	v_pk_add_f32 v[8:9], v[8:9], v[10:11]
	;; [unrolled: 4-line block ×6, first 2 shown]
	scratch_store_dwordx2 off, v[8:9], off offset:24
	s_and_saveexec_b64 s[4:5], s[0:1]
	s_cbranch_execz .LBB188_13
; %bb.12:
	scratch_load_dword v7, v5, off offset:24
	v_mad_u64_u32 v[8:9], s[6:7], s10, 3, v[16:17]
	v_mov_b32_e32 v9, 0
	v_lshl_add_u64 v[8:9], v[8:9], 2, s[2:3]
	s_waitcnt vmcnt(0)
	global_store_dword v[8:9], v7, off
.LBB188_13:
	s_or_b64 exec, exec, s[4:5]
	scratch_load_dwordx2 v[8:9], off, off offset:32
	s_waitcnt vmcnt(0)
	ds_bpermute_b32 v10, v0, v8
	ds_bpermute_b32 v11, v0, v9
	s_waitcnt lgkmcnt(0)
	v_pk_add_f32 v[8:9], v[8:9], v[10:11]
	ds_bpermute_b32 v0, v1, v8
	ds_bpermute_b32 v1, v1, v9
	s_waitcnt lgkmcnt(0)
	v_pk_add_f32 v[0:1], v[8:9], v[0:1]
	;; [unrolled: 4-line block ×6, first 2 shown]
	scratch_store_dwordx2 off, v[0:1], off offset:32
	s_and_b64 exec, exec, s[0:1]
	s_cbranch_execz .LBB188_15
; %bb.14:
	scratch_load_dword v2, v5, off offset:32
	v_lshl_or_b32 v0, s10, 2, v16
	v_mov_b32_e32 v1, 0
	v_lshl_add_u64 v[0:1], v[0:1], 2, s[2:3]
	s_waitcnt vmcnt(0)
	global_store_dword v[0:1], v2, off
.LBB188_15:
	s_endpgm
	.section	.rodata,"a",@progbits
	.p2align	6, 0x0
	.amdhsa_kernel _ZL13mul_mat_vec_qIL9ggml_type22ELi5ELb0ELb0EEvPKvS2_PKi31ggml_cuda_mm_fusion_args_devicePfj15HIP_vector_typeIjLj3EEjjjS8_jjjS8_jjjj
		.amdhsa_group_segment_fixed_size 0
		.amdhsa_private_segment_fixed_size 48
		.amdhsa_kernarg_size 144
		.amdhsa_user_sgpr_count 2
		.amdhsa_user_sgpr_dispatch_ptr 0
		.amdhsa_user_sgpr_queue_ptr 0
		.amdhsa_user_sgpr_kernarg_segment_ptr 1
		.amdhsa_user_sgpr_dispatch_id 0
		.amdhsa_user_sgpr_kernarg_preload_length 0
		.amdhsa_user_sgpr_kernarg_preload_offset 0
		.amdhsa_user_sgpr_private_segment_size 0
		.amdhsa_uses_dynamic_stack 0
		.amdhsa_enable_private_segment 1
		.amdhsa_system_sgpr_workgroup_id_x 1
		.amdhsa_system_sgpr_workgroup_id_y 1
		.amdhsa_system_sgpr_workgroup_id_z 1
		.amdhsa_system_sgpr_workgroup_info 0
		.amdhsa_system_vgpr_workitem_id 1
		.amdhsa_next_free_vgpr 71
		.amdhsa_next_free_sgpr 30
		.amdhsa_accum_offset 72
		.amdhsa_reserve_vcc 1
		.amdhsa_float_round_mode_32 0
		.amdhsa_float_round_mode_16_64 0
		.amdhsa_float_denorm_mode_32 3
		.amdhsa_float_denorm_mode_16_64 3
		.amdhsa_dx10_clamp 1
		.amdhsa_ieee_mode 1
		.amdhsa_fp16_overflow 0
		.amdhsa_tg_split 0
		.amdhsa_exception_fp_ieee_invalid_op 0
		.amdhsa_exception_fp_denorm_src 0
		.amdhsa_exception_fp_ieee_div_zero 0
		.amdhsa_exception_fp_ieee_overflow 0
		.amdhsa_exception_fp_ieee_underflow 0
		.amdhsa_exception_fp_ieee_inexact 0
		.amdhsa_exception_int_div_zero 0
	.end_amdhsa_kernel
	.section	.text._ZL13mul_mat_vec_qIL9ggml_type22ELi5ELb0ELb0EEvPKvS2_PKi31ggml_cuda_mm_fusion_args_devicePfj15HIP_vector_typeIjLj3EEjjjS8_jjjS8_jjjj,"axG",@progbits,_ZL13mul_mat_vec_qIL9ggml_type22ELi5ELb0ELb0EEvPKvS2_PKi31ggml_cuda_mm_fusion_args_devicePfj15HIP_vector_typeIjLj3EEjjjS8_jjjS8_jjjj,comdat
.Lfunc_end188:
	.size	_ZL13mul_mat_vec_qIL9ggml_type22ELi5ELb0ELb0EEvPKvS2_PKi31ggml_cuda_mm_fusion_args_devicePfj15HIP_vector_typeIjLj3EEjjjS8_jjjS8_jjjj, .Lfunc_end188-_ZL13mul_mat_vec_qIL9ggml_type22ELi5ELb0ELb0EEvPKvS2_PKi31ggml_cuda_mm_fusion_args_devicePfj15HIP_vector_typeIjLj3EEjjjS8_jjjS8_jjjj
                                        ; -- End function
	.section	.AMDGPU.csdata,"",@progbits
; Kernel info:
; codeLenInByte = 7028
; NumSgprs: 36
; NumVgprs: 71
; NumAgprs: 0
; TotalNumVgprs: 71
; ScratchSize: 48
; MemoryBound: 0
; FloatMode: 240
; IeeeMode: 1
; LDSByteSize: 0 bytes/workgroup (compile time only)
; SGPRBlocks: 4
; VGPRBlocks: 8
; NumSGPRsForWavesPerEU: 36
; NumVGPRsForWavesPerEU: 71
; AccumOffset: 72
; Occupancy: 7
; WaveLimiterHint : 0
; COMPUTE_PGM_RSRC2:SCRATCH_EN: 1
; COMPUTE_PGM_RSRC2:USER_SGPR: 2
; COMPUTE_PGM_RSRC2:TRAP_HANDLER: 0
; COMPUTE_PGM_RSRC2:TGID_X_EN: 1
; COMPUTE_PGM_RSRC2:TGID_Y_EN: 1
; COMPUTE_PGM_RSRC2:TGID_Z_EN: 1
; COMPUTE_PGM_RSRC2:TIDIG_COMP_CNT: 1
; COMPUTE_PGM_RSRC3_GFX90A:ACCUM_OFFSET: 17
; COMPUTE_PGM_RSRC3_GFX90A:TG_SPLIT: 0
	.section	.text._ZL13mul_mat_vec_qIL9ggml_type22ELi6ELb0ELb0EEvPKvS2_PKi31ggml_cuda_mm_fusion_args_devicePfj15HIP_vector_typeIjLj3EEjjjS8_jjjS8_jjjj,"axG",@progbits,_ZL13mul_mat_vec_qIL9ggml_type22ELi6ELb0ELb0EEvPKvS2_PKi31ggml_cuda_mm_fusion_args_devicePfj15HIP_vector_typeIjLj3EEjjjS8_jjjS8_jjjj,comdat
	.globl	_ZL13mul_mat_vec_qIL9ggml_type22ELi6ELb0ELb0EEvPKvS2_PKi31ggml_cuda_mm_fusion_args_devicePfj15HIP_vector_typeIjLj3EEjjjS8_jjjS8_jjjj ; -- Begin function _ZL13mul_mat_vec_qIL9ggml_type22ELi6ELb0ELb0EEvPKvS2_PKi31ggml_cuda_mm_fusion_args_devicePfj15HIP_vector_typeIjLj3EEjjjS8_jjjS8_jjjj
	.p2align	8
	.type	_ZL13mul_mat_vec_qIL9ggml_type22ELi6ELb0ELb0EEvPKvS2_PKi31ggml_cuda_mm_fusion_args_devicePfj15HIP_vector_typeIjLj3EEjjjS8_jjjS8_jjjj,@function
_ZL13mul_mat_vec_qIL9ggml_type22ELi6ELb0ELb0EEvPKvS2_PKi31ggml_cuda_mm_fusion_args_devicePfj15HIP_vector_typeIjLj3EEjjjS8_jjjS8_jjjj: ; @_ZL13mul_mat_vec_qIL9ggml_type22ELi6ELb0ELb0EEvPKvS2_PKi31ggml_cuda_mm_fusion_args_devicePfj15HIP_vector_typeIjLj3EEjjjS8_jjjS8_jjjj
; %bb.0:
	v_bfe_u32 v21, v0, 10, 10
	v_and_b32_e32 v20, 0x3ff, v0
	s_mov_b32 s20, 0
	s_load_dword s5, s[0:1], 0x40
	s_load_dwordx4 s[8:11], s[0:1], 0x50
	s_load_dword s27, s[0:1], 0x60
	s_load_dwordx4 s[12:15], s[0:1], 0x68
	;; [unrolled: 2-line block ×3, first 2 shown]
	v_lshl_or_b32 v4, v21, 6, v20
	s_mov_b32 s21, s20
	s_waitcnt lgkmcnt(0)
	s_lshr_b32 s5, s5, 8
	s_mov_b32 s22, s20
	s_mov_b32 s23, s20
	v_mov_b64_e32 v[0:1], s[20:21]
	v_lshrrev_b32_e32 v36, 3, v4
	s_lshl_b32 s2, s2, 1
	v_mov_b64_e32 v[2:3], s[22:23]
	v_cmp_gt_u32_e32 vcc, s5, v36
	scratch_store_dwordx4 off, v[0:3], off offset:32
	scratch_store_dwordx4 off, v[0:3], off offset:16
	scratch_store_dwordx4 off, v[0:3], off
	s_and_saveexec_b64 s[6:7], vcc
	s_cbranch_execz .LBB189_4
; %bb.1:
	s_load_dwordx4 s[20:23], s[0:1], 0x0
	s_mul_i32 s17, s4, s17
	s_mul_i32 s24, s17, 36
	;; [unrolled: 1-line block ×3, first 2 shown]
	s_mul_hi_u32 s19, s17, 36
	s_waitcnt lgkmcnt(0)
	s_add_u32 s24, s22, s24
	s_addc_u32 s19, s23, s19
	s_mul_i32 s28, s13, 36
	s_mul_hi_u32 s29, s13, 36
	s_add_u32 s24, s24, s28
	s_mul_hi_u32 s11, s11, s3
	s_addc_u32 s25, s19, s29
	s_add_i32 s11, s3, s11
	s_lshr_b32 s11, s11, s27
	s_mul_i32 s11, s11, s12
	s_mul_hi_u32 s12, s15, s4
	s_add_i32 s12, s4, s12
	s_lshr_b32 s12, s12, s26
	s_mul_i32 s12, s12, s16
	s_mul_i32 s13, s2, s8
	s_add_i32 s12, s12, s11
	s_add_i32 s11, s12, s13
	;; [unrolled: 1-line block ×3, first 2 shown]
	s_mul_i32 s8, s8, s13
	v_lshl_add_u32 v1, v21, 6, v20
	s_add_i32 s8, s12, s8
	v_lshrrev_b32_e32 v1, 3, v1
	s_movk_i32 s12, 0x120
	v_mov_b64_e32 v[2:3], s[28:29]
	v_mad_u64_u32 v[2:3], s[12:13], v1, s12, v[2:3]
	v_and_b32_e32 v22, 7, v20
	v_mad_u64_u32 v[2:3], s[12:13], s17, 36, v[2:3]
	v_mad_u64_u32 v[2:3], s[12:13], v22, 36, v[2:3]
	v_lshlrev_b32_e32 v0, 1, v22
	v_mov_b32_e32 v23, 0
	v_lshl_add_u64 v[2:3], v[2:3], 0, s[22:23]
	v_lshlrev_b32_e32 v37, 3, v36
	s_mul_i32 s15, s9, 5
	s_lshl_b32 s19, s9, 2
	s_mul_i32 s26, s9, 3
	s_lshl_b32 s27, s9, 1
	v_lshl_add_u64 v[24:25], v[2:3], 0, 16
	s_mov_b64 s[12:13], 0
	s_movk_i32 s22, 0x52
	v_mov_b64_e32 v[26:27], s[20:21]
	v_lshlrev_b32_e32 v28, 1, v0
	v_mov_b32_e32 v29, v23
	s_movk_i32 s23, 0x300
	s_movk_i32 s28, 0xff00
	s_mov_b64 s[16:17], 0x900
	v_mov_b32_e32 v38, 5
	v_mov_b32_e32 v39, 1
	;; [unrolled: 1-line block ×15, first 2 shown]
.LBB189_2:                              ; =>This Inner Loop Header: Depth=1
	v_add_u32_e32 v30, s11, v36
	v_mad_i64_i32 v[32:33], s[20:21], v30, s22, v[26:27]
	v_lshl_add_u64 v[34:35], v[32:33], 0, v[28:29]
	global_load_dword v56, v[24:25], off offset:16
	global_load_dwordx4 v[12:15], v[24:25], off
	global_load_dwordx4 v[16:19], v[24:25], off offset:-16
	global_load_dword v45, v[34:35], off offset:2
	v_lshl_add_u64 v[30:31], v[32:33], 0, v[22:23]
	global_load_ubyte v48, v[30:31], off offset:66
	global_load_dword v49, v[34:35], off offset:34
	s_getpc_b64 s[20:21]
	s_add_u32 s20, s20, _ZL9iq2s_grid@rel32@lo+4
	s_addc_u32 s21, s21, _ZL9iq2s_grid@rel32@hi+12
	v_lshl_add_u64 v[24:25], v[24:25], 0, s[16:17]
	s_waitcnt vmcnt(3)
	v_cvt_f32_f16_e32 v16, v16
	s_waitcnt vmcnt(2)
	v_and_b32_e32 v34, 0xff, v45
	s_waitcnt vmcnt(1)
	v_lshlrev_b32_e32 v35, 8, v48
	v_and_or_b32 v34, v35, s23, v34
	s_waitcnt vmcnt(0)
	v_lshlrev_b32_sdwa v35, v38, v49 dst_sel:DWORD dst_unused:UNUSED_PAD src0_sel:DWORD src1_sel:BYTE_0
	v_lshrrev_b16_e32 v35, 7, v35
	v_bfe_i32 v44, v35, 0, 1
	v_bfe_u32 v35, v49, 3, 1
	v_bfe_u32 v42, v49, 1, 7
	v_cmp_ne_u16_e32 vcc, 0, v35
	v_and_b32_e32 v41, 1, v49
	v_bfe_i32 v42, v42, 0, 1
	v_cndmask_b32_e64 v35, 0, -1, vcc
	v_sub_u16_e32 v41, 0, v41
	v_lshlrev_b16_e32 v42, 8, v42
	v_lshlrev_b16_e32 v52, 8, v35
	v_or_b32_sdwa v46, v41, v42 dst_sel:DWORD dst_unused:UNUSED_PAD src0_sel:BYTE_0 src1_sel:DWORD
	v_or_b32_sdwa v35, v44, v52 dst_sel:WORD_1 dst_unused:UNUSED_PAD src0_sel:BYTE_0 src1_sel:DWORD
	v_bfe_u32 v54, v49, 5, 3
	v_or_b32_sdwa v46, v46, v35 dst_sel:DWORD dst_unused:UNUSED_PAD src0_sel:WORD_0 src1_sel:DWORD
	v_lshlrev_b32_sdwa v35, v39, v49 dst_sel:DWORD dst_unused:UNUSED_PAD src0_sel:DWORD src1_sel:BYTE_0
	v_lshrrev_b16_e32 v35, 7, v35
	v_bfe_i32 v55, v35, 0, 1
	v_bfe_u32 v35, v49, 7, 1
	v_cmp_ne_u16_e32 vcc, 0, v35
	v_bfe_i32 v54, v54, 0, 1
	v_bfe_i32 v53, v49, 4, 1
	v_cndmask_b32_e64 v35, 0, -1, vcc
	v_lshlrev_b16_e32 v54, 8, v54
	v_lshlrev_b16_e32 v58, 8, v35
	v_lshlrev_b32_e32 v34, 3, v34
	v_or_b32_sdwa v57, v53, v54 dst_sel:DWORD dst_unused:UNUSED_PAD src0_sel:BYTE_0 src1_sel:DWORD
	v_or_b32_sdwa v35, v55, v58 dst_sel:WORD_1 dst_unused:UNUSED_PAD src0_sel:BYTE_0 src1_sel:DWORD
	v_lshlrev_b16_e32 v41, 8, v41
	v_or_b32_sdwa v57, v57, v35 dst_sel:DWORD dst_unused:UNUSED_PAD src0_sel:WORD_0 src1_sel:DWORD
	global_load_dwordx2 v[34:35], v34, s[20:21]
	v_lshlrev_b16_e32 v44, 8, v44
	v_lshrrev_b16_e32 v43, 8, v45
	v_lshrrev_b32_e32 v50, 16, v49
	v_lshrrev_b32_e32 v47, 24, v45
	;; [unrolled: 1-line block ×3, first 2 shown]
	s_waitcnt vmcnt(0)
	v_xor_b32_e32 v34, v34, v46
	v_and_b32_e32 v46, 0xffffff00, v34
	v_sub_i16 v42, v46, v42 clamp
	v_lshlrev_b16_e32 v46, 8, v34
	v_and_b32_e32 v42, 0xffffff00, v42
	v_sub_i16 v41, v46, v41 clamp
	v_or_b32_sdwa v41, v41, v42 dst_sel:DWORD dst_unused:UNUSED_PAD src0_sel:BYTE_1 src1_sel:DWORD
	v_and_b32_sdwa v42, v34, s28 dst_sel:DWORD dst_unused:UNUSED_PAD src0_sel:WORD_1 src1_sel:DWORD
	v_sub_i16 v42, v42, v52 clamp
	v_lshlrev_b16_sdwa v34, v40, v34 dst_sel:DWORD dst_unused:UNUSED_PAD src0_sel:DWORD src1_sel:WORD_1
	v_and_b32_e32 v42, 0xffffff00, v42
	v_sub_i16 v34, v34, v44 clamp
	v_or_b32_sdwa v34, v34, v42 dst_sel:WORD_1 dst_unused:UNUSED_PAD src0_sel:BYTE_1 src1_sel:DWORD
	v_lshlrev_b16_e32 v44, 8, v53
	v_or_b32_sdwa v41, v41, v34 dst_sel:DWORD dst_unused:UNUSED_PAD src0_sel:WORD_0 src1_sel:DWORD
	v_xor_b32_e32 v34, v35, v57
	v_and_b32_e32 v35, 0xffffff00, v34
	v_sub_i16 v35, v35, v54 clamp
	v_lshlrev_b16_e32 v42, 8, v34
	v_and_b32_e32 v35, 0xffffff00, v35
	v_sub_i16 v42, v42, v44 clamp
	v_or_b32_sdwa v35, v42, v35 dst_sel:DWORD dst_unused:UNUSED_PAD src0_sel:BYTE_1 src1_sel:DWORD
	v_and_b32_sdwa v42, v34, s28 dst_sel:DWORD dst_unused:UNUSED_PAD src0_sel:WORD_1 src1_sel:DWORD
	v_sub_i16 v42, v42, v58 clamp
	v_lshlrev_b16_sdwa v34, v40, v34 dst_sel:DWORD dst_unused:UNUSED_PAD src0_sel:DWORD src1_sel:WORD_1
	v_lshlrev_b16_e32 v44, 8, v55
	v_and_b32_e32 v42, 0xffffff00, v42
	v_sub_i16 v34, v34, v44 clamp
	v_or_b32_sdwa v34, v34, v42 dst_sel:WORD_1 dst_unused:UNUSED_PAD src0_sel:BYTE_1 src1_sel:DWORD
	v_lshlrev_b16_e32 v44, 7, v49
	v_or_b32_sdwa v42, v35, v34 dst_sel:DWORD dst_unused:UNUSED_PAD src0_sel:WORD_0 src1_sel:DWORD
	v_lshrrev_b16_e32 v35, 8, v49
	v_lshlrev_b32_e32 v34, 6, v48
	v_bfe_u32 v52, v35, 3, 1
	v_and_or_b32 v34, v34, s23, v43
	v_lshlrev_b32_e32 v43, 5, v35
	v_lshrrev_b32_e32 v46, 1, v35
	v_cmp_ne_u16_e32 vcc, 0, v52
	v_bfe_i32 v46, v46, 0, 1
	v_lshrrev_b16_e32 v43, 7, v43
	v_cndmask_b32_e64 v52, 0, -1, vcc
	v_ashrrev_i16_e32 v44, 15, v44
	v_bfe_i32 v43, v43, 0, 1
	v_lshlrev_b16_e32 v46, 8, v46
	v_lshlrev_b16_e32 v52, 8, v52
	v_or_b32_sdwa v54, v44, v46 dst_sel:DWORD dst_unused:UNUSED_PAD src0_sel:BYTE_0 src1_sel:DWORD
	v_or_b32_sdwa v55, v43, v52 dst_sel:WORD_1 dst_unused:UNUSED_PAD src0_sel:BYTE_0 src1_sel:DWORD
	v_bfe_i32 v57, v35, 4, 1
	v_or_b32_sdwa v54, v54, v55 dst_sel:DWORD dst_unused:UNUSED_PAD src0_sel:WORD_0 src1_sel:DWORD
	v_lshlrev_b32_e32 v55, 1, v35
	v_lshrrev_b32_e32 v58, 5, v35
	v_lshrrev_b32_e32 v35, 7, v35
	v_cmp_ne_u16_e32 vcc, 0, v35
	v_bfe_i32 v58, v58, 0, 1
	v_lshrrev_b16_e32 v55, 7, v55
	v_cndmask_b32_e64 v35, 0, -1, vcc
	v_bfe_i32 v55, v55, 0, 1
	v_lshlrev_b16_e32 v58, 8, v58
	v_lshlrev_b16_e32 v60, 8, v35
	v_lshlrev_b32_e32 v34, 3, v34
	v_or_b32_sdwa v59, v57, v58 dst_sel:DWORD dst_unused:UNUSED_PAD src0_sel:BYTE_0 src1_sel:DWORD
	v_or_b32_sdwa v35, v55, v60 dst_sel:WORD_1 dst_unused:UNUSED_PAD src0_sel:BYTE_0 src1_sel:DWORD
	v_lshlrev_b16_e32 v44, 8, v44
	v_or_b32_sdwa v59, v59, v35 dst_sel:DWORD dst_unused:UNUSED_PAD src0_sel:WORD_0 src1_sel:DWORD
	global_load_dwordx2 v[34:35], v34, s[20:21]
	v_lshlrev_b16_e32 v43, 8, v43
	v_mov_b32_e32 v53, 0
	v_dot4c_i32_i8_e32 v53, v41, v17
	v_dot4c_i32_i8_e32 v53, v42, v18
	s_waitcnt vmcnt(0)
	v_xor_b32_e32 v34, v34, v54
	v_and_b32_e32 v54, 0xffffff00, v34
	v_sub_i16 v46, v54, v46 clamp
	v_lshlrev_b16_e32 v54, 8, v34
	v_and_b32_e32 v46, 0xffffff00, v46
	v_sub_i16 v44, v54, v44 clamp
	v_or_b32_sdwa v44, v44, v46 dst_sel:DWORD dst_unused:UNUSED_PAD src0_sel:BYTE_1 src1_sel:DWORD
	v_and_b32_sdwa v46, v34, s28 dst_sel:DWORD dst_unused:UNUSED_PAD src0_sel:WORD_1 src1_sel:DWORD
	v_sub_i16 v46, v46, v52 clamp
	v_lshlrev_b16_sdwa v34, v40, v34 dst_sel:DWORD dst_unused:UNUSED_PAD src0_sel:DWORD src1_sel:WORD_1
	v_and_b32_e32 v46, 0xffffff00, v46
	v_sub_i16 v34, v34, v43 clamp
	v_or_b32_sdwa v34, v34, v46 dst_sel:WORD_1 dst_unused:UNUSED_PAD src0_sel:BYTE_1 src1_sel:DWORD
	v_lshlrev_b16_e32 v46, 8, v57
	v_or_b32_sdwa v43, v44, v34 dst_sel:DWORD dst_unused:UNUSED_PAD src0_sel:WORD_0 src1_sel:DWORD
	v_xor_b32_e32 v34, v35, v59
	v_and_b32_e32 v35, 0xffffff00, v34
	v_sub_i16 v35, v35, v58 clamp
	v_lshlrev_b16_e32 v44, 8, v34
	v_and_b32_e32 v35, 0xffffff00, v35
	v_sub_i16 v44, v44, v46 clamp
	v_or_b32_sdwa v35, v44, v35 dst_sel:DWORD dst_unused:UNUSED_PAD src0_sel:BYTE_1 src1_sel:DWORD
	v_and_b32_sdwa v44, v34, s28 dst_sel:DWORD dst_unused:UNUSED_PAD src0_sel:WORD_1 src1_sel:DWORD
	v_sub_i16 v44, v44, v60 clamp
	v_lshlrev_b16_sdwa v34, v40, v34 dst_sel:DWORD dst_unused:UNUSED_PAD src0_sel:DWORD src1_sel:WORD_1
	v_lshlrev_b16_e32 v46, 8, v55
	v_and_b32_e32 v44, 0xffffff00, v44
	v_sub_i16 v34, v34, v46 clamp
	v_or_b32_sdwa v34, v34, v44 dst_sel:WORD_1 dst_unused:UNUSED_PAD src0_sel:BYTE_1 src1_sel:DWORD
	v_bfe_u32 v46, v50, 1, 7
	v_or_b32_sdwa v44, v35, v34 dst_sel:DWORD dst_unused:UNUSED_PAD src0_sel:WORD_0 src1_sel:DWORD
	v_bfe_u32 v34, v45, 16, 8
	v_lshlrev_b32_e32 v35, 4, v48
	v_and_or_b32 v34, v35, s23, v34
	v_lshlrev_b32_sdwa v35, v38, v49 dst_sel:DWORD dst_unused:UNUSED_PAD src0_sel:DWORD src1_sel:BYTE_2
	v_lshrrev_b16_e32 v35, 7, v35
	v_bfe_i32 v52, v35, 0, 1
	v_bfe_u32 v35, v49, 19, 1
	v_cmp_ne_u16_e32 vcc, 0, v35
	v_and_b32_e32 v45, 1, v50
	v_bfe_i32 v46, v46, 0, 1
	v_cndmask_b32_e64 v35, 0, -1, vcc
	v_sub_u16_e32 v45, 0, v45
	v_lshlrev_b16_e32 v46, 8, v46
	v_lshlrev_b16_e32 v55, 8, v35
	v_or_b32_sdwa v54, v45, v46 dst_sel:DWORD dst_unused:UNUSED_PAD src0_sel:BYTE_0 src1_sel:DWORD
	v_or_b32_sdwa v35, v52, v55 dst_sel:WORD_1 dst_unused:UNUSED_PAD src0_sel:BYTE_0 src1_sel:DWORD
	v_bfe_u32 v58, v50, 5, 3
	v_or_b32_sdwa v54, v54, v35 dst_sel:DWORD dst_unused:UNUSED_PAD src0_sel:WORD_0 src1_sel:DWORD
	v_lshlrev_b32_sdwa v35, v39, v49 dst_sel:DWORD dst_unused:UNUSED_PAD src0_sel:DWORD src1_sel:BYTE_2
	v_lshrrev_b16_e32 v35, 7, v35
	v_bfe_i32 v59, v35, 0, 1
	v_bfe_u32 v35, v50, 7, 1
	v_cmp_ne_u16_e32 vcc, 0, v35
	v_bfe_i32 v58, v58, 0, 1
	v_bfe_i32 v57, v49, 20, 1
	v_cndmask_b32_e64 v35, 0, -1, vcc
	v_lshlrev_b16_e32 v58, 8, v58
	v_lshlrev_b16_e32 v61, 8, v35
	v_lshlrev_b32_e32 v34, 3, v34
	v_or_b32_sdwa v60, v57, v58 dst_sel:DWORD dst_unused:UNUSED_PAD src0_sel:BYTE_0 src1_sel:DWORD
	v_or_b32_sdwa v35, v59, v61 dst_sel:WORD_1 dst_unused:UNUSED_PAD src0_sel:BYTE_0 src1_sel:DWORD
	v_lshlrev_b16_e32 v45, 8, v45
	v_or_b32_sdwa v60, v60, v35 dst_sel:DWORD dst_unused:UNUSED_PAD src0_sel:WORD_0 src1_sel:DWORD
	global_load_dwordx2 v[34:35], v34, s[20:21]
	v_lshlrev_b16_e32 v52, 8, v52
	v_dot4c_i32_i8_e32 v53, v43, v19
	v_dot4c_i32_i8_e32 v53, v44, v12
	s_waitcnt vmcnt(0)
	v_xor_b32_e32 v34, v34, v54
	v_and_b32_e32 v54, 0xffffff00, v34
	v_sub_i16 v46, v54, v46 clamp
	v_lshlrev_b16_e32 v54, 8, v34
	v_and_b32_e32 v46, 0xffffff00, v46
	v_sub_i16 v45, v54, v45 clamp
	v_or_b32_sdwa v45, v45, v46 dst_sel:DWORD dst_unused:UNUSED_PAD src0_sel:BYTE_1 src1_sel:DWORD
	v_and_b32_sdwa v46, v34, s28 dst_sel:DWORD dst_unused:UNUSED_PAD src0_sel:WORD_1 src1_sel:DWORD
	v_sub_i16 v46, v46, v55 clamp
	v_lshlrev_b16_sdwa v34, v40, v34 dst_sel:DWORD dst_unused:UNUSED_PAD src0_sel:DWORD src1_sel:WORD_1
	v_and_b32_e32 v46, 0xffffff00, v46
	v_sub_i16 v34, v34, v52 clamp
	v_or_b32_sdwa v34, v34, v46 dst_sel:WORD_1 dst_unused:UNUSED_PAD src0_sel:BYTE_1 src1_sel:DWORD
	v_lshlrev_b16_e32 v52, 8, v57
	v_or_b32_sdwa v45, v45, v34 dst_sel:DWORD dst_unused:UNUSED_PAD src0_sel:WORD_0 src1_sel:DWORD
	v_xor_b32_e32 v34, v35, v60
	v_and_b32_e32 v35, 0xffffff00, v34
	v_sub_i16 v35, v35, v58 clamp
	v_lshlrev_b16_e32 v46, 8, v34
	v_and_b32_e32 v35, 0xffffff00, v35
	v_sub_i16 v46, v46, v52 clamp
	v_or_b32_sdwa v35, v46, v35 dst_sel:DWORD dst_unused:UNUSED_PAD src0_sel:BYTE_1 src1_sel:DWORD
	v_and_b32_sdwa v46, v34, s28 dst_sel:DWORD dst_unused:UNUSED_PAD src0_sel:WORD_1 src1_sel:DWORD
	v_sub_i16 v46, v46, v61 clamp
	v_lshlrev_b16_sdwa v34, v40, v34 dst_sel:DWORD dst_unused:UNUSED_PAD src0_sel:DWORD src1_sel:WORD_1
	v_lshlrev_b16_e32 v52, 8, v59
	v_and_b32_e32 v46, 0xffffff00, v46
	v_sub_i16 v34, v34, v52 clamp
	v_or_b32_sdwa v34, v34, v46 dst_sel:WORD_1 dst_unused:UNUSED_PAD src0_sel:BYTE_1 src1_sel:DWORD
	v_lshrrev_b32_e32 v57, 29, v49
	v_or_b32_sdwa v46, v35, v34 dst_sel:DWORD dst_unused:UNUSED_PAD src0_sel:WORD_0 src1_sel:DWORD
	v_lshlrev_b32_e32 v35, 5, v51
	v_lshlrev_b32_e32 v34, 2, v48
	v_lshrrev_b16_e32 v35, 7, v35
	v_and_or_b32 v34, v34, s23, v47
	v_lshlrev_b16_e32 v47, 7, v50
	v_bfe_i32 v50, v35, 0, 1
	v_bfe_u32 v35, v49, 27, 1
	v_lshrrev_b32_e32 v48, 25, v49
	v_cmp_ne_u16_e32 vcc, 0, v35
	v_bfe_i32 v48, v48, 0, 1
	v_ashrrev_i16_e32 v47, 15, v47
	v_cndmask_b32_e64 v35, 0, -1, vcc
	v_lshlrev_b16_e32 v48, 8, v48
	v_lshlrev_b16_e32 v55, 8, v35
	v_or_b32_sdwa v52, v47, v48 dst_sel:DWORD dst_unused:UNUSED_PAD src0_sel:BYTE_0 src1_sel:DWORD
	v_or_b32_sdwa v35, v50, v55 dst_sel:WORD_1 dst_unused:UNUSED_PAD src0_sel:BYTE_0 src1_sel:DWORD
	v_bfe_i32 v57, v57, 0, 1
	v_or_b32_sdwa v52, v52, v35 dst_sel:DWORD dst_unused:UNUSED_PAD src0_sel:WORD_0 src1_sel:DWORD
	v_lshlrev_b32_e32 v35, 1, v51
	v_lshrrev_b16_e32 v35, 7, v35
	v_bfe_i32 v58, v35, 0, 1
	v_lshrrev_b32_e32 v35, 31, v49
	v_cmp_ne_u16_e32 vcc, 0, v35
	v_bfe_i32 v51, v51, 4, 1
	v_lshlrev_b16_e32 v49, 8, v57
	v_cndmask_b32_e64 v35, 0, -1, vcc
	v_lshlrev_b16_e32 v59, 8, v35
	v_lshlrev_b32_e32 v34, 3, v34
	v_or_b32_sdwa v57, v51, v49 dst_sel:DWORD dst_unused:UNUSED_PAD src0_sel:BYTE_0 src1_sel:DWORD
	v_or_b32_sdwa v35, v58, v59 dst_sel:WORD_1 dst_unused:UNUSED_PAD src0_sel:BYTE_0 src1_sel:DWORD
	v_lshlrev_b16_e32 v47, 8, v47
	v_or_b32_sdwa v57, v57, v35 dst_sel:DWORD dst_unused:UNUSED_PAD src0_sel:WORD_0 src1_sel:DWORD
	global_load_dwordx2 v[34:35], v34, s[20:21]
	v_lshlrev_b16_e32 v50, 8, v50
	v_mov_b32_e32 v54, 0
	v_dot4c_i32_i8_e32 v54, v45, v13
	v_dot4c_i32_i8_e32 v54, v46, v14
	s_waitcnt vmcnt(0)
	v_xor_b32_e32 v34, v34, v52
	v_and_b32_e32 v52, 0xffffff00, v34
	v_sub_i16 v48, v52, v48 clamp
	v_lshlrev_b16_e32 v52, 8, v34
	v_and_b32_e32 v48, 0xffffff00, v48
	v_sub_i16 v47, v52, v47 clamp
	v_or_b32_sdwa v47, v47, v48 dst_sel:DWORD dst_unused:UNUSED_PAD src0_sel:BYTE_1 src1_sel:DWORD
	v_and_b32_sdwa v48, v34, s28 dst_sel:DWORD dst_unused:UNUSED_PAD src0_sel:WORD_1 src1_sel:DWORD
	v_sub_i16 v48, v48, v55 clamp
	v_lshlrev_b16_sdwa v34, v40, v34 dst_sel:DWORD dst_unused:UNUSED_PAD src0_sel:DWORD src1_sel:WORD_1
	v_and_b32_e32 v48, 0xffffff00, v48
	v_sub_i16 v34, v34, v50 clamp
	v_or_b32_sdwa v34, v34, v48 dst_sel:WORD_1 dst_unused:UNUSED_PAD src0_sel:BYTE_1 src1_sel:DWORD
	global_load_ushort v55, v[32:33], off
	v_or_b32_sdwa v47, v47, v34 dst_sel:DWORD dst_unused:UNUSED_PAD src0_sel:WORD_0 src1_sel:DWORD
	v_xor_b32_e32 v34, v35, v57
	v_and_b32_e32 v35, 0xffffff00, v34
	v_sub_i16 v35, v35, v49 clamp
	v_lshlrev_b16_e32 v48, 8, v34
	v_lshlrev_b16_e32 v49, 8, v51
	v_and_b32_e32 v35, 0xffffff00, v35
	v_sub_i16 v48, v48, v49 clamp
	v_or_b32_sdwa v35, v48, v35 dst_sel:DWORD dst_unused:UNUSED_PAD src0_sel:BYTE_1 src1_sel:DWORD
	v_and_b32_sdwa v48, v34, s28 dst_sel:DWORD dst_unused:UNUSED_PAD src0_sel:WORD_1 src1_sel:DWORD
	v_sub_i16 v48, v48, v59 clamp
	v_lshlrev_b16_sdwa v34, v40, v34 dst_sel:DWORD dst_unused:UNUSED_PAD src0_sel:DWORD src1_sel:WORD_1
	v_lshlrev_b16_e32 v49, 8, v58
	v_add_u32_e32 v32, s8, v36
	v_and_b32_e32 v48, 0xffffff00, v48
	v_sub_i16 v34, v34, v49 clamp
	v_mad_i64_i32 v[32:33], s[30:31], v32, s22, v[26:27]
	v_or_b32_sdwa v34, v34, v48 dst_sel:WORD_1 dst_unused:UNUSED_PAD src0_sel:BYTE_1 src1_sel:DWORD
	v_lshl_add_u64 v[50:51], v[32:33], 0, v[28:29]
	v_or_b32_sdwa v48, v35, v34 dst_sel:DWORD dst_unused:UNUSED_PAD src0_sel:WORD_0 src1_sel:DWORD
	global_load_dword v52, v[50:51], off offset:2
	v_lshl_add_u64 v[34:35], v[32:33], 0, v[22:23]
	global_load_ubyte v61, v[34:35], off offset:66
	global_load_dword v62, v[50:51], off offset:34
	v_dot4c_i32_i8_e32 v54, v47, v15
	v_dot4c_i32_i8_e32 v54, v48, v56
	v_add_u32_e32 v36, 8, v36
	s_waitcnt vmcnt(2)
	v_and_b32_e32 v49, 0xff, v52
	s_waitcnt vmcnt(1)
	v_lshlrev_b32_e32 v50, 8, v61
	v_and_or_b32 v49, v50, s23, v49
	s_waitcnt vmcnt(0)
	v_lshlrev_b32_sdwa v50, v38, v62 dst_sel:DWORD dst_unused:UNUSED_PAD src0_sel:DWORD src1_sel:BYTE_0
	v_lshrrev_b16_e32 v50, 7, v50
	v_and_b32_e32 v51, 1, v62
	v_bfe_i32 v59, v50, 0, 1
	v_bfe_u32 v50, v62, 3, 1
	v_sub_u16_e32 v57, 0, v51
	v_bfe_u32 v51, v62, 1, 7
	v_cmp_ne_u16_e32 vcc, 0, v50
	v_bfe_i32 v51, v51, 0, 1
	v_lshlrev_b16_e32 v65, 8, v51
	v_cndmask_b32_e64 v50, 0, -1, vcc
	v_lshlrev_b16_e32 v66, 8, v50
	v_or_b32_sdwa v51, v57, v65 dst_sel:DWORD dst_unused:UNUSED_PAD src0_sel:BYTE_0 src1_sel:DWORD
	v_or_b32_sdwa v50, v59, v66 dst_sel:WORD_1 dst_unused:UNUSED_PAD src0_sel:BYTE_0 src1_sel:DWORD
	v_bfe_i32 v68, v62, 4, 1
	v_or_b32_sdwa v67, v51, v50 dst_sel:DWORD dst_unused:UNUSED_PAD src0_sel:WORD_0 src1_sel:DWORD
	v_lshlrev_b32_sdwa v50, v39, v62 dst_sel:DWORD dst_unused:UNUSED_PAD src0_sel:DWORD src1_sel:BYTE_0
	v_lshrrev_b16_e32 v50, 7, v50
	v_bfe_i32 v69, v50, 0, 1
	v_bfe_u32 v50, v62, 7, 1
	v_bfe_u32 v51, v62, 5, 3
	v_cmp_ne_u16_e32 vcc, 0, v50
	v_bfe_i32 v51, v51, 0, 1
	v_lshlrev_b16_e32 v70, 8, v51
	v_cndmask_b32_e64 v50, 0, -1, vcc
	v_lshlrev_b16_e32 v71, 8, v50
	v_lshlrev_b32_e32 v49, 3, v49
	v_or_b32_sdwa v51, v68, v70 dst_sel:DWORD dst_unused:UNUSED_PAD src0_sel:BYTE_0 src1_sel:DWORD
	v_or_b32_sdwa v50, v69, v71 dst_sel:WORD_1 dst_unused:UNUSED_PAD src0_sel:BYTE_0 src1_sel:DWORD
	v_lshlrev_b16_e32 v57, 8, v57
	v_or_b32_sdwa v72, v51, v50 dst_sel:DWORD dst_unused:UNUSED_PAD src0_sel:WORD_0 src1_sel:DWORD
	global_load_dwordx2 v[50:51], v49, s[20:21]
	v_lshlrev_b16_e32 v59, 8, v59
	v_lshrrev_b16_e32 v58, 8, v52
	v_lshrrev_b32_e32 v63, 16, v62
	v_lshrrev_b32_e32 v60, 24, v52
	;; [unrolled: 1-line block ×3, first 2 shown]
	s_waitcnt vmcnt(0)
	v_xor_b32_e32 v49, v50, v67
	v_and_b32_e32 v50, 0xffffff00, v49
	v_sub_i16 v50, v50, v65 clamp
	v_lshlrev_b16_e32 v65, 8, v49
	v_and_b32_e32 v50, 0xffffff00, v50
	v_sub_i16 v57, v65, v57 clamp
	v_or_b32_sdwa v50, v57, v50 dst_sel:DWORD dst_unused:UNUSED_PAD src0_sel:BYTE_1 src1_sel:DWORD
	v_and_b32_sdwa v57, v49, s28 dst_sel:DWORD dst_unused:UNUSED_PAD src0_sel:WORD_1 src1_sel:DWORD
	v_sub_i16 v57, v57, v66 clamp
	v_lshlrev_b16_sdwa v49, v40, v49 dst_sel:DWORD dst_unused:UNUSED_PAD src0_sel:DWORD src1_sel:WORD_1
	v_and_b32_e32 v57, 0xffffff00, v57
	v_sub_i16 v49, v49, v59 clamp
	v_or_b32_sdwa v49, v49, v57 dst_sel:WORD_1 dst_unused:UNUSED_PAD src0_sel:BYTE_1 src1_sel:DWORD
	v_lshlrev_b16_e32 v59, 8, v68
	v_or_b32_sdwa v49, v50, v49 dst_sel:DWORD dst_unused:UNUSED_PAD src0_sel:WORD_0 src1_sel:DWORD
	v_xor_b32_e32 v50, v51, v72
	v_and_b32_e32 v51, 0xffffff00, v50
	v_sub_i16 v51, v51, v70 clamp
	v_lshlrev_b16_e32 v57, 8, v50
	v_and_b32_e32 v51, 0xffffff00, v51
	v_sub_i16 v57, v57, v59 clamp
	v_or_b32_sdwa v51, v57, v51 dst_sel:DWORD dst_unused:UNUSED_PAD src0_sel:BYTE_1 src1_sel:DWORD
	v_and_b32_sdwa v57, v50, s28 dst_sel:DWORD dst_unused:UNUSED_PAD src0_sel:WORD_1 src1_sel:DWORD
	v_sub_i16 v57, v57, v71 clamp
	v_lshlrev_b16_sdwa v50, v40, v50 dst_sel:DWORD dst_unused:UNUSED_PAD src0_sel:DWORD src1_sel:WORD_1
	v_lshlrev_b16_e32 v59, 8, v69
	v_and_b32_e32 v57, 0xffffff00, v57
	v_sub_i16 v50, v50, v59 clamp
	v_or_b32_sdwa v50, v50, v57 dst_sel:WORD_1 dst_unused:UNUSED_PAD src0_sel:BYTE_1 src1_sel:DWORD
	v_mov_b32_e32 v57, 0
	v_or_b32_sdwa v50, v51, v50 dst_sel:DWORD dst_unused:UNUSED_PAD src0_sel:WORD_0 src1_sel:DWORD
	v_dot4c_i32_i8_e32 v57, v49, v17
	v_dot4c_i32_i8_e32 v57, v50, v18
	v_lshlrev_b32_e32 v17, 6, v61
	v_lshrrev_b16_e32 v18, 8, v62
	v_and_or_b32 v17, v17, s23, v58
	v_lshlrev_b16_e32 v58, 7, v62
	v_bfe_u32 v59, v18, 3, 1
	v_lshlrev_b32_e32 v51, 5, v18
	v_ashrrev_i16_e32 v65, 15, v58
	v_lshrrev_b32_e32 v58, 1, v18
	v_cmp_ne_u16_e32 vcc, 0, v59
	v_bfe_i32 v58, v58, 0, 1
	v_lshrrev_b16_e32 v51, 7, v51
	v_cndmask_b32_e64 v59, 0, -1, vcc
	v_bfe_i32 v51, v51, 0, 1
	v_lshlrev_b16_e32 v66, 8, v58
	v_lshlrev_b16_e32 v67, 8, v59
	v_or_b32_sdwa v58, v65, v66 dst_sel:DWORD dst_unused:UNUSED_PAD src0_sel:BYTE_0 src1_sel:DWORD
	v_or_b32_sdwa v59, v51, v67 dst_sel:WORD_1 dst_unused:UNUSED_PAD src0_sel:BYTE_0 src1_sel:DWORD
	v_bfe_i32 v69, v18, 4, 1
	v_or_b32_sdwa v68, v58, v59 dst_sel:DWORD dst_unused:UNUSED_PAD src0_sel:WORD_0 src1_sel:DWORD
	v_lshlrev_b32_e32 v58, 1, v18
	v_lshrrev_b32_e32 v59, 5, v18
	v_lshrrev_b32_e32 v18, 7, v18
	v_cmp_ne_u16_e32 vcc, 0, v18
	v_bfe_i32 v59, v59, 0, 1
	v_lshrrev_b16_e32 v58, 7, v58
	v_cndmask_b32_e64 v18, 0, -1, vcc
	v_bfe_i32 v70, v58, 0, 1
	v_lshlrev_b16_e32 v71, 8, v59
	v_lshlrev_b16_e32 v18, 8, v18
	v_lshlrev_b32_e32 v17, 3, v17
	v_or_b32_sdwa v58, v69, v71 dst_sel:DWORD dst_unused:UNUSED_PAD src0_sel:BYTE_0 src1_sel:DWORD
	v_or_b32_sdwa v59, v70, v18 dst_sel:WORD_1 dst_unused:UNUSED_PAD src0_sel:BYTE_0 src1_sel:DWORD
	v_lshlrev_b16_e32 v65, 8, v65
	v_or_b32_sdwa v72, v58, v59 dst_sel:DWORD dst_unused:UNUSED_PAD src0_sel:WORD_0 src1_sel:DWORD
	global_load_dwordx2 v[58:59], v17, s[20:21]
	v_lshlrev_b16_e32 v51, 8, v51
	s_waitcnt vmcnt(0)
	v_xor_b32_e32 v17, v58, v68
	v_and_b32_e32 v58, 0xffffff00, v17
	v_sub_i16 v58, v58, v66 clamp
	v_lshlrev_b16_e32 v66, 8, v17
	v_and_b32_e32 v58, 0xffffff00, v58
	v_sub_i16 v65, v66, v65 clamp
	v_or_b32_sdwa v58, v65, v58 dst_sel:DWORD dst_unused:UNUSED_PAD src0_sel:BYTE_1 src1_sel:DWORD
	v_and_b32_sdwa v65, v17, s28 dst_sel:DWORD dst_unused:UNUSED_PAD src0_sel:WORD_1 src1_sel:DWORD
	v_sub_i16 v65, v65, v67 clamp
	v_lshlrev_b16_sdwa v17, v40, v17 dst_sel:DWORD dst_unused:UNUSED_PAD src0_sel:DWORD src1_sel:WORD_1
	v_and_b32_e32 v65, 0xffffff00, v65
	v_sub_i16 v17, v17, v51 clamp
	v_or_b32_sdwa v17, v17, v65 dst_sel:WORD_1 dst_unused:UNUSED_PAD src0_sel:BYTE_1 src1_sel:DWORD
	v_xor_b32_e32 v51, v59, v72
	v_or_b32_sdwa v17, v58, v17 dst_sel:DWORD dst_unused:UNUSED_PAD src0_sel:WORD_0 src1_sel:DWORD
	v_and_b32_e32 v58, 0xffffff00, v51
	v_sub_i16 v58, v58, v71 clamp
	v_lshlrev_b16_e32 v59, 8, v51
	v_lshlrev_b16_e32 v65, 8, v69
	v_and_b32_e32 v58, 0xffffff00, v58
	v_sub_i16 v59, v59, v65 clamp
	v_or_b32_sdwa v58, v59, v58 dst_sel:DWORD dst_unused:UNUSED_PAD src0_sel:BYTE_1 src1_sel:DWORD
	v_and_b32_sdwa v59, v51, s28 dst_sel:DWORD dst_unused:UNUSED_PAD src0_sel:WORD_1 src1_sel:DWORD
	v_sub_i16 v18, v59, v18 clamp
	v_lshlrev_b16_sdwa v51, v40, v51 dst_sel:DWORD dst_unused:UNUSED_PAD src0_sel:DWORD src1_sel:WORD_1
	v_lshlrev_b16_e32 v59, 8, v70
	v_and_b32_e32 v18, 0xffffff00, v18
	v_sub_i16 v51, v51, v59 clamp
	v_or_b32_sdwa v18, v51, v18 dst_sel:WORD_1 dst_unused:UNUSED_PAD src0_sel:BYTE_1 src1_sel:DWORD
	v_dot4c_i32_i8_e32 v57, v17, v19
	v_or_b32_sdwa v18, v58, v18 dst_sel:DWORD dst_unused:UNUSED_PAD src0_sel:WORD_0 src1_sel:DWORD
	v_dot4c_i32_i8_e32 v57, v18, v12
	v_bfe_u32 v12, v52, 16, 8
	v_lshlrev_b32_e32 v19, 4, v61
	v_bfe_u32 v58, v62, 19, 1
	v_and_or_b32 v12, v19, s23, v12
	v_lshlrev_b32_sdwa v19, v38, v62 dst_sel:DWORD dst_unused:UNUSED_PAD src0_sel:DWORD src1_sel:BYTE_2
	v_bfe_u32 v52, v63, 1, 7
	v_cmp_ne_u16_e32 vcc, 0, v58
	v_and_b32_e32 v51, 1, v63
	v_bfe_i32 v52, v52, 0, 1
	v_lshrrev_b16_e32 v19, 7, v19
	v_cndmask_b32_e64 v58, 0, -1, vcc
	v_sub_u16_e32 v51, 0, v51
	v_bfe_i32 v19, v19, 0, 1
	v_lshlrev_b16_e32 v52, 8, v52
	v_lshlrev_b16_e32 v65, 8, v58
	v_or_b32_sdwa v59, v51, v52 dst_sel:DWORD dst_unused:UNUSED_PAD src0_sel:BYTE_0 src1_sel:DWORD
	v_or_b32_sdwa v58, v19, v65 dst_sel:WORD_1 dst_unused:UNUSED_PAD src0_sel:BYTE_0 src1_sel:DWORD
	v_bfe_i32 v67, v62, 20, 1
	v_or_b32_sdwa v66, v59, v58 dst_sel:DWORD dst_unused:UNUSED_PAD src0_sel:WORD_0 src1_sel:DWORD
	v_lshlrev_b32_sdwa v58, v39, v62 dst_sel:DWORD dst_unused:UNUSED_PAD src0_sel:DWORD src1_sel:BYTE_2
	v_lshrrev_b16_e32 v58, 7, v58
	v_bfe_i32 v68, v58, 0, 1
	v_bfe_u32 v58, v63, 7, 1
	v_bfe_u32 v59, v63, 5, 3
	v_cmp_ne_u16_e32 vcc, 0, v58
	v_bfe_i32 v59, v59, 0, 1
	v_lshlrev_b16_e32 v69, 8, v59
	v_cndmask_b32_e64 v58, 0, -1, vcc
	v_lshlrev_b16_e32 v70, 8, v58
	v_lshlrev_b32_e32 v12, 3, v12
	v_or_b32_sdwa v59, v67, v69 dst_sel:DWORD dst_unused:UNUSED_PAD src0_sel:BYTE_0 src1_sel:DWORD
	v_or_b32_sdwa v58, v68, v70 dst_sel:WORD_1 dst_unused:UNUSED_PAD src0_sel:BYTE_0 src1_sel:DWORD
	v_lshlrev_b16_e32 v51, 8, v51
	v_or_b32_sdwa v71, v59, v58 dst_sel:DWORD dst_unused:UNUSED_PAD src0_sel:WORD_0 src1_sel:DWORD
	global_load_dwordx2 v[58:59], v12, s[20:21]
	v_lshlrev_b16_e32 v19, 8, v19
	s_waitcnt vmcnt(0)
	v_xor_b32_e32 v12, v58, v66
	v_and_b32_e32 v58, 0xffffff00, v12
	v_sub_i16 v52, v58, v52 clamp
	v_lshlrev_b16_e32 v58, 8, v12
	v_and_b32_e32 v52, 0xffffff00, v52
	v_sub_i16 v51, v58, v51 clamp
	v_or_b32_sdwa v51, v51, v52 dst_sel:DWORD dst_unused:UNUSED_PAD src0_sel:BYTE_1 src1_sel:DWORD
	v_and_b32_sdwa v52, v12, s28 dst_sel:DWORD dst_unused:UNUSED_PAD src0_sel:WORD_1 src1_sel:DWORD
	v_sub_i16 v52, v52, v65 clamp
	v_lshlrev_b16_sdwa v12, v40, v12 dst_sel:DWORD dst_unused:UNUSED_PAD src0_sel:DWORD src1_sel:WORD_1
	v_and_b32_e32 v52, 0xffffff00, v52
	v_sub_i16 v12, v12, v19 clamp
	v_or_b32_sdwa v12, v12, v52 dst_sel:WORD_1 dst_unused:UNUSED_PAD src0_sel:BYTE_1 src1_sel:DWORD
	v_lshlrev_b16_e32 v58, 8, v67
	v_or_b32_sdwa v19, v51, v12 dst_sel:DWORD dst_unused:UNUSED_PAD src0_sel:WORD_0 src1_sel:DWORD
	v_xor_b32_e32 v12, v59, v71
	v_and_b32_e32 v51, 0xffffff00, v12
	v_sub_i16 v51, v51, v69 clamp
	v_lshlrev_b16_e32 v52, 8, v12
	v_and_b32_e32 v51, 0xffffff00, v51
	v_sub_i16 v52, v52, v58 clamp
	v_or_b32_sdwa v51, v52, v51 dst_sel:DWORD dst_unused:UNUSED_PAD src0_sel:BYTE_1 src1_sel:DWORD
	v_and_b32_sdwa v52, v12, s28 dst_sel:DWORD dst_unused:UNUSED_PAD src0_sel:WORD_1 src1_sel:DWORD
	v_sub_i16 v52, v52, v70 clamp
	v_lshlrev_b16_sdwa v12, v40, v12 dst_sel:DWORD dst_unused:UNUSED_PAD src0_sel:DWORD src1_sel:WORD_1
	v_lshlrev_b16_e32 v58, 8, v68
	v_and_b32_e32 v52, 0xffffff00, v52
	v_sub_i16 v12, v12, v58 clamp
	v_or_b32_sdwa v12, v12, v52 dst_sel:WORD_1 dst_unused:UNUSED_PAD src0_sel:BYTE_1 src1_sel:DWORD
	v_bfe_u32 v59, v62, 27, 1
	v_or_b32_sdwa v51, v51, v12 dst_sel:DWORD dst_unused:UNUSED_PAD src0_sel:WORD_0 src1_sel:DWORD
	v_mov_b32_e32 v12, 0
	v_dot4c_i32_i8_e32 v12, v19, v13
	v_dot4c_i32_i8_e32 v12, v51, v14
	v_lshlrev_b32_e32 v14, 5, v64
	v_lshrrev_b32_e32 v58, 25, v62
	v_cmp_ne_u16_e32 vcc, 0, v59
	v_lshlrev_b32_e32 v13, 2, v61
	v_lshlrev_b16_e32 v52, 7, v63
	v_bfe_i32 v58, v58, 0, 1
	v_lshrrev_b16_e32 v14, 7, v14
	v_cndmask_b32_e64 v59, 0, -1, vcc
	v_and_or_b32 v13, v13, s23, v60
	v_ashrrev_i16_e32 v52, 15, v52
	v_bfe_i32 v14, v14, 0, 1
	v_lshlrev_b16_e32 v60, 8, v58
	v_lshlrev_b16_e32 v61, 8, v59
	v_or_b32_sdwa v58, v52, v60 dst_sel:DWORD dst_unused:UNUSED_PAD src0_sel:BYTE_0 src1_sel:DWORD
	v_or_b32_sdwa v59, v14, v61 dst_sel:WORD_1 dst_unused:UNUSED_PAD src0_sel:BYTE_0 src1_sel:DWORD
	v_lshlrev_b32_e32 v13, 3, v13
	v_or_b32_sdwa v63, v58, v59 dst_sel:DWORD dst_unused:UNUSED_PAD src0_sel:WORD_0 src1_sel:DWORD
	v_lshlrev_b32_e32 v58, 1, v64
	v_lshrrev_b16_e32 v58, 7, v58
	v_bfe_i32 v65, v58, 0, 1
	v_lshrrev_b32_e32 v58, 31, v62
	v_lshrrev_b32_e32 v59, 29, v62
	v_cmp_ne_u16_e32 vcc, 0, v58
	v_bfe_i32 v59, v59, 0, 1
	v_bfe_i32 v64, v64, 4, 1
	v_cndmask_b32_e64 v58, 0, -1, vcc
	v_lshlrev_b16_e32 v62, 8, v59
	v_lshlrev_b16_e32 v66, 8, v58
	v_or_b32_sdwa v59, v64, v62 dst_sel:DWORD dst_unused:UNUSED_PAD src0_sel:BYTE_0 src1_sel:DWORD
	v_or_b32_sdwa v58, v65, v66 dst_sel:WORD_1 dst_unused:UNUSED_PAD src0_sel:BYTE_0 src1_sel:DWORD
	v_lshlrev_b16_e32 v52, 8, v52
	v_or_b32_sdwa v67, v59, v58 dst_sel:DWORD dst_unused:UNUSED_PAD src0_sel:WORD_0 src1_sel:DWORD
	global_load_dwordx2 v[58:59], v13, s[20:21]
	v_lshlrev_b16_e32 v14, 8, v14
	v_cmp_le_u32_e32 vcc, s5, v36
	s_or_b64 s[12:13], vcc, s[12:13]
	s_waitcnt vmcnt(0)
	v_xor_b32_e32 v13, v58, v63
	v_and_b32_e32 v58, 0xffffff00, v13
	v_sub_i16 v58, v58, v60 clamp
	v_lshlrev_b16_e32 v60, 8, v13
	v_and_b32_e32 v58, 0xffffff00, v58
	v_sub_i16 v52, v60, v52 clamp
	v_or_b32_sdwa v52, v52, v58 dst_sel:DWORD dst_unused:UNUSED_PAD src0_sel:BYTE_1 src1_sel:DWORD
	v_and_b32_sdwa v58, v13, s28 dst_sel:DWORD dst_unused:UNUSED_PAD src0_sel:WORD_1 src1_sel:DWORD
	v_sub_i16 v58, v58, v61 clamp
	v_lshlrev_b16_sdwa v13, v40, v13 dst_sel:DWORD dst_unused:UNUSED_PAD src0_sel:DWORD src1_sel:WORD_1
	v_and_b32_e32 v58, 0xffffff00, v58
	v_sub_i16 v13, v13, v14 clamp
	v_or_b32_sdwa v13, v13, v58 dst_sel:WORD_1 dst_unused:UNUSED_PAD src0_sel:BYTE_1 src1_sel:DWORD
	s_nop 0
	v_or_b32_sdwa v14, v52, v13 dst_sel:DWORD dst_unused:UNUSED_PAD src0_sel:WORD_0 src1_sel:DWORD
	v_xor_b32_e32 v13, v59, v67
	v_and_b32_e32 v52, 0xffffff00, v13
	v_sub_i16 v52, v52, v62 clamp
	v_lshlrev_b16_e32 v58, 8, v13
	v_lshlrev_b16_e32 v59, 8, v64
	v_and_b32_e32 v52, 0xffffff00, v52
	v_sub_i16 v58, v58, v59 clamp
	v_or_b32_sdwa v52, v58, v52 dst_sel:DWORD dst_unused:UNUSED_PAD src0_sel:BYTE_1 src1_sel:DWORD
	v_and_b32_sdwa v58, v13, s28 dst_sel:DWORD dst_unused:UNUSED_PAD src0_sel:WORD_1 src1_sel:DWORD
	v_sub_i16 v58, v58, v66 clamp
	v_lshlrev_b16_sdwa v13, v40, v13 dst_sel:DWORD dst_unused:UNUSED_PAD src0_sel:DWORD src1_sel:WORD_1
	v_lshlrev_b16_e32 v59, 8, v65
	v_and_b32_e32 v58, 0xffffff00, v58
	v_sub_i16 v13, v13, v59 clamp
	v_or_b32_sdwa v13, v13, v58 dst_sel:WORD_1 dst_unused:UNUSED_PAD src0_sel:BYTE_1 src1_sel:DWORD
	v_dot4c_i32_i8_e32 v12, v14, v15
	v_or_b32_sdwa v52, v52, v13 dst_sel:DWORD dst_unused:UNUSED_PAD src0_sel:WORD_0 src1_sel:DWORD
	v_dot4c_i32_i8_e32 v12, v52, v56
	global_load_ushort v13, v[32:33], off
	global_load_ubyte v56, v[30:31], off offset:74
	global_load_ubyte v58, v[34:35], off offset:74
	s_waitcnt vmcnt(2)
	v_cvt_f32_f16_e32 v13, v13
	s_waitcnt vmcnt(1)
	v_and_b32_e32 v32, 15, v56
	s_waitcnt vmcnt(0)
	v_lshrrev_b32_e32 v15, 4, v58
	v_lshrrev_b32_e32 v30, 4, v56
	v_mul_lo_u32 v33, v53, v32
	v_add_u32_e32 v53, v54, v53
	v_mul_lo_u32 v35, v54, v30
	v_mul_lo_u32 v56, v12, v15
	v_add_u32_e32 v12, v12, v57
	v_lshrrev_b32_e32 v54, 31, v53
	v_add_u32_e32 v53, v53, v54
	v_lshrrev_b32_e32 v54, 31, v12
	v_and_b32_e32 v31, 15, v58
	v_ashrrev_i32_e32 v53, 1, v53
	v_add_u32_e32 v12, v12, v54
	v_mul_lo_u32 v34, v57, v31
	v_ashrrev_i32_e32 v12, 1, v12
	v_add3_u32 v33, v35, v33, v53
	v_add3_u32 v12, v56, v34, v12
	v_ashrrev_i32_e32 v34, 31, v33
	v_lshrrev_b32_e32 v34, 30, v34
	v_add_u32_e32 v33, v33, v34
	v_ashrrev_i32_e32 v34, 31, v12
	v_lshrrev_b32_e32 v34, 30, v34
	v_add_u32_e32 v12, v12, v34
	v_ashrrev_i32_e32 v33, 2, v33
	v_ashrrev_i32_e32 v53, 2, v12
	v_cvt_f32_f16_e32 v12, v55
	v_cvt_f32_i32_e32 v55, v53
	v_cvt_f32_i32_e32 v54, v33
	v_mov_b32_e32 v53, 0
	v_pk_mul_f32 v[34:35], v[16:17], v[12:13] op_sel_hi:[0,1]
	v_add_u32_e32 v16, s9, v37
	v_pk_fma_f32 v[8:9], v[34:35], v[54:55], v[8:9]
	v_mad_u64_u32 v[34:35], s[20:21], v16, 36, s[24:25]
	v_mad_u64_u32 v[34:35], s[20:21], v22, 36, v[34:35]
	global_load_dword v33, v[34:35], off offset:32
	global_load_dwordx4 v[54:57], v[34:35], off offset:16
	global_load_dwordx4 v[58:61], v[34:35], off
	v_mov_b32_e32 v34, 0
	v_mov_b32_e32 v35, 0
	s_waitcnt vmcnt(1)
	v_dot4c_i32_i8_e32 v35, v45, v55
	s_waitcnt vmcnt(0)
	v_dot4c_i32_i8_e32 v34, v41, v59
	v_dot4c_i32_i8_e32 v53, v49, v59
	v_dot4c_i32_i8_e32 v34, v42, v60
	v_dot4c_i32_i8_e32 v53, v50, v60
	v_dot4c_i32_i8_e32 v34, v43, v61
	v_dot4c_i32_i8_e32 v53, v17, v61
	v_dot4c_i32_i8_e32 v34, v44, v54
	v_dot4c_i32_i8_e32 v53, v18, v54
	v_mov_b32_e32 v54, 0
	v_dot4c_i32_i8_e32 v35, v46, v56
	v_dot4c_i32_i8_e32 v54, v19, v55
	v_dot4c_i32_i8_e32 v35, v47, v57
	v_dot4c_i32_i8_e32 v54, v51, v56
	v_dot4c_i32_i8_e32 v35, v48, v33
	v_dot4c_i32_i8_e32 v54, v14, v57
	v_dot4c_i32_i8_e32 v54, v52, v33
	v_mul_lo_u32 v33, v34, v32
	v_add_u32_e32 v34, v35, v34
	v_mul_lo_u32 v56, v35, v30
	v_lshrrev_b32_e32 v35, 31, v34
	v_mul_lo_u32 v55, v53, v31
	v_add_u32_e32 v53, v54, v53
	v_add_u32_e32 v34, v34, v35
	v_ashrrev_i32_e32 v34, 1, v34
	v_lshrrev_b32_e32 v35, 31, v53
	v_add_u32_e32 v35, v53, v35
	v_add3_u32 v33, v56, v33, v34
	v_mul_lo_u32 v57, v54, v15
	v_ashrrev_i32_e32 v35, 1, v35
	v_ashrrev_i32_e32 v34, 31, v33
	v_add3_u32 v35, v57, v55, v35
	v_lshrrev_b32_e32 v34, 30, v34
	v_add_u32_e32 v33, v33, v34
	v_ashrrev_i32_e32 v34, 31, v35
	v_lshrrev_b32_e32 v34, 30, v34
	v_add_u32_e32 v34, v35, v34
	v_cvt_f32_f16_e32 v16, v58
	v_ashrrev_i32_e32 v33, 2, v33
	v_ashrrev_i32_e32 v53, 2, v34
	v_cvt_f32_i32_e32 v55, v53
	v_cvt_f32_i32_e32 v54, v33
	v_pk_mul_f32 v[34:35], v[16:17], v[12:13] op_sel_hi:[0,1]
	v_add_u32_e32 v16, s27, v37
	v_mov_b32_e32 v53, 0
	v_pk_fma_f32 v[10:11], v[34:35], v[54:55], v[10:11]
	v_mad_u64_u32 v[34:35], s[20:21], v16, 36, s[24:25]
	v_mad_u64_u32 v[34:35], s[20:21], v22, 36, v[34:35]
	global_load_dword v33, v[34:35], off offset:32
	global_load_dwordx4 v[54:57], v[34:35], off offset:16
	global_load_dwordx4 v[58:61], v[34:35], off
	v_mov_b32_e32 v34, 0
	v_mov_b32_e32 v35, 0
	s_waitcnt vmcnt(1)
	v_dot4c_i32_i8_e32 v35, v45, v55
	s_waitcnt vmcnt(0)
	v_dot4c_i32_i8_e32 v34, v41, v59
	v_dot4c_i32_i8_e32 v53, v49, v59
	v_dot4c_i32_i8_e32 v34, v42, v60
	v_dot4c_i32_i8_e32 v53, v50, v60
	v_dot4c_i32_i8_e32 v34, v43, v61
	v_dot4c_i32_i8_e32 v53, v17, v61
	v_dot4c_i32_i8_e32 v34, v44, v54
	v_dot4c_i32_i8_e32 v53, v18, v54
	v_mov_b32_e32 v54, 0
	v_dot4c_i32_i8_e32 v35, v46, v56
	v_dot4c_i32_i8_e32 v54, v19, v55
	v_dot4c_i32_i8_e32 v35, v47, v57
	v_dot4c_i32_i8_e32 v54, v51, v56
	v_dot4c_i32_i8_e32 v35, v48, v33
	v_dot4c_i32_i8_e32 v54, v14, v57
	v_dot4c_i32_i8_e32 v54, v52, v33
	v_mul_lo_u32 v33, v34, v32
	v_add_u32_e32 v34, v35, v34
	v_mul_lo_u32 v56, v35, v30
	v_lshrrev_b32_e32 v35, 31, v34
	v_mul_lo_u32 v55, v53, v31
	v_add_u32_e32 v53, v54, v53
	v_add_u32_e32 v34, v34, v35
	v_ashrrev_i32_e32 v34, 1, v34
	v_lshrrev_b32_e32 v35, 31, v53
	v_add_u32_e32 v35, v53, v35
	v_add3_u32 v33, v56, v33, v34
	v_mul_lo_u32 v57, v54, v15
	v_ashrrev_i32_e32 v35, 1, v35
	v_ashrrev_i32_e32 v34, 31, v33
	v_add3_u32 v35, v57, v55, v35
	v_lshrrev_b32_e32 v34, 30, v34
	v_add_u32_e32 v33, v33, v34
	v_ashrrev_i32_e32 v34, 31, v35
	v_lshrrev_b32_e32 v34, 30, v34
	v_add_u32_e32 v34, v35, v34
	v_cvt_f32_f16_e32 v16, v58
	v_ashrrev_i32_e32 v33, 2, v33
	v_ashrrev_i32_e32 v53, 2, v34
	v_cvt_f32_i32_e32 v55, v53
	v_cvt_f32_i32_e32 v54, v33
	v_pk_mul_f32 v[34:35], v[16:17], v[12:13] op_sel_hi:[0,1]
	v_add_u32_e32 v16, s26, v37
	v_mov_b32_e32 v53, 0
	;; [unrolled: 55-line block ×3, first 2 shown]
	v_pk_fma_f32 v[6:7], v[34:35], v[54:55], v[6:7]
	v_mad_u64_u32 v[34:35], s[20:21], v16, 36, s[24:25]
	v_mad_u64_u32 v[34:35], s[20:21], v22, 36, v[34:35]
	global_load_dword v33, v[34:35], off offset:32
	global_load_dwordx4 v[54:57], v[34:35], off offset:16
	global_load_dwordx4 v[58:61], v[34:35], off
	v_mov_b32_e32 v34, 0
	v_mov_b32_e32 v35, 0
	s_waitcnt vmcnt(1)
	v_dot4c_i32_i8_e32 v35, v45, v55
	s_waitcnt vmcnt(0)
	v_dot4c_i32_i8_e32 v34, v41, v59
	v_dot4c_i32_i8_e32 v53, v49, v59
	;; [unrolled: 1-line block ×8, first 2 shown]
	v_mov_b32_e32 v54, 0
	v_dot4c_i32_i8_e32 v35, v46, v56
	v_dot4c_i32_i8_e32 v54, v19, v55
	;; [unrolled: 1-line block ×7, first 2 shown]
	v_mul_lo_u32 v33, v34, v32
	v_add_u32_e32 v34, v35, v34
	v_mul_lo_u32 v56, v35, v30
	v_lshrrev_b32_e32 v35, 31, v34
	v_mul_lo_u32 v55, v53, v31
	v_add_u32_e32 v53, v54, v53
	v_add_u32_e32 v34, v34, v35
	v_ashrrev_i32_e32 v34, 1, v34
	v_lshrrev_b32_e32 v35, 31, v53
	v_add_u32_e32 v35, v53, v35
	v_add3_u32 v33, v56, v33, v34
	v_mul_lo_u32 v57, v54, v15
	v_ashrrev_i32_e32 v35, 1, v35
	v_ashrrev_i32_e32 v34, 31, v33
	v_add3_u32 v35, v57, v55, v35
	v_lshrrev_b32_e32 v34, 30, v34
	v_add_u32_e32 v33, v33, v34
	v_ashrrev_i32_e32 v34, 31, v35
	v_lshrrev_b32_e32 v34, 30, v34
	v_add_u32_e32 v34, v35, v34
	v_cvt_f32_f16_e32 v16, v58
	v_ashrrev_i32_e32 v33, 2, v33
	v_ashrrev_i32_e32 v53, 2, v34
	v_cvt_f32_i32_e32 v55, v53
	v_cvt_f32_i32_e32 v54, v33
	v_pk_mul_f32 v[34:35], v[16:17], v[12:13] op_sel_hi:[0,1]
	v_add_u32_e32 v16, s15, v37
	v_add_u32_e32 v37, 64, v37
	v_pk_fma_f32 v[0:1], v[34:35], v[54:55], v[0:1]
	v_mad_u64_u32 v[34:35], s[20:21], v16, 36, s[24:25]
	v_mad_u64_u32 v[34:35], s[20:21], v22, 36, v[34:35]
	global_load_dword v33, v[34:35], off offset:32
	global_load_dwordx4 v[54:57], v[34:35], off offset:16
	global_load_dwordx4 v[58:61], v[34:35], off
	v_mov_b32_e32 v34, 0
	v_mov_b32_e32 v35, 0
	s_waitcnt vmcnt(1)
	v_dot4c_i32_i8_e32 v35, v45, v55
	s_waitcnt vmcnt(0)
	v_dot4c_i32_i8_e32 v34, v41, v59
	v_mov_b32_e32 v41, 0
	v_dot4c_i32_i8_e32 v41, v49, v59
	v_dot4c_i32_i8_e32 v41, v50, v60
	;; [unrolled: 1-line block ×3, first 2 shown]
	v_mov_b32_e32 v17, 0
	v_dot4c_i32_i8_e32 v34, v42, v60
	v_dot4c_i32_i8_e32 v35, v46, v56
	v_dot4c_i32_i8_e32 v17, v19, v55
	v_dot4c_i32_i8_e32 v34, v43, v61
	v_dot4c_i32_i8_e32 v35, v47, v57
	v_dot4c_i32_i8_e32 v17, v51, v56
	v_dot4c_i32_i8_e32 v34, v44, v54
	v_dot4c_i32_i8_e32 v35, v48, v33
	v_dot4c_i32_i8_e32 v17, v14, v57
	v_dot4c_i32_i8_e32 v41, v18, v54
	v_dot4c_i32_i8_e32 v17, v52, v33
	v_mul_lo_u32 v19, v35, v30
	v_add_u32_e32 v30, v35, v34
	v_mul_lo_u32 v18, v41, v31
	v_mul_lo_u32 v15, v17, v15
	v_add_u32_e32 v17, v17, v41
	v_lshrrev_b32_e32 v31, 31, v30
	v_add_u32_e32 v30, v30, v31
	v_lshrrev_b32_e32 v31, 31, v17
	v_mul_lo_u32 v14, v34, v32
	v_ashrrev_i32_e32 v30, 1, v30
	v_add_u32_e32 v17, v17, v31
	v_ashrrev_i32_e32 v17, 1, v17
	v_add3_u32 v14, v19, v14, v30
	v_add3_u32 v15, v15, v18, v17
	v_ashrrev_i32_e32 v17, 31, v14
	v_lshrrev_b32_e32 v17, 30, v17
	v_add_u32_e32 v14, v14, v17
	v_ashrrev_i32_e32 v17, 31, v15
	v_lshrrev_b32_e32 v17, 30, v17
	v_add_u32_e32 v15, v15, v17
	v_cvt_f32_f16_e32 v16, v58
	v_ashrrev_i32_e32 v14, 2, v14
	v_ashrrev_i32_e32 v15, 2, v15
	v_cvt_f32_i32_e32 v15, v15
	v_cvt_f32_i32_e32 v14, v14
	v_pk_mul_f32 v[12:13], v[16:17], v[12:13] op_sel_hi:[0,1]
	v_pk_fma_f32 v[2:3], v[12:13], v[14:15], v[2:3]
	s_andn2_b64 exec, exec, s[12:13]
	s_cbranch_execnz .LBB189_2
; %bb.3:
	s_or_b64 exec, exec, s[12:13]
	scratch_store_dwordx4 off, v[8:11], off
	scratch_store_dwordx4 off, v[4:7], off offset:16
	scratch_store_dwordx4 off, v[0:3], off offset:32
.LBB189_4:
	s_or_b64 exec, exec, s[6:7]
	s_mov_b32 s5, 0
	v_cmp_eq_u32_e32 vcc, 0, v21
	s_waitcnt lgkmcnt(0)
	; wave barrier
	s_and_saveexec_b64 s[6:7], vcc
	s_cbranch_execz .LBB189_17
; %bb.5:
	scratch_load_dwordx2 v[2:3], off, off
	v_mbcnt_lo_u32_b32 v0, -1, 0
	v_mbcnt_hi_u32_b32 v12, -1, v0
	s_load_dwordx2 s[6:7], s[0:1], 0x38
	s_mul_i32 s0, s3, s14
	v_or_b32_e32 v1, s2, v20
	v_and_b32_e32 v0, 64, v12
	s_mul_i32 s4, s4, s18
	s_add_i32 s2, s0, s2
	v_cmp_gt_u32_e64 s[0:1], s10, v1
	v_xor_b32_e32 v1, 32, v12
	v_add_u32_e32 v13, 64, v0
	s_add_i32 s4, s2, s4
	v_cmp_lt_i32_e64 s[2:3], v1, v13
	v_cmp_gt_u32_e32 vcc, 2, v20
	s_nop 0
	v_cndmask_b32_e64 v0, v12, v1, s[2:3]
	v_lshlrev_b32_e32 v0, 2, v0
	v_xor_b32_e32 v1, 16, v12
	v_cmp_lt_i32_e64 s[2:3], v1, v13
	s_waitcnt vmcnt(0)
	ds_bpermute_b32 v4, v0, v2
	ds_bpermute_b32 v5, v0, v3
	v_cndmask_b32_e64 v1, v12, v1, s[2:3]
	v_lshlrev_b32_e32 v1, 2, v1
	s_waitcnt lgkmcnt(0)
	v_pk_add_f32 v[4:5], v[2:3], v[4:5]
	ds_bpermute_b32 v6, v1, v4
	ds_bpermute_b32 v7, v1, v5
	v_xor_b32_e32 v2, 8, v12
	v_cmp_lt_i32_e64 s[2:3], v2, v13
	v_xor_b32_e32 v3, 4, v12
	s_waitcnt lgkmcnt(0)
	v_pk_add_f32 v[4:5], v[4:5], v[6:7]
	v_cndmask_b32_e64 v2, v12, v2, s[2:3]
	v_lshlrev_b32_e32 v2, 2, v2
	ds_bpermute_b32 v6, v2, v4
	ds_bpermute_b32 v7, v2, v5
	v_cmp_lt_i32_e64 s[2:3], v3, v13
	s_waitcnt lgkmcnt(0)
	v_pk_add_f32 v[6:7], v[4:5], v[6:7]
	v_cndmask_b32_e64 v3, v12, v3, s[2:3]
	v_lshlrev_b32_e32 v3, 2, v3
	ds_bpermute_b32 v8, v3, v6
	ds_bpermute_b32 v9, v3, v7
	v_xor_b32_e32 v4, 2, v12
	v_cmp_lt_i32_e64 s[2:3], v4, v13
	v_xor_b32_e32 v5, 1, v12
	s_waitcnt lgkmcnt(0)
	v_pk_add_f32 v[8:9], v[6:7], v[8:9]
	v_cndmask_b32_e64 v4, v12, v4, s[2:3]
	v_lshlrev_b32_e32 v4, 2, v4
	ds_bpermute_b32 v10, v4, v8
	ds_bpermute_b32 v11, v4, v9
	v_cmp_lt_i32_e64 s[2:3], v5, v13
	s_waitcnt lgkmcnt(0)
	v_pk_add_f32 v[8:9], v[8:9], v[10:11]
	v_cndmask_b32_e64 v5, v12, v5, s[2:3]
	v_lshlrev_b32_e32 v6, 2, v5
	ds_bpermute_b32 v10, v6, v8
	ds_bpermute_b32 v11, v6, v9
	s_lshl_b64 s[2:3], s[4:5], 2
	s_add_u32 s2, s6, s2
	s_addc_u32 s3, s7, s3
	s_and_b64 s[0:1], vcc, s[0:1]
	s_waitcnt lgkmcnt(0)
	v_pk_add_f32 v[8:9], v[8:9], v[10:11]
	v_lshlrev_b32_e32 v5, 2, v20
	scratch_store_dwordx2 off, v[8:9], off
	s_and_saveexec_b64 s[4:5], s[0:1]
	s_cbranch_execz .LBB189_7
; %bb.6:
	scratch_load_dword v7, v5, off
	s_waitcnt vmcnt(0)
	global_store_dword v5, v7, s[2:3]
.LBB189_7:
	s_or_b64 exec, exec, s[4:5]
	scratch_load_dwordx2 v[8:9], off, off offset:8
	s_waitcnt vmcnt(0)
	ds_bpermute_b32 v10, v0, v8
	ds_bpermute_b32 v11, v0, v9
	s_waitcnt lgkmcnt(0)
	v_pk_add_f32 v[8:9], v[8:9], v[10:11]
	ds_bpermute_b32 v10, v1, v8
	ds_bpermute_b32 v11, v1, v9
	s_waitcnt lgkmcnt(0)
	v_pk_add_f32 v[8:9], v[8:9], v[10:11]
	;; [unrolled: 4-line block ×6, first 2 shown]
	scratch_store_dwordx2 off, v[8:9], off offset:8
	s_and_saveexec_b64 s[4:5], s[0:1]
	s_cbranch_execz .LBB189_9
; %bb.8:
	scratch_load_dword v7, v5, off offset:8
	v_add_u32_e32 v8, s10, v20
	v_mov_b32_e32 v9, 0
	v_lshl_add_u64 v[8:9], v[8:9], 2, s[2:3]
	s_waitcnt vmcnt(0)
	global_store_dword v[8:9], v7, off
.LBB189_9:
	s_or_b64 exec, exec, s[4:5]
	scratch_load_dwordx2 v[8:9], off, off offset:16
	s_waitcnt vmcnt(0)
	ds_bpermute_b32 v10, v0, v8
	ds_bpermute_b32 v11, v0, v9
	s_waitcnt lgkmcnt(0)
	v_pk_add_f32 v[8:9], v[8:9], v[10:11]
	ds_bpermute_b32 v10, v1, v8
	ds_bpermute_b32 v11, v1, v9
	s_waitcnt lgkmcnt(0)
	v_pk_add_f32 v[8:9], v[8:9], v[10:11]
	;; [unrolled: 4-line block ×6, first 2 shown]
	scratch_store_dwordx2 off, v[8:9], off offset:16
	s_and_saveexec_b64 s[4:5], s[0:1]
	s_cbranch_execz .LBB189_11
; %bb.10:
	scratch_load_dword v7, v5, off offset:16
	v_lshl_or_b32 v8, s10, 1, v20
	v_mov_b32_e32 v9, 0
	v_lshl_add_u64 v[8:9], v[8:9], 2, s[2:3]
	s_waitcnt vmcnt(0)
	global_store_dword v[8:9], v7, off
.LBB189_11:
	s_or_b64 exec, exec, s[4:5]
	scratch_load_dwordx2 v[8:9], off, off offset:24
	s_waitcnt vmcnt(0)
	ds_bpermute_b32 v10, v0, v8
	ds_bpermute_b32 v11, v0, v9
	s_waitcnt lgkmcnt(0)
	v_pk_add_f32 v[8:9], v[8:9], v[10:11]
	ds_bpermute_b32 v10, v1, v8
	ds_bpermute_b32 v11, v1, v9
	s_waitcnt lgkmcnt(0)
	v_pk_add_f32 v[8:9], v[8:9], v[10:11]
	;; [unrolled: 4-line block ×6, first 2 shown]
	scratch_store_dwordx2 off, v[8:9], off offset:24
	s_and_saveexec_b64 s[4:5], s[0:1]
	s_cbranch_execz .LBB189_13
; %bb.12:
	scratch_load_dword v7, v5, off offset:24
	v_mad_u64_u32 v[8:9], s[6:7], s10, 3, v[20:21]
	v_mov_b32_e32 v9, 0
	v_lshl_add_u64 v[8:9], v[8:9], 2, s[2:3]
	s_waitcnt vmcnt(0)
	global_store_dword v[8:9], v7, off
.LBB189_13:
	s_or_b64 exec, exec, s[4:5]
	scratch_load_dwordx2 v[8:9], off, off offset:32
	s_waitcnt vmcnt(0)
	ds_bpermute_b32 v10, v0, v8
	ds_bpermute_b32 v11, v0, v9
	s_waitcnt lgkmcnt(0)
	v_pk_add_f32 v[8:9], v[8:9], v[10:11]
	ds_bpermute_b32 v10, v1, v8
	ds_bpermute_b32 v11, v1, v9
	s_waitcnt lgkmcnt(0)
	v_pk_add_f32 v[8:9], v[8:9], v[10:11]
	;; [unrolled: 4-line block ×6, first 2 shown]
	scratch_store_dwordx2 off, v[8:9], off offset:32
	s_and_saveexec_b64 s[4:5], s[0:1]
	s_cbranch_execz .LBB189_15
; %bb.14:
	scratch_load_dword v7, v5, off offset:32
	v_lshl_or_b32 v8, s10, 2, v20
	v_mov_b32_e32 v9, 0
	v_lshl_add_u64 v[8:9], v[8:9], 2, s[2:3]
	s_waitcnt vmcnt(0)
	global_store_dword v[8:9], v7, off
.LBB189_15:
	s_or_b64 exec, exec, s[4:5]
	scratch_load_dwordx2 v[8:9], off, off offset:40
	s_waitcnt vmcnt(0)
	ds_bpermute_b32 v10, v0, v8
	ds_bpermute_b32 v11, v0, v9
	s_waitcnt lgkmcnt(0)
	v_pk_add_f32 v[8:9], v[8:9], v[10:11]
	ds_bpermute_b32 v0, v1, v8
	ds_bpermute_b32 v1, v1, v9
	s_waitcnt lgkmcnt(0)
	v_pk_add_f32 v[0:1], v[8:9], v[0:1]
	;; [unrolled: 4-line block ×6, first 2 shown]
	scratch_store_dwordx2 off, v[0:1], off offset:40
	s_and_b64 exec, exec, s[0:1]
	s_cbranch_execz .LBB189_17
; %bb.16:
	scratch_load_dword v2, v5, off offset:40
	v_mad_u64_u32 v[0:1], s[0:1], s10, 5, v[20:21]
	v_mov_b32_e32 v1, 0
	v_lshl_add_u64 v[0:1], v[0:1], 2, s[2:3]
	s_waitcnt vmcnt(0)
	global_store_dword v[0:1], v2, off
.LBB189_17:
	s_endpgm
	.section	.rodata,"a",@progbits
	.p2align	6, 0x0
	.amdhsa_kernel _ZL13mul_mat_vec_qIL9ggml_type22ELi6ELb0ELb0EEvPKvS2_PKi31ggml_cuda_mm_fusion_args_devicePfj15HIP_vector_typeIjLj3EEjjjS8_jjjS8_jjjj
		.amdhsa_group_segment_fixed_size 0
		.amdhsa_private_segment_fixed_size 64
		.amdhsa_kernarg_size 144
		.amdhsa_user_sgpr_count 2
		.amdhsa_user_sgpr_dispatch_ptr 0
		.amdhsa_user_sgpr_queue_ptr 0
		.amdhsa_user_sgpr_kernarg_segment_ptr 1
		.amdhsa_user_sgpr_dispatch_id 0
		.amdhsa_user_sgpr_kernarg_preload_length 0
		.amdhsa_user_sgpr_kernarg_preload_offset 0
		.amdhsa_user_sgpr_private_segment_size 0
		.amdhsa_uses_dynamic_stack 0
		.amdhsa_enable_private_segment 1
		.amdhsa_system_sgpr_workgroup_id_x 1
		.amdhsa_system_sgpr_workgroup_id_y 1
		.amdhsa_system_sgpr_workgroup_id_z 1
		.amdhsa_system_sgpr_workgroup_info 0
		.amdhsa_system_vgpr_workitem_id 1
		.amdhsa_next_free_vgpr 73
		.amdhsa_next_free_sgpr 32
		.amdhsa_accum_offset 76
		.amdhsa_reserve_vcc 1
		.amdhsa_float_round_mode_32 0
		.amdhsa_float_round_mode_16_64 0
		.amdhsa_float_denorm_mode_32 3
		.amdhsa_float_denorm_mode_16_64 3
		.amdhsa_dx10_clamp 1
		.amdhsa_ieee_mode 1
		.amdhsa_fp16_overflow 0
		.amdhsa_tg_split 0
		.amdhsa_exception_fp_ieee_invalid_op 0
		.amdhsa_exception_fp_denorm_src 0
		.amdhsa_exception_fp_ieee_div_zero 0
		.amdhsa_exception_fp_ieee_overflow 0
		.amdhsa_exception_fp_ieee_underflow 0
		.amdhsa_exception_fp_ieee_inexact 0
		.amdhsa_exception_int_div_zero 0
	.end_amdhsa_kernel
	.section	.text._ZL13mul_mat_vec_qIL9ggml_type22ELi6ELb0ELb0EEvPKvS2_PKi31ggml_cuda_mm_fusion_args_devicePfj15HIP_vector_typeIjLj3EEjjjS8_jjjS8_jjjj,"axG",@progbits,_ZL13mul_mat_vec_qIL9ggml_type22ELi6ELb0ELb0EEvPKvS2_PKi31ggml_cuda_mm_fusion_args_devicePfj15HIP_vector_typeIjLj3EEjjjS8_jjjS8_jjjj,comdat
.Lfunc_end189:
	.size	_ZL13mul_mat_vec_qIL9ggml_type22ELi6ELb0ELb0EEvPKvS2_PKi31ggml_cuda_mm_fusion_args_devicePfj15HIP_vector_typeIjLj3EEjjjS8_jjjS8_jjjj, .Lfunc_end189-_ZL13mul_mat_vec_qIL9ggml_type22ELi6ELb0ELb0EEvPKvS2_PKi31ggml_cuda_mm_fusion_args_devicePfj15HIP_vector_typeIjLj3EEjjjS8_jjjS8_jjjj
                                        ; -- End function
	.section	.AMDGPU.csdata,"",@progbits
; Kernel info:
; codeLenInByte = 7548
; NumSgprs: 38
; NumVgprs: 73
; NumAgprs: 0
; TotalNumVgprs: 73
; ScratchSize: 64
; MemoryBound: 0
; FloatMode: 240
; IeeeMode: 1
; LDSByteSize: 0 bytes/workgroup (compile time only)
; SGPRBlocks: 4
; VGPRBlocks: 9
; NumSGPRsForWavesPerEU: 38
; NumVGPRsForWavesPerEU: 73
; AccumOffset: 76
; Occupancy: 6
; WaveLimiterHint : 0
; COMPUTE_PGM_RSRC2:SCRATCH_EN: 1
; COMPUTE_PGM_RSRC2:USER_SGPR: 2
; COMPUTE_PGM_RSRC2:TRAP_HANDLER: 0
; COMPUTE_PGM_RSRC2:TGID_X_EN: 1
; COMPUTE_PGM_RSRC2:TGID_Y_EN: 1
; COMPUTE_PGM_RSRC2:TGID_Z_EN: 1
; COMPUTE_PGM_RSRC2:TIDIG_COMP_CNT: 1
; COMPUTE_PGM_RSRC3_GFX90A:ACCUM_OFFSET: 18
; COMPUTE_PGM_RSRC3_GFX90A:TG_SPLIT: 0
	.section	.text._ZL13mul_mat_vec_qIL9ggml_type22ELi7ELb0ELb0EEvPKvS2_PKi31ggml_cuda_mm_fusion_args_devicePfj15HIP_vector_typeIjLj3EEjjjS8_jjjS8_jjjj,"axG",@progbits,_ZL13mul_mat_vec_qIL9ggml_type22ELi7ELb0ELb0EEvPKvS2_PKi31ggml_cuda_mm_fusion_args_devicePfj15HIP_vector_typeIjLj3EEjjjS8_jjjS8_jjjj,comdat
	.globl	_ZL13mul_mat_vec_qIL9ggml_type22ELi7ELb0ELb0EEvPKvS2_PKi31ggml_cuda_mm_fusion_args_devicePfj15HIP_vector_typeIjLj3EEjjjS8_jjjS8_jjjj ; -- Begin function _ZL13mul_mat_vec_qIL9ggml_type22ELi7ELb0ELb0EEvPKvS2_PKi31ggml_cuda_mm_fusion_args_devicePfj15HIP_vector_typeIjLj3EEjjjS8_jjjS8_jjjj
	.p2align	8
	.type	_ZL13mul_mat_vec_qIL9ggml_type22ELi7ELb0ELb0EEvPKvS2_PKi31ggml_cuda_mm_fusion_args_devicePfj15HIP_vector_typeIjLj3EEjjjS8_jjjS8_jjjj,@function
_ZL13mul_mat_vec_qIL9ggml_type22ELi7ELb0ELb0EEvPKvS2_PKi31ggml_cuda_mm_fusion_args_devicePfj15HIP_vector_typeIjLj3EEjjjS8_jjjS8_jjjj: ; @_ZL13mul_mat_vec_qIL9ggml_type22ELi7ELb0ELb0EEvPKvS2_PKi31ggml_cuda_mm_fusion_args_devicePfj15HIP_vector_typeIjLj3EEjjjS8_jjjS8_jjjj
; %bb.0:
	v_bfe_u32 v9, v0, 10, 10
	v_and_b32_e32 v8, 0x3ff, v0
	s_mov_b32 s20, 0
	s_load_dword s5, s[0:1], 0x40
	s_load_dwordx4 s[8:11], s[0:1], 0x50
	s_load_dword s27, s[0:1], 0x60
	s_load_dwordx4 s[12:15], s[0:1], 0x68
	;; [unrolled: 2-line block ×3, first 2 shown]
	v_lshl_or_b32 v4, v9, 6, v8
	s_mov_b32 s21, s20
	s_waitcnt lgkmcnt(0)
	s_lshr_b32 s5, s5, 8
	v_mov_b32_e32 v11, 0
	s_mov_b32 s22, s20
	s_mov_b32 s23, s20
	v_mov_b64_e32 v[0:1], s[20:21]
	v_lshrrev_b32_e32 v33, 3, v4
	s_lshl_b32 s2, s2, 1
	v_mov_b32_e32 v10, v11
	v_mov_b64_e32 v[2:3], s[22:23]
	v_cmp_gt_u32_e32 vcc, s5, v33
	scratch_store_dwordx2 off, v[10:11], off offset:48
	scratch_store_dwordx4 off, v[0:3], off offset:32
	scratch_store_dwordx4 off, v[0:3], off offset:16
	scratch_store_dwordx4 off, v[0:3], off
	s_and_saveexec_b64 s[6:7], vcc
	s_cbranch_execz .LBB190_3
; %bb.1:
	s_load_dwordx4 s[20:23], s[0:1], 0x0
	s_mul_i32 s17, s4, s17
	s_mul_i32 s24, s17, 36
	;; [unrolled: 1-line block ×3, first 2 shown]
	s_mul_hi_u32 s19, s17, 36
	s_waitcnt lgkmcnt(0)
	s_add_u32 s24, s22, s24
	s_addc_u32 s19, s23, s19
	s_mul_i32 s28, s13, 36
	s_mul_hi_u32 s29, s13, 36
	s_add_u32 s24, s24, s28
	s_mul_hi_u32 s11, s11, s3
	s_addc_u32 s25, s19, s29
	s_add_i32 s11, s3, s11
	s_lshr_b32 s11, s11, s27
	s_mul_i32 s11, s11, s12
	s_mul_hi_u32 s12, s15, s4
	s_add_i32 s12, s4, s12
	s_lshr_b32 s12, s12, s26
	s_mul_i32 s12, s12, s16
	s_mul_i32 s13, s2, s8
	s_add_i32 s12, s12, s11
	s_add_i32 s11, s12, s13
	;; [unrolled: 1-line block ×3, first 2 shown]
	s_mul_i32 s8, s8, s13
	v_lshl_add_u32 v1, v9, 6, v8
	s_add_i32 s8, s12, s8
	v_lshrrev_b32_e32 v1, 3, v1
	s_movk_i32 s12, 0x120
	v_mov_b64_e32 v[2:3], s[28:29]
	v_mad_u64_u32 v[2:3], s[12:13], v1, s12, v[2:3]
	v_and_b32_e32 v10, 7, v8
	v_mad_u64_u32 v[2:3], s[12:13], s17, 36, v[2:3]
	v_mad_u64_u32 v[2:3], s[12:13], v10, 36, v[2:3]
	v_lshlrev_b32_e32 v0, 1, v10
	v_lshl_add_u64 v[2:3], v[2:3], 0, s[22:23]
	v_lshlrev_b32_e32 v34, 3, v33
	s_mul_i32 s15, s9, 6
	s_mul_i32 s19, s9, 5
	s_lshl_b32 s26, s9, 2
	s_mul_i32 s27, s9, 3
	v_lshl_add_u64 v[12:13], v[2:3], 0, 16
	s_lshl_b32 s22, s9, 1
	s_mov_b64 s[12:13], 0
	s_movk_i32 s23, 0x52
	v_mov_b64_e32 v[14:15], s[20:21]
	v_lshlrev_b32_e32 v16, 1, v0
	v_mov_b32_e32 v17, v11
	s_movk_i32 s28, 0xff
	s_mov_b32 s29, 0xffff
	s_movk_i32 s30, 0x300
	s_movk_i32 s31, 0xff00
	s_mov_b64 s[16:17], 0x900
	v_mov_b32_e32 v35, 8
	v_mov_b32_e32 v36, 5
	;; [unrolled: 1-line block ×3, first 2 shown]
.LBB190_2:                              ; =>This Inner Loop Header: Depth=1
	v_add_u32_e32 v18, s11, v33
	v_mad_i64_i32 v[24:25], s[20:21], v18, s23, v[14:15]
	v_lshl_add_u64 v[28:29], v[24:25], 0, v[16:17]
	global_load_dword v30, v[12:13], off offset:16
	global_load_dwordx4 v[0:3], v[12:13], off
	global_load_dwordx4 v[4:7], v[12:13], off offset:-16
	global_load_ushort v20, v[28:29], off offset:2
	global_load_dword v41, v[28:29], off offset:2
	v_lshl_add_u64 v[18:19], v[24:25], 0, v[10:11]
	global_load_ubyte v26, v[18:19], off offset:66
	global_load_ushort v27, v[28:29], off offset:34
	global_load_dword v40, v[28:29], off offset:34
	s_getpc_b64 s[20:21]
	s_add_u32 s20, s20, _ZL9iq2s_grid@rel32@lo+4
	s_addc_u32 s21, s21, _ZL9iq2s_grid@rel32@hi+12
	v_lshl_add_u64 v[12:13], v[12:13], 0, s[16:17]
	s_waitcnt vmcnt(5)
	v_cvt_f32_f16_e32 v4, v4
	s_waitcnt vmcnt(4)
	v_lshrrev_b16_e32 v23, 8, v20
	v_and_b32_sdwa v20, s29, v20 dst_sel:DWORD dst_unused:UNUSED_PAD src0_sel:DWORD src1_sel:BYTE_0
	s_waitcnt vmcnt(2)
	v_lshlrev_b32_e32 v21, 8, v26
	v_and_or_b32 v20, v21, s30, v20
	s_waitcnt vmcnt(1)
	v_and_b32_sdwa v21, s29, v27 dst_sel:DWORD dst_unused:UNUSED_PAD src0_sel:DWORD src1_sel:BYTE_0
	v_bfe_u32 v43, v21, 3, 1
	v_lshlrev_b32_e32 v31, 5, v21
	v_lshrrev_b32_e32 v42, 1, v21
	v_cmp_ne_u16_e32 vcc, 0, v43
	v_and_b32_e32 v32, 1, v27
	v_bfe_i32 v42, v42, 0, 1
	v_lshrrev_b16_e32 v31, 7, v31
	v_cndmask_b32_e64 v43, 0, -1, vcc
	v_sub_u16_e32 v32, 0, v32
	v_bfe_i32 v31, v31, 0, 1
	v_lshlrev_b16_e32 v42, 8, v42
	v_lshlrev_b16_e32 v43, 8, v43
	v_or_b32_sdwa v44, v32, v42 dst_sel:DWORD dst_unused:UNUSED_PAD src0_sel:BYTE_0 src1_sel:DWORD
	v_or_b32_sdwa v45, v31, v43 dst_sel:WORD_1 dst_unused:UNUSED_PAD src0_sel:BYTE_0 src1_sel:DWORD
	v_bfe_i32 v46, v21, 4, 1
	v_or_b32_sdwa v44, v44, v45 dst_sel:DWORD dst_unused:UNUSED_PAD src0_sel:WORD_0 src1_sel:DWORD
	v_lshlrev_b32_e32 v45, 1, v21
	v_lshrrev_b32_e32 v47, 5, v21
	v_lshrrev_b32_e32 v21, 7, v21
	v_cmp_ne_u16_e32 vcc, 0, v21
	v_bfe_i32 v47, v47, 0, 1
	v_lshrrev_b16_e32 v45, 7, v45
	v_cndmask_b32_e64 v21, 0, -1, vcc
	v_bfe_i32 v45, v45, 0, 1
	v_lshlrev_b16_e32 v47, 8, v47
	v_lshlrev_b16_e32 v49, 8, v21
	v_lshlrev_b32_e32 v20, 3, v20
	v_or_b32_sdwa v48, v46, v47 dst_sel:DWORD dst_unused:UNUSED_PAD src0_sel:BYTE_0 src1_sel:DWORD
	v_or_b32_sdwa v21, v45, v49 dst_sel:WORD_1 dst_unused:UNUSED_PAD src0_sel:BYTE_0 src1_sel:DWORD
	v_lshlrev_b16_e32 v32, 8, v32
	v_or_b32_sdwa v48, v48, v21 dst_sel:DWORD dst_unused:UNUSED_PAD src0_sel:WORD_0 src1_sel:DWORD
	global_load_dwordx2 v[20:21], v20, s[20:21]
	v_lshlrev_b16_e32 v31, 8, v31
	s_waitcnt vmcnt(1)
	v_lshrrev_b32_e32 v38, 16, v40
	v_lshrrev_b32_e32 v22, 16, v41
	;; [unrolled: 1-line block ×3, first 2 shown]
	s_waitcnt vmcnt(0)
	v_xor_b32_e32 v20, v20, v44
	v_and_b32_e32 v44, 0xffffff00, v20
	v_sub_i16 v42, v44, v42 clamp
	v_lshlrev_b16_e32 v44, 8, v20
	v_and_b32_e32 v42, 0xffffff00, v42
	v_sub_i16 v32, v44, v32 clamp
	v_or_b32_sdwa v32, v32, v42 dst_sel:DWORD dst_unused:UNUSED_PAD src0_sel:BYTE_1 src1_sel:DWORD
	v_and_b32_sdwa v42, v20, s31 dst_sel:DWORD dst_unused:UNUSED_PAD src0_sel:WORD_1 src1_sel:DWORD
	v_sub_i16 v42, v42, v43 clamp
	v_lshlrev_b16_sdwa v20, v35, v20 dst_sel:DWORD dst_unused:UNUSED_PAD src0_sel:DWORD src1_sel:WORD_1
	v_and_b32_e32 v42, 0xffffff00, v42
	v_sub_i16 v20, v20, v31 clamp
	v_or_b32_sdwa v20, v20, v42 dst_sel:WORD_1 dst_unused:UNUSED_PAD src0_sel:BYTE_1 src1_sel:DWORD
	s_nop 0
	v_or_b32_sdwa v42, v32, v20 dst_sel:DWORD dst_unused:UNUSED_PAD src0_sel:WORD_0 src1_sel:DWORD
	v_xor_b32_e32 v20, v21, v48
	v_and_b32_e32 v21, 0xffffff00, v20
	v_sub_i16 v21, v21, v47 clamp
	v_lshlrev_b16_e32 v31, 8, v20
	v_lshlrev_b16_e32 v32, 8, v46
	v_and_b32_e32 v21, 0xffffff00, v21
	v_sub_i16 v31, v31, v32 clamp
	v_or_b32_sdwa v21, v31, v21 dst_sel:DWORD dst_unused:UNUSED_PAD src0_sel:BYTE_1 src1_sel:DWORD
	v_and_b32_sdwa v31, v20, s31 dst_sel:DWORD dst_unused:UNUSED_PAD src0_sel:WORD_1 src1_sel:DWORD
	v_sub_i16 v31, v31, v49 clamp
	v_lshlrev_b16_sdwa v20, v35, v20 dst_sel:DWORD dst_unused:UNUSED_PAD src0_sel:DWORD src1_sel:WORD_1
	v_lshlrev_b16_e32 v32, 8, v45
	v_and_b32_e32 v31, 0xffffff00, v31
	v_sub_i16 v20, v20, v32 clamp
	v_or_b32_sdwa v20, v20, v31 dst_sel:WORD_1 dst_unused:UNUSED_PAD src0_sel:BYTE_1 src1_sel:DWORD
	v_mov_b32_e32 v31, 0
	v_or_b32_sdwa v43, v21, v20 dst_sel:DWORD dst_unused:UNUSED_PAD src0_sel:WORD_0 src1_sel:DWORD
	v_lshrrev_b16_e32 v21, 8, v27
	v_lshlrev_b32_e32 v20, 6, v26
	v_bfe_u32 v44, v21, 3, 1
	v_and_or_b32 v20, v20, s30, v23
	v_lshlrev_b32_e32 v23, 5, v21
	v_lshrrev_b32_e32 v32, 1, v21
	v_cmp_ne_u16_e32 vcc, 0, v44
	v_lshlrev_b16_e32 v27, 7, v27
	v_bfe_i32 v32, v32, 0, 1
	v_lshrrev_b16_e32 v23, 7, v23
	v_cndmask_b32_e64 v44, 0, -1, vcc
	v_ashrrev_i16_e32 v27, 15, v27
	v_bfe_i32 v23, v23, 0, 1
	v_lshlrev_b16_e32 v32, 8, v32
	v_lshlrev_b16_e32 v44, 8, v44
	v_or_b32_sdwa v45, v27, v32 dst_sel:DWORD dst_unused:UNUSED_PAD src0_sel:BYTE_0 src1_sel:DWORD
	v_or_b32_sdwa v46, v23, v44 dst_sel:WORD_1 dst_unused:UNUSED_PAD src0_sel:BYTE_0 src1_sel:DWORD
	v_bfe_i32 v47, v21, 4, 1
	v_or_b32_sdwa v45, v45, v46 dst_sel:DWORD dst_unused:UNUSED_PAD src0_sel:WORD_0 src1_sel:DWORD
	v_lshlrev_b32_e32 v46, 1, v21
	v_lshrrev_b32_e32 v48, 5, v21
	v_lshrrev_b32_e32 v21, 7, v21
	v_cmp_ne_u16_e32 vcc, 0, v21
	v_bfe_i32 v48, v48, 0, 1
	v_lshrrev_b16_e32 v46, 7, v46
	v_cndmask_b32_e64 v21, 0, -1, vcc
	v_bfe_i32 v46, v46, 0, 1
	v_lshlrev_b16_e32 v48, 8, v48
	v_lshlrev_b16_e32 v50, 8, v21
	v_lshlrev_b32_e32 v20, 3, v20
	v_or_b32_sdwa v49, v47, v48 dst_sel:DWORD dst_unused:UNUSED_PAD src0_sel:BYTE_0 src1_sel:DWORD
	v_or_b32_sdwa v21, v46, v50 dst_sel:WORD_1 dst_unused:UNUSED_PAD src0_sel:BYTE_0 src1_sel:DWORD
	v_lshlrev_b16_e32 v27, 8, v27
	v_or_b32_sdwa v49, v49, v21 dst_sel:DWORD dst_unused:UNUSED_PAD src0_sel:WORD_0 src1_sel:DWORD
	global_load_dwordx2 v[20:21], v20, s[20:21]
	v_lshlrev_b16_e32 v23, 8, v23
	v_dot4c_i32_i8_e32 v31, v42, v5
	v_dot4c_i32_i8_e32 v31, v43, v6
	s_waitcnt vmcnt(0)
	v_xor_b32_e32 v20, v20, v45
	v_and_b32_e32 v45, 0xffffff00, v20
	v_sub_i16 v32, v45, v32 clamp
	v_lshlrev_b16_e32 v45, 8, v20
	v_and_b32_e32 v32, 0xffffff00, v32
	v_sub_i16 v27, v45, v27 clamp
	v_or_b32_sdwa v27, v27, v32 dst_sel:DWORD dst_unused:UNUSED_PAD src0_sel:BYTE_1 src1_sel:DWORD
	v_and_b32_sdwa v32, v20, s31 dst_sel:DWORD dst_unused:UNUSED_PAD src0_sel:WORD_1 src1_sel:DWORD
	v_sub_i16 v32, v32, v44 clamp
	v_lshlrev_b16_sdwa v20, v35, v20 dst_sel:DWORD dst_unused:UNUSED_PAD src0_sel:DWORD src1_sel:WORD_1
	v_and_b32_e32 v32, 0xffffff00, v32
	v_sub_i16 v20, v20, v23 clamp
	v_or_b32_sdwa v20, v20, v32 dst_sel:WORD_1 dst_unused:UNUSED_PAD src0_sel:BYTE_1 src1_sel:DWORD
	s_nop 0
	v_or_b32_sdwa v44, v27, v20 dst_sel:DWORD dst_unused:UNUSED_PAD src0_sel:WORD_0 src1_sel:DWORD
	v_xor_b32_e32 v20, v21, v49
	v_and_b32_e32 v21, 0xffffff00, v20
	v_sub_i16 v21, v21, v48 clamp
	v_lshlrev_b16_e32 v23, 8, v20
	v_lshlrev_b16_e32 v27, 8, v47
	v_and_b32_e32 v21, 0xffffff00, v21
	v_sub_i16 v23, v23, v27 clamp
	v_or_b32_sdwa v21, v23, v21 dst_sel:DWORD dst_unused:UNUSED_PAD src0_sel:BYTE_1 src1_sel:DWORD
	v_and_b32_sdwa v23, v20, s31 dst_sel:DWORD dst_unused:UNUSED_PAD src0_sel:WORD_1 src1_sel:DWORD
	v_sub_i16 v23, v23, v50 clamp
	v_lshlrev_b16_sdwa v20, v35, v20 dst_sel:DWORD dst_unused:UNUSED_PAD src0_sel:DWORD src1_sel:WORD_1
	v_lshlrev_b16_e32 v27, 8, v46
	v_and_b32_e32 v23, 0xffffff00, v23
	v_sub_i16 v20, v20, v27 clamp
	v_or_b32_sdwa v20, v20, v23 dst_sel:WORD_1 dst_unused:UNUSED_PAD src0_sel:BYTE_1 src1_sel:DWORD
	v_bfe_u32 v23, v38, 1, 7
	v_or_b32_sdwa v45, v21, v20 dst_sel:DWORD dst_unused:UNUSED_PAD src0_sel:WORD_0 src1_sel:DWORD
	v_lshlrev_b32_sdwa v21, v36, v40 dst_sel:DWORD dst_unused:UNUSED_PAD src0_sel:DWORD src1_sel:BYTE_2
	v_lshrrev_b16_e32 v21, 7, v21
	v_lshlrev_b32_e32 v20, 4, v26
	v_bfe_i32 v27, v21, 0, 1
	v_bfe_u32 v21, v40, 19, 1
	v_and_b32_e32 v46, 0x300, v20
	v_cmp_ne_u16_e32 vcc, 0, v21
	v_and_or_b32 v20, v22, s28, v46
	v_and_b32_e32 v22, 1, v38
	v_bfe_i32 v23, v23, 0, 1
	v_cndmask_b32_e64 v21, 0, -1, vcc
	v_sub_u16_e32 v22, 0, v22
	v_lshlrev_b16_e32 v23, 8, v23
	v_lshlrev_b16_e32 v47, 8, v21
	v_or_b32_sdwa v32, v22, v23 dst_sel:DWORD dst_unused:UNUSED_PAD src0_sel:BYTE_0 src1_sel:DWORD
	v_or_b32_sdwa v21, v27, v47 dst_sel:WORD_1 dst_unused:UNUSED_PAD src0_sel:BYTE_0 src1_sel:DWORD
	v_bfe_u32 v49, v38, 5, 3
	v_or_b32_sdwa v32, v32, v21 dst_sel:DWORD dst_unused:UNUSED_PAD src0_sel:WORD_0 src1_sel:DWORD
	v_lshlrev_b32_sdwa v21, v37, v40 dst_sel:DWORD dst_unused:UNUSED_PAD src0_sel:DWORD src1_sel:BYTE_2
	v_lshrrev_b16_e32 v21, 7, v21
	v_bfe_i32 v50, v21, 0, 1
	v_bfe_u32 v21, v38, 7, 1
	v_cmp_ne_u16_e32 vcc, 0, v21
	v_bfe_i32 v49, v49, 0, 1
	v_bfe_i32 v48, v40, 20, 1
	v_cndmask_b32_e64 v21, 0, -1, vcc
	v_lshlrev_b16_e32 v49, 8, v49
	v_lshlrev_b16_e32 v52, 8, v21
	v_lshlrev_b32_e32 v20, 3, v20
	v_or_b32_sdwa v51, v48, v49 dst_sel:DWORD dst_unused:UNUSED_PAD src0_sel:BYTE_0 src1_sel:DWORD
	v_or_b32_sdwa v21, v50, v52 dst_sel:WORD_1 dst_unused:UNUSED_PAD src0_sel:BYTE_0 src1_sel:DWORD
	v_lshlrev_b16_e32 v22, 8, v22
	v_or_b32_sdwa v51, v51, v21 dst_sel:DWORD dst_unused:UNUSED_PAD src0_sel:WORD_0 src1_sel:DWORD
	global_load_dwordx2 v[20:21], v20, s[20:21]
	v_lshlrev_b16_e32 v27, 8, v27
	v_dot4c_i32_i8_e32 v31, v44, v7
	v_dot4c_i32_i8_e32 v31, v45, v0
	s_waitcnt vmcnt(0)
	v_xor_b32_e32 v20, v20, v32
	v_and_b32_e32 v32, 0xffffff00, v20
	v_sub_i16 v23, v32, v23 clamp
	v_lshlrev_b16_e32 v32, 8, v20
	v_and_b32_e32 v23, 0xffffff00, v23
	v_sub_i16 v22, v32, v22 clamp
	v_or_b32_sdwa v22, v22, v23 dst_sel:DWORD dst_unused:UNUSED_PAD src0_sel:BYTE_1 src1_sel:DWORD
	v_and_b32_sdwa v23, v20, s31 dst_sel:DWORD dst_unused:UNUSED_PAD src0_sel:WORD_1 src1_sel:DWORD
	v_sub_i16 v23, v23, v47 clamp
	v_lshlrev_b16_sdwa v20, v35, v20 dst_sel:DWORD dst_unused:UNUSED_PAD src0_sel:DWORD src1_sel:WORD_1
	v_and_b32_e32 v23, 0xffffff00, v23
	v_sub_i16 v20, v20, v27 clamp
	v_or_b32_sdwa v20, v20, v23 dst_sel:WORD_1 dst_unused:UNUSED_PAD src0_sel:BYTE_1 src1_sel:DWORD
	v_xor_b32_e32 v21, v21, v51
	v_or_b32_sdwa v20, v22, v20 dst_sel:DWORD dst_unused:UNUSED_PAD src0_sel:WORD_0 src1_sel:DWORD
	v_and_b32_e32 v22, 0xffffff00, v21
	v_sub_i16 v22, v22, v49 clamp
	v_lshlrev_b16_e32 v23, 8, v21
	v_lshlrev_b16_e32 v27, 8, v48
	v_and_b32_e32 v22, 0xffffff00, v22
	v_sub_i16 v23, v23, v27 clamp
	v_or_b32_sdwa v22, v23, v22 dst_sel:DWORD dst_unused:UNUSED_PAD src0_sel:BYTE_1 src1_sel:DWORD
	v_and_b32_sdwa v23, v21, s31 dst_sel:DWORD dst_unused:UNUSED_PAD src0_sel:WORD_1 src1_sel:DWORD
	v_sub_i16 v23, v23, v52 clamp
	v_lshlrev_b16_sdwa v21, v35, v21 dst_sel:DWORD dst_unused:UNUSED_PAD src0_sel:DWORD src1_sel:WORD_1
	v_lshlrev_b16_e32 v27, 8, v50
	v_and_b32_e32 v23, 0xffffff00, v23
	v_sub_i16 v21, v21, v27 clamp
	v_or_b32_sdwa v21, v21, v23 dst_sel:WORD_1 dst_unused:UNUSED_PAD src0_sel:BYTE_1 src1_sel:DWORD
	v_mov_b32_e32 v32, 0
	v_or_b32_sdwa v21, v22, v21 dst_sel:DWORD dst_unused:UNUSED_PAD src0_sel:WORD_0 src1_sel:DWORD
	v_dot4c_i32_i8_e32 v32, v20, v1
	v_dot4c_i32_i8_e32 v32, v21, v2
	v_lshlrev_b32_e32 v21, 5, v39
	v_lshrrev_b16_e32 v21, 7, v21
	v_lshlrev_b32_e32 v20, 2, v26
	v_bfe_i32 v26, v21, 0, 1
	v_bfe_u32 v21, v40, 27, 1
	v_lshrrev_b32_e32 v23, 25, v40
	v_cmp_ne_u16_e32 vcc, 0, v21
	v_lshlrev_b16_e32 v22, 7, v38
	v_bfe_i32 v23, v23, 0, 1
	v_cndmask_b32_e64 v21, 0, -1, vcc
	v_ashrrev_i16_e32 v22, 15, v22
	v_lshlrev_b16_e32 v23, 8, v23
	v_lshlrev_b16_e32 v38, 8, v21
	v_or_b32_sdwa v27, v22, v23 dst_sel:DWORD dst_unused:UNUSED_PAD src0_sel:BYTE_0 src1_sel:DWORD
	v_or_b32_sdwa v21, v26, v38 dst_sel:WORD_1 dst_unused:UNUSED_PAD src0_sel:BYTE_0 src1_sel:DWORD
	v_lshrrev_b32_e32 v48, 29, v40
	v_or_b32_sdwa v27, v27, v21 dst_sel:DWORD dst_unused:UNUSED_PAD src0_sel:WORD_0 src1_sel:DWORD
	v_lshlrev_b32_e32 v21, 1, v39
	v_lshrrev_b16_e32 v21, 7, v21
	v_bfe_i32 v49, v21, 0, 1
	v_lshrrev_b32_e32 v21, 31, v40
	v_cmp_ne_u16_e32 vcc, 0, v21
	v_and_b32_e32 v47, 0x300, v20
	v_bfe_i32 v48, v48, 0, 1
	v_cndmask_b32_e64 v21, 0, -1, vcc
	v_or_b32_sdwa v20, v47, v41 dst_sel:DWORD dst_unused:UNUSED_PAD src0_sel:DWORD src1_sel:BYTE_3
	v_bfe_i32 v39, v39, 4, 1
	v_lshlrev_b16_e32 v48, 8, v48
	v_lshlrev_b16_e32 v51, 8, v21
	v_lshlrev_b32_e32 v20, 3, v20
	v_or_b32_sdwa v50, v39, v48 dst_sel:DWORD dst_unused:UNUSED_PAD src0_sel:BYTE_0 src1_sel:DWORD
	v_or_b32_sdwa v21, v49, v51 dst_sel:WORD_1 dst_unused:UNUSED_PAD src0_sel:BYTE_0 src1_sel:DWORD
	v_lshlrev_b16_e32 v22, 8, v22
	v_or_b32_sdwa v50, v50, v21 dst_sel:DWORD dst_unused:UNUSED_PAD src0_sel:WORD_0 src1_sel:DWORD
	global_load_dwordx2 v[20:21], v20, s[20:21]
	v_lshlrev_b16_e32 v26, 8, v26
	s_waitcnt vmcnt(0)
	v_xor_b32_e32 v20, v20, v27
	v_and_b32_e32 v27, 0xffffff00, v20
	v_sub_i16 v23, v27, v23 clamp
	v_lshlrev_b16_e32 v27, 8, v20
	v_and_b32_e32 v23, 0xffffff00, v23
	v_sub_i16 v22, v27, v22 clamp
	v_or_b32_sdwa v22, v22, v23 dst_sel:DWORD dst_unused:UNUSED_PAD src0_sel:BYTE_1 src1_sel:DWORD
	v_and_b32_sdwa v23, v20, s31 dst_sel:DWORD dst_unused:UNUSED_PAD src0_sel:WORD_1 src1_sel:DWORD
	v_sub_i16 v23, v23, v38 clamp
	v_lshlrev_b16_sdwa v20, v35, v20 dst_sel:DWORD dst_unused:UNUSED_PAD src0_sel:DWORD src1_sel:WORD_1
	v_and_b32_e32 v23, 0xffffff00, v23
	v_sub_i16 v20, v20, v26 clamp
	v_or_b32_sdwa v20, v20, v23 dst_sel:WORD_1 dst_unused:UNUSED_PAD src0_sel:BYTE_1 src1_sel:DWORD
	v_xor_b32_e32 v21, v21, v50
	v_or_b32_sdwa v20, v22, v20 dst_sel:DWORD dst_unused:UNUSED_PAD src0_sel:WORD_0 src1_sel:DWORD
	v_and_b32_e32 v22, 0xffffff00, v21
	v_sub_i16 v22, v22, v48 clamp
	v_lshlrev_b16_e32 v23, 8, v21
	v_lshlrev_b16_e32 v26, 8, v39
	v_and_b32_e32 v22, 0xffffff00, v22
	v_sub_i16 v23, v23, v26 clamp
	v_or_b32_sdwa v22, v23, v22 dst_sel:DWORD dst_unused:UNUSED_PAD src0_sel:BYTE_1 src1_sel:DWORD
	v_and_b32_sdwa v23, v21, s31 dst_sel:DWORD dst_unused:UNUSED_PAD src0_sel:WORD_1 src1_sel:DWORD
	v_sub_i16 v23, v23, v51 clamp
	v_lshlrev_b16_sdwa v21, v35, v21 dst_sel:DWORD dst_unused:UNUSED_PAD src0_sel:DWORD src1_sel:WORD_1
	v_lshlrev_b16_e32 v26, 8, v49
	v_and_b32_e32 v23, 0xffffff00, v23
	v_sub_i16 v21, v21, v26 clamp
	v_or_b32_sdwa v21, v21, v23 dst_sel:WORD_1 dst_unused:UNUSED_PAD src0_sel:BYTE_1 src1_sel:DWORD
	v_dot4c_i32_i8_e32 v32, v20, v3
	v_or_b32_sdwa v21, v22, v21 dst_sel:DWORD dst_unused:UNUSED_PAD src0_sel:WORD_0 src1_sel:DWORD
	v_add_u32_e32 v20, s8, v33
	v_dot4c_i32_i8_e32 v32, v21, v30
	v_mad_i64_i32 v[20:21], s[34:35], v20, s23, v[14:15]
	v_lshl_add_u64 v[26:27], v[20:21], 0, v[16:17]
	global_load_ushort v48, v[24:25], off
	global_load_ushort v49, v[26:27], off offset:2
	global_load_dword v39, v[26:27], off offset:2
	v_lshl_add_u64 v[22:23], v[20:21], 0, v[10:11]
	global_load_ubyte v54, v[22:23], off offset:66
	global_load_ushort v55, v[26:27], off offset:34
	global_load_dword v38, v[26:27], off offset:34
	s_waitcnt vmcnt(4)
	v_lshrrev_b16_e32 v53, 8, v49
	v_and_b32_sdwa v49, s29, v49 dst_sel:DWORD dst_unused:UNUSED_PAD src0_sel:DWORD src1_sel:BYTE_0
	s_waitcnt vmcnt(2)
	v_lshlrev_b32_e32 v50, 8, v54
	v_and_or_b32 v49, v50, s30, v49
	s_waitcnt vmcnt(1)
	v_and_b32_sdwa v50, s29, v55 dst_sel:DWORD dst_unused:UNUSED_PAD src0_sel:DWORD src1_sel:BYTE_0
	v_lshlrev_b32_e32 v51, 5, v50
	v_lshrrev_b16_e32 v51, 7, v51
	v_bfe_i32 v60, v51, 0, 1
	v_bfe_u32 v51, v50, 3, 1
	v_lshrrev_b32_e32 v59, 1, v50
	v_cmp_ne_u16_e32 vcc, 0, v51
	v_and_b32_e32 v58, 1, v55
	v_bfe_i32 v59, v59, 0, 1
	v_cndmask_b32_e64 v51, 0, -1, vcc
	v_sub_u16_e32 v58, 0, v58
	v_lshlrev_b16_e32 v59, 8, v59
	v_lshlrev_b16_e32 v62, 8, v51
	v_or_b32_sdwa v61, v58, v59 dst_sel:DWORD dst_unused:UNUSED_PAD src0_sel:BYTE_0 src1_sel:DWORD
	v_or_b32_sdwa v51, v60, v62 dst_sel:WORD_1 dst_unused:UNUSED_PAD src0_sel:BYTE_0 src1_sel:DWORD
	v_bfe_i32 v63, v50, 4, 1
	v_or_b32_sdwa v61, v61, v51 dst_sel:DWORD dst_unused:UNUSED_PAD src0_sel:WORD_0 src1_sel:DWORD
	v_lshlrev_b32_e32 v51, 1, v50
	v_lshrrev_b32_e32 v64, 5, v50
	v_lshrrev_b32_e32 v50, 7, v50
	v_cmp_ne_u16_e32 vcc, 0, v50
	v_bfe_i32 v64, v64, 0, 1
	v_lshrrev_b16_e32 v51, 7, v51
	v_cndmask_b32_e64 v50, 0, -1, vcc
	v_bfe_i32 v65, v51, 0, 1
	v_lshlrev_b16_e32 v64, 8, v64
	v_lshlrev_b16_e32 v66, 8, v50
	v_lshlrev_b32_e32 v49, 3, v49
	v_or_b32_sdwa v51, v63, v64 dst_sel:DWORD dst_unused:UNUSED_PAD src0_sel:BYTE_0 src1_sel:DWORD
	v_or_b32_sdwa v50, v65, v66 dst_sel:WORD_1 dst_unused:UNUSED_PAD src0_sel:BYTE_0 src1_sel:DWORD
	v_lshlrev_b16_e32 v58, 8, v58
	v_or_b32_sdwa v67, v51, v50 dst_sel:DWORD dst_unused:UNUSED_PAD src0_sel:WORD_0 src1_sel:DWORD
	global_load_dwordx2 v[50:51], v49, s[20:21]
	s_waitcnt vmcnt(1)
	v_lshrrev_b32_e32 v56, 16, v38
	v_lshrrev_b32_e32 v52, 16, v39
	;; [unrolled: 1-line block ×3, first 2 shown]
	s_waitcnt vmcnt(0)
	v_xor_b32_e32 v49, v50, v61
	v_and_b32_e32 v50, 0xffffff00, v49
	v_sub_i16 v50, v50, v59 clamp
	v_lshlrev_b16_e32 v59, 8, v49
	v_and_b32_e32 v50, 0xffffff00, v50
	v_sub_i16 v58, v59, v58 clamp
	v_or_b32_sdwa v50, v58, v50 dst_sel:DWORD dst_unused:UNUSED_PAD src0_sel:BYTE_1 src1_sel:DWORD
	v_and_b32_sdwa v58, v49, s31 dst_sel:DWORD dst_unused:UNUSED_PAD src0_sel:WORD_1 src1_sel:DWORD
	v_sub_i16 v58, v58, v62 clamp
	v_lshlrev_b16_sdwa v49, v35, v49 dst_sel:DWORD dst_unused:UNUSED_PAD src0_sel:DWORD src1_sel:WORD_1
	v_lshlrev_b16_e32 v59, 8, v60
	v_and_b32_e32 v58, 0xffffff00, v58
	v_sub_i16 v49, v49, v59 clamp
	v_or_b32_sdwa v49, v49, v58 dst_sel:WORD_1 dst_unused:UNUSED_PAD src0_sel:BYTE_1 src1_sel:DWORD
	v_lshlrev_b16_e32 v59, 8, v63
	v_or_b32_sdwa v58, v50, v49 dst_sel:DWORD dst_unused:UNUSED_PAD src0_sel:WORD_0 src1_sel:DWORD
	v_xor_b32_e32 v49, v51, v67
	v_and_b32_e32 v50, 0xffffff00, v49
	v_sub_i16 v50, v50, v64 clamp
	v_lshlrev_b16_e32 v51, 8, v49
	v_and_b32_e32 v50, 0xffffff00, v50
	v_sub_i16 v51, v51, v59 clamp
	v_or_b32_sdwa v50, v51, v50 dst_sel:DWORD dst_unused:UNUSED_PAD src0_sel:BYTE_1 src1_sel:DWORD
	v_and_b32_sdwa v51, v49, s31 dst_sel:DWORD dst_unused:UNUSED_PAD src0_sel:WORD_1 src1_sel:DWORD
	v_sub_i16 v51, v51, v66 clamp
	v_lshlrev_b16_sdwa v49, v35, v49 dst_sel:DWORD dst_unused:UNUSED_PAD src0_sel:DWORD src1_sel:WORD_1
	v_lshlrev_b16_e32 v59, 8, v65
	v_and_b32_e32 v51, 0xffffff00, v51
	v_sub_i16 v49, v49, v59 clamp
	v_or_b32_sdwa v49, v49, v51 dst_sel:WORD_1 dst_unused:UNUSED_PAD src0_sel:BYTE_1 src1_sel:DWORD
	v_lshlrev_b16_e32 v51, 7, v55
	v_or_b32_sdwa v59, v50, v49 dst_sel:DWORD dst_unused:UNUSED_PAD src0_sel:WORD_0 src1_sel:DWORD
	v_mov_b32_e32 v49, 0
	v_dot4c_i32_i8_e32 v49, v58, v5
	v_dot4c_i32_i8_e32 v49, v59, v6
	v_lshrrev_b16_e32 v6, 8, v55
	v_lshlrev_b32_e32 v50, 5, v6
	v_lshrrev_b16_e32 v50, 7, v50
	v_lshlrev_b32_e32 v5, 6, v54
	v_bfe_i32 v55, v50, 0, 1
	v_bfe_u32 v50, v6, 3, 1
	v_and_or_b32 v5, v5, s30, v53
	v_ashrrev_i16_e32 v53, 15, v51
	v_lshrrev_b32_e32 v51, 1, v6
	v_cmp_ne_u16_e32 vcc, 0, v50
	v_bfe_i32 v51, v51, 0, 1
	v_lshlrev_b16_e32 v60, 8, v51
	v_cndmask_b32_e64 v50, 0, -1, vcc
	v_lshlrev_b16_e32 v61, 8, v50
	v_or_b32_sdwa v51, v53, v60 dst_sel:DWORD dst_unused:UNUSED_PAD src0_sel:BYTE_0 src1_sel:DWORD
	v_or_b32_sdwa v50, v55, v61 dst_sel:WORD_1 dst_unused:UNUSED_PAD src0_sel:BYTE_0 src1_sel:DWORD
	v_bfe_i32 v63, v6, 4, 1
	v_or_b32_sdwa v62, v51, v50 dst_sel:DWORD dst_unused:UNUSED_PAD src0_sel:WORD_0 src1_sel:DWORD
	v_lshlrev_b32_e32 v50, 1, v6
	v_lshrrev_b32_e32 v51, 5, v6
	v_lshrrev_b32_e32 v6, 7, v6
	v_cmp_ne_u16_e32 vcc, 0, v6
	v_bfe_i32 v51, v51, 0, 1
	v_lshrrev_b16_e32 v50, 7, v50
	v_cndmask_b32_e64 v6, 0, -1, vcc
	v_bfe_i32 v64, v50, 0, 1
	v_lshlrev_b16_e32 v65, 8, v51
	v_lshlrev_b16_e32 v6, 8, v6
	v_lshlrev_b32_e32 v5, 3, v5
	v_or_b32_sdwa v50, v63, v65 dst_sel:DWORD dst_unused:UNUSED_PAD src0_sel:BYTE_0 src1_sel:DWORD
	v_or_b32_sdwa v51, v64, v6 dst_sel:WORD_1 dst_unused:UNUSED_PAD src0_sel:BYTE_0 src1_sel:DWORD
	v_lshlrev_b16_e32 v53, 8, v53
	v_or_b32_sdwa v66, v50, v51 dst_sel:DWORD dst_unused:UNUSED_PAD src0_sel:WORD_0 src1_sel:DWORD
	global_load_dwordx2 v[50:51], v5, s[20:21]
	v_lshlrev_b16_e32 v55, 8, v55
	s_waitcnt vmcnt(0)
	v_xor_b32_e32 v5, v50, v62
	v_and_b32_e32 v50, 0xffffff00, v5
	v_sub_i16 v50, v50, v60 clamp
	v_lshlrev_b16_e32 v60, 8, v5
	v_and_b32_e32 v50, 0xffffff00, v50
	v_sub_i16 v53, v60, v53 clamp
	v_or_b32_sdwa v50, v53, v50 dst_sel:DWORD dst_unused:UNUSED_PAD src0_sel:BYTE_1 src1_sel:DWORD
	v_and_b32_sdwa v53, v5, s31 dst_sel:DWORD dst_unused:UNUSED_PAD src0_sel:WORD_1 src1_sel:DWORD
	v_sub_i16 v53, v53, v61 clamp
	v_lshlrev_b16_sdwa v5, v35, v5 dst_sel:DWORD dst_unused:UNUSED_PAD src0_sel:DWORD src1_sel:WORD_1
	v_and_b32_e32 v53, 0xffffff00, v53
	v_sub_i16 v5, v5, v55 clamp
	v_or_b32_sdwa v5, v5, v53 dst_sel:WORD_1 dst_unused:UNUSED_PAD src0_sel:BYTE_1 src1_sel:DWORD
	v_lshlrev_b16_e32 v53, 8, v63
	v_or_b32_sdwa v55, v50, v5 dst_sel:DWORD dst_unused:UNUSED_PAD src0_sel:WORD_0 src1_sel:DWORD
	v_xor_b32_e32 v5, v51, v66
	v_and_b32_e32 v50, 0xffffff00, v5
	v_sub_i16 v50, v50, v65 clamp
	v_lshlrev_b16_e32 v51, 8, v5
	v_and_b32_e32 v50, 0xffffff00, v50
	v_sub_i16 v51, v51, v53 clamp
	v_or_b32_sdwa v50, v51, v50 dst_sel:DWORD dst_unused:UNUSED_PAD src0_sel:BYTE_1 src1_sel:DWORD
	v_and_b32_sdwa v51, v5, s31 dst_sel:DWORD dst_unused:UNUSED_PAD src0_sel:WORD_1 src1_sel:DWORD
	v_sub_i16 v6, v51, v6 clamp
	v_lshlrev_b16_sdwa v5, v35, v5 dst_sel:DWORD dst_unused:UNUSED_PAD src0_sel:DWORD src1_sel:WORD_1
	v_lshlrev_b16_e32 v51, 8, v64
	v_and_b32_e32 v6, 0xffffff00, v6
	v_sub_i16 v5, v5, v51 clamp
	v_or_b32_sdwa v5, v5, v6 dst_sel:WORD_1 dst_unused:UNUSED_PAD src0_sel:BYTE_1 src1_sel:DWORD
	v_dot4c_i32_i8_e32 v49, v55, v7
	v_or_b32_sdwa v60, v50, v5 dst_sel:DWORD dst_unused:UNUSED_PAD src0_sel:WORD_0 src1_sel:DWORD
	v_and_b32_e32 v6, 1, v56
	v_bfe_u32 v7, v38, 19, 1
	v_dot4c_i32_i8_e32 v49, v60, v0
	v_lshlrev_b32_e32 v0, 4, v54
	v_lshlrev_b32_sdwa v5, v36, v38 dst_sel:DWORD dst_unused:UNUSED_PAD src0_sel:DWORD src1_sel:BYTE_2
	v_sub_u16_e32 v50, 0, v6
	v_bfe_u32 v6, v56, 1, 7
	v_cmp_ne_u16_e32 vcc, 0, v7
	v_and_b32_e32 v61, 0x300, v0
	v_bfe_i32 v6, v6, 0, 1
	v_lshrrev_b16_e32 v5, 7, v5
	v_cndmask_b32_e64 v7, 0, -1, vcc
	v_and_or_b32 v0, v52, s28, v61
	v_bfe_i32 v5, v5, 0, 1
	v_lshlrev_b16_e32 v51, 8, v6
	v_lshlrev_b16_e32 v52, 8, v7
	v_or_b32_sdwa v6, v50, v51 dst_sel:DWORD dst_unused:UNUSED_PAD src0_sel:BYTE_0 src1_sel:DWORD
	v_or_b32_sdwa v7, v5, v52 dst_sel:WORD_1 dst_unused:UNUSED_PAD src0_sel:BYTE_0 src1_sel:DWORD
	v_bfe_i32 v62, v38, 20, 1
	v_or_b32_sdwa v53, v6, v7 dst_sel:DWORD dst_unused:UNUSED_PAD src0_sel:WORD_0 src1_sel:DWORD
	v_lshlrev_b32_sdwa v6, v37, v38 dst_sel:DWORD dst_unused:UNUSED_PAD src0_sel:DWORD src1_sel:BYTE_2
	v_lshrrev_b16_e32 v6, 7, v6
	v_bfe_i32 v63, v6, 0, 1
	v_bfe_u32 v6, v56, 7, 1
	v_bfe_u32 v7, v56, 5, 3
	v_cmp_ne_u16_e32 vcc, 0, v6
	v_bfe_i32 v7, v7, 0, 1
	v_lshlrev_b16_e32 v64, 8, v7
	v_cndmask_b32_e64 v6, 0, -1, vcc
	v_lshlrev_b16_e32 v65, 8, v6
	v_lshlrev_b32_e32 v0, 3, v0
	v_or_b32_sdwa v7, v62, v64 dst_sel:DWORD dst_unused:UNUSED_PAD src0_sel:BYTE_0 src1_sel:DWORD
	v_or_b32_sdwa v6, v63, v65 dst_sel:WORD_1 dst_unused:UNUSED_PAD src0_sel:BYTE_0 src1_sel:DWORD
	v_lshlrev_b16_e32 v50, 8, v50
	v_or_b32_sdwa v66, v7, v6 dst_sel:DWORD dst_unused:UNUSED_PAD src0_sel:WORD_0 src1_sel:DWORD
	global_load_dwordx2 v[6:7], v0, s[20:21]
	v_lshlrev_b16_e32 v5, 8, v5
	s_waitcnt vmcnt(0)
	v_xor_b32_e32 v0, v6, v53
	v_and_b32_e32 v6, 0xffffff00, v0
	v_sub_i16 v6, v6, v51 clamp
	v_lshlrev_b16_e32 v51, 8, v0
	v_and_b32_e32 v6, 0xffffff00, v6
	v_sub_i16 v50, v51, v50 clamp
	v_or_b32_sdwa v6, v50, v6 dst_sel:DWORD dst_unused:UNUSED_PAD src0_sel:BYTE_1 src1_sel:DWORD
	v_and_b32_sdwa v50, v0, s31 dst_sel:DWORD dst_unused:UNUSED_PAD src0_sel:WORD_1 src1_sel:DWORD
	v_sub_i16 v50, v50, v52 clamp
	v_lshlrev_b16_sdwa v0, v35, v0 dst_sel:DWORD dst_unused:UNUSED_PAD src0_sel:DWORD src1_sel:WORD_1
	v_and_b32_e32 v50, 0xffffff00, v50
	v_sub_i16 v0, v0, v5 clamp
	v_or_b32_sdwa v0, v0, v50 dst_sel:WORD_1 dst_unused:UNUSED_PAD src0_sel:BYTE_1 src1_sel:DWORD
	v_xor_b32_e32 v5, v7, v66
	v_or_b32_sdwa v0, v6, v0 dst_sel:DWORD dst_unused:UNUSED_PAD src0_sel:WORD_0 src1_sel:DWORD
	v_and_b32_e32 v6, 0xffffff00, v5
	v_sub_i16 v6, v6, v64 clamp
	v_lshlrev_b16_e32 v7, 8, v5
	v_lshlrev_b16_e32 v50, 8, v62
	v_and_b32_e32 v6, 0xffffff00, v6
	v_sub_i16 v7, v7, v50 clamp
	v_or_b32_sdwa v6, v7, v6 dst_sel:DWORD dst_unused:UNUSED_PAD src0_sel:BYTE_1 src1_sel:DWORD
	v_and_b32_sdwa v7, v5, s31 dst_sel:DWORD dst_unused:UNUSED_PAD src0_sel:WORD_1 src1_sel:DWORD
	v_sub_i16 v7, v7, v65 clamp
	v_lshlrev_b16_sdwa v5, v35, v5 dst_sel:DWORD dst_unused:UNUSED_PAD src0_sel:DWORD src1_sel:WORD_1
	v_lshlrev_b16_e32 v50, 8, v63
	v_and_b32_e32 v7, 0xffffff00, v7
	v_sub_i16 v5, v5, v50 clamp
	v_or_b32_sdwa v5, v5, v7 dst_sel:WORD_1 dst_unused:UNUSED_PAD src0_sel:BYTE_1 src1_sel:DWORD
	v_lshrrev_b32_e32 v53, 29, v38
	v_or_b32_sdwa v5, v6, v5 dst_sel:DWORD dst_unused:UNUSED_PAD src0_sel:WORD_0 src1_sel:DWORD
	v_mov_b32_e32 v6, 0
	v_dot4c_i32_i8_e32 v6, v0, v1
	v_lshlrev_b32_e32 v1, 5, v57
	v_lshrrev_b16_e32 v1, 7, v1
	v_bfe_i32 v7, v1, 0, 1
	v_bfe_u32 v1, v38, 27, 1
	v_dot4c_i32_i8_e32 v6, v5, v2
	v_lshrrev_b32_e32 v5, 25, v38
	v_cmp_ne_u16_e32 vcc, 0, v1
	v_lshlrev_b16_e32 v2, 7, v56
	v_bfe_i32 v5, v5, 0, 1
	v_cndmask_b32_e64 v1, 0, -1, vcc
	v_ashrrev_i16_e32 v2, 15, v2
	v_lshlrev_b16_e32 v5, 8, v5
	v_lshlrev_b16_e32 v51, 8, v1
	v_or_b32_sdwa v50, v2, v5 dst_sel:DWORD dst_unused:UNUSED_PAD src0_sel:BYTE_0 src1_sel:DWORD
	v_or_b32_sdwa v1, v7, v51 dst_sel:WORD_1 dst_unused:UNUSED_PAD src0_sel:BYTE_0 src1_sel:DWORD
	v_lshlrev_b32_e32 v0, 2, v54
	v_or_b32_sdwa v50, v50, v1 dst_sel:DWORD dst_unused:UNUSED_PAD src0_sel:WORD_0 src1_sel:DWORD
	v_lshlrev_b32_e32 v1, 1, v57
	v_lshrrev_b16_e32 v1, 7, v1
	v_bfe_i32 v56, v1, 0, 1
	v_lshrrev_b32_e32 v1, 31, v38
	v_cmp_ne_u16_e32 vcc, 0, v1
	v_and_b32_e32 v54, 0x300, v0
	v_bfe_i32 v53, v53, 0, 1
	v_cndmask_b32_e64 v1, 0, -1, vcc
	v_or_b32_sdwa v0, v54, v39 dst_sel:DWORD dst_unused:UNUSED_PAD src0_sel:DWORD src1_sel:BYTE_3
	v_bfe_i32 v52, v57, 4, 1
	v_lshlrev_b16_e32 v53, 8, v53
	v_lshlrev_b16_e32 v62, 8, v1
	v_lshlrev_b32_e32 v0, 3, v0
	v_or_b32_sdwa v57, v52, v53 dst_sel:DWORD dst_unused:UNUSED_PAD src0_sel:BYTE_0 src1_sel:DWORD
	v_or_b32_sdwa v1, v56, v62 dst_sel:WORD_1 dst_unused:UNUSED_PAD src0_sel:BYTE_0 src1_sel:DWORD
	v_lshlrev_b16_e32 v2, 8, v2
	v_or_b32_sdwa v57, v57, v1 dst_sel:DWORD dst_unused:UNUSED_PAD src0_sel:WORD_0 src1_sel:DWORD
	global_load_dwordx2 v[0:1], v0, s[20:21]
	v_lshlrev_b16_e32 v7, 8, v7
	s_waitcnt vmcnt(0)
	v_xor_b32_e32 v0, v0, v50
	v_and_b32_e32 v50, 0xffffff00, v0
	v_sub_i16 v5, v50, v5 clamp
	v_lshlrev_b16_e32 v50, 8, v0
	v_and_b32_e32 v5, 0xffffff00, v5
	v_sub_i16 v2, v50, v2 clamp
	v_or_b32_sdwa v2, v2, v5 dst_sel:DWORD dst_unused:UNUSED_PAD src0_sel:BYTE_1 src1_sel:DWORD
	v_and_b32_sdwa v5, v0, s31 dst_sel:DWORD dst_unused:UNUSED_PAD src0_sel:WORD_1 src1_sel:DWORD
	v_sub_i16 v5, v5, v51 clamp
	v_lshlrev_b16_sdwa v0, v35, v0 dst_sel:DWORD dst_unused:UNUSED_PAD src0_sel:DWORD src1_sel:WORD_1
	v_and_b32_e32 v5, 0xffffff00, v5
	v_sub_i16 v0, v0, v7 clamp
	v_or_b32_sdwa v0, v0, v5 dst_sel:WORD_1 dst_unused:UNUSED_PAD src0_sel:BYTE_1 src1_sel:DWORD
	v_xor_b32_e32 v1, v1, v57
	v_or_b32_sdwa v0, v2, v0 dst_sel:DWORD dst_unused:UNUSED_PAD src0_sel:WORD_0 src1_sel:DWORD
	v_and_b32_e32 v2, 0xffffff00, v1
	v_sub_i16 v2, v2, v53 clamp
	v_lshlrev_b16_e32 v5, 8, v1
	v_lshlrev_b16_e32 v7, 8, v52
	v_and_b32_e32 v2, 0xffffff00, v2
	v_sub_i16 v5, v5, v7 clamp
	v_or_b32_sdwa v2, v5, v2 dst_sel:DWORD dst_unused:UNUSED_PAD src0_sel:BYTE_1 src1_sel:DWORD
	v_and_b32_sdwa v5, v1, s31 dst_sel:DWORD dst_unused:UNUSED_PAD src0_sel:WORD_1 src1_sel:DWORD
	v_sub_i16 v5, v5, v62 clamp
	v_lshlrev_b16_sdwa v1, v35, v1 dst_sel:DWORD dst_unused:UNUSED_PAD src0_sel:DWORD src1_sel:WORD_1
	v_lshlrev_b16_e32 v7, 8, v56
	v_and_b32_e32 v5, 0xffffff00, v5
	v_sub_i16 v1, v1, v7 clamp
	v_or_b32_sdwa v1, v1, v5 dst_sel:WORD_1 dst_unused:UNUSED_PAD src0_sel:BYTE_1 src1_sel:DWORD
	v_dot4c_i32_i8_e32 v6, v0, v3
	v_or_b32_sdwa v1, v2, v1 dst_sel:DWORD dst_unused:UNUSED_PAD src0_sel:WORD_0 src1_sel:DWORD
	v_dot4c_i32_i8_e32 v6, v1, v30
	global_load_ushort v0, v[20:21], off
	global_load_ubyte v1, v[18:19], off offset:74
	global_load_ubyte v2, v[22:23], off offset:74
	v_add_u32_e32 v7, v32, v31
	v_lshrrev_b32_e32 v30, 31, v7
	v_add_u32_e32 v7, v7, v30
	v_ashrrev_i32_e32 v7, 1, v7
	s_waitcnt vmcnt(1)
	v_lshrrev_b32_e32 v57, 4, v1
	s_waitcnt vmcnt(0)
	v_lshrrev_b32_e32 v56, 4, v2
	v_and_b32_e32 v63, 15, v1
	v_mul_lo_u32 v5, v6, v56
	v_add_u32_e32 v6, v6, v49
	v_mul_lo_u32 v1, v31, v63
	v_mul_lo_u32 v3, v32, v57
	v_lshrrev_b32_e32 v30, 31, v6
	v_and_b32_e32 v62, 15, v2
	v_add_u32_e32 v6, v6, v30
	v_add3_u32 v1, v3, v1, v7
	v_mul_lo_u32 v2, v49, v62
	v_ashrrev_i32_e32 v6, 1, v6
	v_ashrrev_i32_e32 v3, 31, v1
	v_add3_u32 v2, v5, v2, v6
	v_lshrrev_b32_e32 v3, 30, v3
	v_add_u32_e32 v1, v1, v3
	v_ashrrev_i32_e32 v3, 31, v2
	v_lshrrev_b32_e32 v3, 30, v3
	v_add_u32_e32 v2, v2, v3
	v_ashrrev_i32_e32 v1, 2, v1
	v_ashrrev_i32_e32 v2, 2, v2
	v_cvt_f32_f16_e32 v31, v0
	v_cvt_f32_i32_e32 v7, v2
	v_cvt_f32_i32_e32 v6, v1
	scratch_load_dwordx4 v[0:3], off, off
	v_cvt_f32_f16_e32 v30, v48
	v_pk_mul_f32 v[4:5], v[4:5], v[30:31] op_sel_hi:[0,1]
	s_waitcnt vmcnt(0)
	v_pk_fma_f32 v[0:1], v[4:5], v[6:7], v[0:1]
	v_add_u32_e32 v4, s9, v34
	v_mad_u64_u32 v[4:5], s[34:35], v4, 36, s[24:25]
	v_mad_u64_u32 v[52:53], s[34:35], v10, 36, v[4:5]
	global_load_dword v64, v[52:53], off offset:32
	global_load_dwordx4 v[4:7], v[52:53], off offset:16
	global_load_dwordx4 v[48:51], v[52:53], off
	v_mov_b32_e32 v53, 0
	s_waitcnt vmcnt(0)
	v_cvt_f32_f16_e32 v32, v48
	global_load_ushort v48, v[28:29], off offset:4
	global_load_ushort v52, v[28:29], off offset:36
	v_dot4c_i32_i8_e32 v53, v42, v49
	v_dot4c_i32_i8_e32 v53, v43, v50
	v_dot4c_i32_i8_e32 v53, v44, v51
	v_dot4c_i32_i8_e32 v53, v45, v4
	s_waitcnt vmcnt(1)
	v_and_b32_sdwa v42, s29, v48 dst_sel:DWORD dst_unused:UNUSED_PAD src0_sel:DWORD src1_sel:BYTE_0
	s_waitcnt vmcnt(0)
	v_and_b32_sdwa v43, s29, v52 dst_sel:DWORD dst_unused:UNUSED_PAD src0_sel:DWORD src1_sel:BYTE_0
	v_bfe_u32 v65, v43, 3, 1
	v_or_b32_e32 v42, v46, v42
	v_lshlrev_b32_e32 v44, 5, v43
	v_lshrrev_b32_e32 v46, 1, v43
	v_cmp_ne_u16_e32 vcc, 0, v65
	v_and_b32_e32 v45, 1, v52
	v_bfe_i32 v46, v46, 0, 1
	v_lshrrev_b16_e32 v44, 7, v44
	v_cndmask_b32_e64 v65, 0, -1, vcc
	v_sub_u16_e32 v45, 0, v45
	v_bfe_i32 v44, v44, 0, 1
	v_lshlrev_b16_e32 v46, 8, v46
	v_lshlrev_b16_e32 v65, 8, v65
	v_or_b32_sdwa v66, v45, v46 dst_sel:DWORD dst_unused:UNUSED_PAD src0_sel:BYTE_0 src1_sel:DWORD
	v_or_b32_sdwa v67, v44, v65 dst_sel:WORD_1 dst_unused:UNUSED_PAD src0_sel:BYTE_0 src1_sel:DWORD
	v_bfe_i32 v68, v43, 4, 1
	v_or_b32_sdwa v66, v66, v67 dst_sel:DWORD dst_unused:UNUSED_PAD src0_sel:WORD_0 src1_sel:DWORD
	v_lshlrev_b32_e32 v67, 1, v43
	v_lshrrev_b32_e32 v69, 5, v43
	v_lshrrev_b32_e32 v43, 7, v43
	v_cmp_ne_u16_e32 vcc, 0, v43
	v_bfe_i32 v69, v69, 0, 1
	v_lshrrev_b16_e32 v67, 7, v67
	v_cndmask_b32_e64 v43, 0, -1, vcc
	v_bfe_i32 v67, v67, 0, 1
	v_lshlrev_b16_e32 v69, 8, v69
	v_lshlrev_b16_e32 v71, 8, v43
	v_lshlrev_b32_e32 v42, 3, v42
	v_or_b32_sdwa v70, v68, v69 dst_sel:DWORD dst_unused:UNUSED_PAD src0_sel:BYTE_0 src1_sel:DWORD
	v_or_b32_sdwa v43, v67, v71 dst_sel:WORD_1 dst_unused:UNUSED_PAD src0_sel:BYTE_0 src1_sel:DWORD
	v_lshlrev_b16_e32 v45, 8, v45
	v_or_b32_sdwa v70, v70, v43 dst_sel:DWORD dst_unused:UNUSED_PAD src0_sel:WORD_0 src1_sel:DWORD
	global_load_dwordx2 v[42:43], v42, s[20:21]
	v_lshlrev_b16_e32 v44, 8, v44
	s_waitcnt vmcnt(0)
	v_xor_b32_e32 v42, v42, v66
	v_and_b32_e32 v66, 0xffffff00, v42
	v_sub_i16 v46, v66, v46 clamp
	v_lshlrev_b16_e32 v66, 8, v42
	v_and_b32_e32 v46, 0xffffff00, v46
	v_sub_i16 v45, v66, v45 clamp
	v_or_b32_sdwa v45, v45, v46 dst_sel:DWORD dst_unused:UNUSED_PAD src0_sel:BYTE_1 src1_sel:DWORD
	v_and_b32_sdwa v46, v42, s31 dst_sel:DWORD dst_unused:UNUSED_PAD src0_sel:WORD_1 src1_sel:DWORD
	v_sub_i16 v46, v46, v65 clamp
	v_lshlrev_b16_sdwa v42, v35, v42 dst_sel:DWORD dst_unused:UNUSED_PAD src0_sel:DWORD src1_sel:WORD_1
	v_and_b32_e32 v46, 0xffffff00, v46
	v_sub_i16 v42, v42, v44 clamp
	v_xor_b32_e32 v43, v43, v70
	v_or_b32_sdwa v42, v42, v46 dst_sel:WORD_1 dst_unused:UNUSED_PAD src0_sel:BYTE_1 src1_sel:DWORD
	v_and_b32_e32 v44, 0xffffff00, v43
	v_or_b32_sdwa v42, v45, v42 dst_sel:DWORD dst_unused:UNUSED_PAD src0_sel:WORD_0 src1_sel:DWORD
	v_sub_i16 v44, v44, v69 clamp
	v_lshlrev_b16_e32 v45, 8, v43
	v_lshlrev_b16_e32 v46, 8, v68
	v_and_b32_e32 v44, 0xffffff00, v44
	v_sub_i16 v45, v45, v46 clamp
	v_or_b32_sdwa v44, v45, v44 dst_sel:DWORD dst_unused:UNUSED_PAD src0_sel:BYTE_1 src1_sel:DWORD
	v_and_b32_sdwa v45, v43, s31 dst_sel:DWORD dst_unused:UNUSED_PAD src0_sel:WORD_1 src1_sel:DWORD
	v_sub_i16 v45, v45, v71 clamp
	v_lshlrev_b16_sdwa v43, v35, v43 dst_sel:DWORD dst_unused:UNUSED_PAD src0_sel:DWORD src1_sel:WORD_1
	v_lshlrev_b16_e32 v46, 8, v67
	v_and_b32_e32 v45, 0xffffff00, v45
	v_sub_i16 v43, v43, v46 clamp
	v_or_b32_sdwa v43, v43, v45 dst_sel:WORD_1 dst_unused:UNUSED_PAD src0_sel:BYTE_1 src1_sel:DWORD
	v_lshlrev_b16_e32 v46, 7, v52
	v_or_b32_sdwa v43, v44, v43 dst_sel:DWORD dst_unused:UNUSED_PAD src0_sel:WORD_0 src1_sel:DWORD
	v_mov_b32_e32 v44, 0
	v_dot4c_i32_i8_e32 v44, v42, v5
	v_dot4c_i32_i8_e32 v44, v43, v6
	v_lshrrev_b16_e32 v43, 8, v52
	v_or_b32_sdwa v42, v47, v48 dst_sel:DWORD dst_unused:UNUSED_PAD src0_sel:DWORD src1_sel:BYTE_1
	v_bfe_u32 v48, v43, 3, 1
	v_lshlrev_b32_e32 v45, 5, v43
	v_lshrrev_b32_e32 v47, 1, v43
	v_cmp_ne_u16_e32 vcc, 0, v48
	v_bfe_i32 v47, v47, 0, 1
	v_lshrrev_b16_e32 v45, 7, v45
	v_cndmask_b32_e64 v48, 0, -1, vcc
	v_ashrrev_i16_e32 v46, 15, v46
	v_bfe_i32 v45, v45, 0, 1
	v_lshlrev_b16_e32 v47, 8, v47
	v_lshlrev_b16_e32 v48, 8, v48
	v_or_b32_sdwa v52, v46, v47 dst_sel:DWORD dst_unused:UNUSED_PAD src0_sel:BYTE_0 src1_sel:DWORD
	v_or_b32_sdwa v65, v45, v48 dst_sel:WORD_1 dst_unused:UNUSED_PAD src0_sel:BYTE_0 src1_sel:DWORD
	v_bfe_i32 v66, v43, 4, 1
	v_or_b32_sdwa v52, v52, v65 dst_sel:DWORD dst_unused:UNUSED_PAD src0_sel:WORD_0 src1_sel:DWORD
	v_lshlrev_b32_e32 v65, 1, v43
	v_lshrrev_b32_e32 v67, 5, v43
	v_lshrrev_b32_e32 v43, 7, v43
	v_cmp_ne_u16_e32 vcc, 0, v43
	v_bfe_i32 v67, v67, 0, 1
	v_lshrrev_b16_e32 v65, 7, v65
	v_cndmask_b32_e64 v43, 0, -1, vcc
	v_bfe_i32 v65, v65, 0, 1
	v_lshlrev_b16_e32 v67, 8, v67
	v_lshlrev_b16_e32 v69, 8, v43
	v_lshlrev_b32_e32 v42, 3, v42
	v_or_b32_sdwa v68, v66, v67 dst_sel:DWORD dst_unused:UNUSED_PAD src0_sel:BYTE_0 src1_sel:DWORD
	v_or_b32_sdwa v43, v65, v69 dst_sel:WORD_1 dst_unused:UNUSED_PAD src0_sel:BYTE_0 src1_sel:DWORD
	v_lshlrev_b16_e32 v46, 8, v46
	v_or_b32_sdwa v68, v68, v43 dst_sel:DWORD dst_unused:UNUSED_PAD src0_sel:WORD_0 src1_sel:DWORD
	global_load_dwordx2 v[42:43], v42, s[20:21]
	v_lshlrev_b16_e32 v45, 8, v45
	s_waitcnt vmcnt(0)
	v_xor_b32_e32 v42, v42, v52
	v_and_b32_e32 v52, 0xffffff00, v42
	v_sub_i16 v47, v52, v47 clamp
	v_lshlrev_b16_e32 v52, 8, v42
	v_and_b32_e32 v47, 0xffffff00, v47
	v_sub_i16 v46, v52, v46 clamp
	v_or_b32_sdwa v46, v46, v47 dst_sel:DWORD dst_unused:UNUSED_PAD src0_sel:BYTE_1 src1_sel:DWORD
	v_and_b32_sdwa v47, v42, s31 dst_sel:DWORD dst_unused:UNUSED_PAD src0_sel:WORD_1 src1_sel:DWORD
	v_sub_i16 v47, v47, v48 clamp
	v_lshlrev_b16_sdwa v42, v35, v42 dst_sel:DWORD dst_unused:UNUSED_PAD src0_sel:DWORD src1_sel:WORD_1
	v_and_b32_e32 v47, 0xffffff00, v47
	v_sub_i16 v42, v42, v45 clamp
	v_xor_b32_e32 v43, v43, v68
	v_or_b32_sdwa v42, v42, v47 dst_sel:WORD_1 dst_unused:UNUSED_PAD src0_sel:BYTE_1 src1_sel:DWORD
	v_and_b32_e32 v45, 0xffffff00, v43
	v_or_b32_sdwa v42, v46, v42 dst_sel:DWORD dst_unused:UNUSED_PAD src0_sel:WORD_0 src1_sel:DWORD
	v_sub_i16 v45, v45, v67 clamp
	v_lshlrev_b16_e32 v46, 8, v43
	v_lshlrev_b16_e32 v47, 8, v66
	v_and_b32_e32 v45, 0xffffff00, v45
	v_sub_i16 v46, v46, v47 clamp
	v_or_b32_sdwa v45, v46, v45 dst_sel:DWORD dst_unused:UNUSED_PAD src0_sel:BYTE_1 src1_sel:DWORD
	v_and_b32_sdwa v46, v43, s31 dst_sel:DWORD dst_unused:UNUSED_PAD src0_sel:WORD_1 src1_sel:DWORD
	v_sub_i16 v46, v46, v69 clamp
	v_lshlrev_b16_sdwa v43, v35, v43 dst_sel:DWORD dst_unused:UNUSED_PAD src0_sel:DWORD src1_sel:WORD_1
	v_lshlrev_b16_e32 v47, 8, v65
	v_and_b32_e32 v46, 0xffffff00, v46
	v_sub_i16 v43, v43, v47 clamp
	v_or_b32_sdwa v43, v43, v46 dst_sel:WORD_1 dst_unused:UNUSED_PAD src0_sel:BYTE_1 src1_sel:DWORD
	v_dot4c_i32_i8_e32 v44, v42, v7
	v_or_b32_sdwa v43, v45, v43 dst_sel:DWORD dst_unused:UNUSED_PAD src0_sel:WORD_0 src1_sel:DWORD
	global_load_ushort v45, v[26:27], off offset:4
	global_load_ushort v46, v[26:27], off offset:36
	v_dot4c_i32_i8_e32 v44, v43, v64
	v_mov_b32_e32 v47, 0
	v_dot4c_i32_i8_e32 v47, v58, v49
	v_dot4c_i32_i8_e32 v47, v59, v50
	;; [unrolled: 1-line block ×4, first 2 shown]
	s_waitcnt vmcnt(1)
	v_and_b32_sdwa v4, s29, v45 dst_sel:DWORD dst_unused:UNUSED_PAD src0_sel:DWORD src1_sel:BYTE_0
	s_waitcnt vmcnt(0)
	v_and_b32_sdwa v42, s29, v46 dst_sel:DWORD dst_unused:UNUSED_PAD src0_sel:DWORD src1_sel:BYTE_0
	v_lshlrev_b32_e32 v43, 5, v42
	v_lshrrev_b16_e32 v43, 7, v43
	v_bfe_i32 v50, v43, 0, 1
	v_bfe_u32 v43, v42, 3, 1
	v_lshrrev_b32_e32 v49, 1, v42
	v_cmp_ne_u16_e32 vcc, 0, v43
	v_and_b32_e32 v48, 1, v46
	v_bfe_i32 v49, v49, 0, 1
	v_cndmask_b32_e64 v43, 0, -1, vcc
	v_sub_u16_e32 v48, 0, v48
	v_lshlrev_b16_e32 v49, 8, v49
	v_lshlrev_b16_e32 v52, 8, v43
	v_or_b32_sdwa v51, v48, v49 dst_sel:DWORD dst_unused:UNUSED_PAD src0_sel:BYTE_0 src1_sel:DWORD
	v_or_b32_sdwa v43, v50, v52 dst_sel:WORD_1 dst_unused:UNUSED_PAD src0_sel:BYTE_0 src1_sel:DWORD
	v_bfe_i32 v55, v42, 4, 1
	v_or_b32_sdwa v51, v51, v43 dst_sel:DWORD dst_unused:UNUSED_PAD src0_sel:WORD_0 src1_sel:DWORD
	v_lshlrev_b32_e32 v43, 1, v42
	v_lshrrev_b32_e32 v58, 5, v42
	v_lshrrev_b32_e32 v42, 7, v42
	v_cmp_ne_u16_e32 vcc, 0, v42
	v_bfe_i32 v58, v58, 0, 1
	v_lshrrev_b16_e32 v43, 7, v43
	v_cndmask_b32_e64 v42, 0, -1, vcc
	v_or_b32_e32 v4, v61, v4
	v_bfe_i32 v59, v43, 0, 1
	v_lshlrev_b16_e32 v58, 8, v58
	v_lshlrev_b16_e32 v60, 8, v42
	v_lshlrev_b32_e32 v4, 3, v4
	v_or_b32_sdwa v43, v55, v58 dst_sel:DWORD dst_unused:UNUSED_PAD src0_sel:BYTE_0 src1_sel:DWORD
	v_or_b32_sdwa v42, v59, v60 dst_sel:WORD_1 dst_unused:UNUSED_PAD src0_sel:BYTE_0 src1_sel:DWORD
	v_lshlrev_b16_e32 v48, 8, v48
	v_or_b32_sdwa v61, v43, v42 dst_sel:DWORD dst_unused:UNUSED_PAD src0_sel:WORD_0 src1_sel:DWORD
	global_load_dwordx2 v[42:43], v4, s[20:21]
	s_waitcnt vmcnt(0)
	v_xor_b32_e32 v4, v42, v51
	v_and_b32_e32 v42, 0xffffff00, v4
	v_sub_i16 v42, v42, v49 clamp
	v_lshlrev_b16_e32 v49, 8, v4
	v_and_b32_e32 v42, 0xffffff00, v42
	v_sub_i16 v48, v49, v48 clamp
	v_or_b32_sdwa v42, v48, v42 dst_sel:DWORD dst_unused:UNUSED_PAD src0_sel:BYTE_1 src1_sel:DWORD
	v_and_b32_sdwa v48, v4, s31 dst_sel:DWORD dst_unused:UNUSED_PAD src0_sel:WORD_1 src1_sel:DWORD
	v_sub_i16 v48, v48, v52 clamp
	v_lshlrev_b16_sdwa v4, v35, v4 dst_sel:DWORD dst_unused:UNUSED_PAD src0_sel:DWORD src1_sel:WORD_1
	v_lshlrev_b16_e32 v49, 8, v50
	v_and_b32_e32 v48, 0xffffff00, v48
	v_sub_i16 v4, v4, v49 clamp
	v_or_b32_sdwa v4, v4, v48 dst_sel:WORD_1 dst_unused:UNUSED_PAD src0_sel:BYTE_1 src1_sel:DWORD
	v_lshlrev_b16_e32 v49, 8, v55
	v_or_b32_sdwa v4, v42, v4 dst_sel:DWORD dst_unused:UNUSED_PAD src0_sel:WORD_0 src1_sel:DWORD
	v_xor_b32_e32 v42, v43, v61
	v_and_b32_e32 v43, 0xffffff00, v42
	v_sub_i16 v43, v43, v58 clamp
	v_lshlrev_b16_e32 v48, 8, v42
	v_and_b32_e32 v43, 0xffffff00, v43
	v_sub_i16 v48, v48, v49 clamp
	v_or_b32_sdwa v43, v48, v43 dst_sel:DWORD dst_unused:UNUSED_PAD src0_sel:BYTE_1 src1_sel:DWORD
	v_and_b32_sdwa v48, v42, s31 dst_sel:DWORD dst_unused:UNUSED_PAD src0_sel:WORD_1 src1_sel:DWORD
	v_sub_i16 v48, v48, v60 clamp
	v_lshlrev_b16_sdwa v42, v35, v42 dst_sel:DWORD dst_unused:UNUSED_PAD src0_sel:DWORD src1_sel:WORD_1
	v_lshlrev_b16_e32 v49, 8, v59
	v_and_b32_e32 v48, 0xffffff00, v48
	v_sub_i16 v42, v42, v49 clamp
	v_or_b32_sdwa v42, v42, v48 dst_sel:WORD_1 dst_unused:UNUSED_PAD src0_sel:BYTE_1 src1_sel:DWORD
	s_nop 0
	v_or_b32_sdwa v42, v43, v42 dst_sel:DWORD dst_unused:UNUSED_PAD src0_sel:WORD_0 src1_sel:DWORD
	v_mov_b32_e32 v43, 0
	v_dot4c_i32_i8_e32 v43, v4, v5
	v_lshrrev_b16_e32 v5, 8, v46
	v_dot4c_i32_i8_e32 v43, v42, v6
	v_lshlrev_b16_e32 v42, 7, v46
	v_bfe_u32 v46, v5, 3, 1
	v_or_b32_sdwa v4, v54, v45 dst_sel:DWORD dst_unused:UNUSED_PAD src0_sel:DWORD src1_sel:BYTE_1
	v_lshlrev_b32_e32 v6, 5, v5
	v_lshrrev_b32_e32 v45, 1, v5
	v_cmp_ne_u16_e32 vcc, 0, v46
	v_bfe_i32 v45, v45, 0, 1
	v_lshrrev_b16_e32 v6, 7, v6
	v_cndmask_b32_e64 v46, 0, -1, vcc
	v_ashrrev_i16_e32 v42, 15, v42
	v_bfe_i32 v6, v6, 0, 1
	v_lshlrev_b16_e32 v45, 8, v45
	v_lshlrev_b16_e32 v46, 8, v46
	v_or_b32_sdwa v48, v42, v45 dst_sel:DWORD dst_unused:UNUSED_PAD src0_sel:BYTE_0 src1_sel:DWORD
	v_or_b32_sdwa v49, v6, v46 dst_sel:WORD_1 dst_unused:UNUSED_PAD src0_sel:BYTE_0 src1_sel:DWORD
	v_bfe_i32 v50, v5, 4, 1
	v_or_b32_sdwa v48, v48, v49 dst_sel:DWORD dst_unused:UNUSED_PAD src0_sel:WORD_0 src1_sel:DWORD
	v_lshlrev_b32_e32 v49, 1, v5
	v_lshrrev_b32_e32 v51, 5, v5
	v_lshrrev_b32_e32 v5, 7, v5
	v_cmp_ne_u16_e32 vcc, 0, v5
	v_bfe_i32 v51, v51, 0, 1
	v_lshrrev_b16_e32 v49, 7, v49
	v_cndmask_b32_e64 v5, 0, -1, vcc
	v_bfe_i32 v49, v49, 0, 1
	v_lshlrev_b16_e32 v51, 8, v51
	v_lshlrev_b16_e32 v54, 8, v5
	v_lshlrev_b32_e32 v4, 3, v4
	v_or_b32_sdwa v52, v50, v51 dst_sel:DWORD dst_unused:UNUSED_PAD src0_sel:BYTE_0 src1_sel:DWORD
	v_or_b32_sdwa v5, v49, v54 dst_sel:WORD_1 dst_unused:UNUSED_PAD src0_sel:BYTE_0 src1_sel:DWORD
	v_lshlrev_b16_e32 v42, 8, v42
	v_or_b32_sdwa v52, v52, v5 dst_sel:DWORD dst_unused:UNUSED_PAD src0_sel:WORD_0 src1_sel:DWORD
	global_load_dwordx2 v[4:5], v4, s[20:21]
	v_lshlrev_b16_e32 v6, 8, v6
	s_waitcnt vmcnt(0)
	v_xor_b32_e32 v4, v4, v48
	v_and_b32_e32 v48, 0xffffff00, v4
	v_sub_i16 v45, v48, v45 clamp
	v_lshlrev_b16_e32 v48, 8, v4
	v_and_b32_e32 v45, 0xffffff00, v45
	v_sub_i16 v42, v48, v42 clamp
	v_or_b32_sdwa v42, v42, v45 dst_sel:DWORD dst_unused:UNUSED_PAD src0_sel:BYTE_1 src1_sel:DWORD
	v_and_b32_sdwa v45, v4, s31 dst_sel:DWORD dst_unused:UNUSED_PAD src0_sel:WORD_1 src1_sel:DWORD
	v_sub_i16 v45, v45, v46 clamp
	v_lshlrev_b16_sdwa v4, v35, v4 dst_sel:DWORD dst_unused:UNUSED_PAD src0_sel:DWORD src1_sel:WORD_1
	v_and_b32_e32 v45, 0xffffff00, v45
	v_sub_i16 v4, v4, v6 clamp
	v_xor_b32_e32 v5, v5, v52
	v_or_b32_sdwa v4, v4, v45 dst_sel:WORD_1 dst_unused:UNUSED_PAD src0_sel:BYTE_1 src1_sel:DWORD
	v_and_b32_e32 v6, 0xffffff00, v5
	v_or_b32_sdwa v4, v42, v4 dst_sel:DWORD dst_unused:UNUSED_PAD src0_sel:WORD_0 src1_sel:DWORD
	v_sub_i16 v6, v6, v51 clamp
	v_lshlrev_b16_e32 v42, 8, v5
	v_lshlrev_b16_e32 v45, 8, v50
	v_and_b32_e32 v6, 0xffffff00, v6
	v_sub_i16 v42, v42, v45 clamp
	v_or_b32_sdwa v6, v42, v6 dst_sel:DWORD dst_unused:UNUSED_PAD src0_sel:BYTE_1 src1_sel:DWORD
	v_and_b32_sdwa v42, v5, s31 dst_sel:DWORD dst_unused:UNUSED_PAD src0_sel:WORD_1 src1_sel:DWORD
	v_sub_i16 v42, v42, v54 clamp
	v_lshlrev_b16_sdwa v5, v35, v5 dst_sel:DWORD dst_unused:UNUSED_PAD src0_sel:DWORD src1_sel:WORD_1
	v_lshlrev_b16_e32 v45, 8, v49
	v_and_b32_e32 v42, 0xffffff00, v42
	v_sub_i16 v5, v5, v45 clamp
	v_or_b32_sdwa v5, v5, v42 dst_sel:WORD_1 dst_unused:UNUSED_PAD src0_sel:BYTE_1 src1_sel:DWORD
	v_dot4c_i32_i8_e32 v43, v4, v7
	v_or_b32_sdwa v5, v6, v5 dst_sel:DWORD dst_unused:UNUSED_PAD src0_sel:WORD_0 src1_sel:DWORD
	v_dot4c_i32_i8_e32 v43, v5, v64
	v_mul_lo_u32 v6, v44, v57
	v_mul_lo_u32 v4, v53, v63
	;; [unrolled: 1-line block ×4, first 2 shown]
	v_add_u32_e32 v42, v43, v47
	v_add_u32_e32 v43, v44, v53
	v_lshrrev_b32_e32 v44, 31, v43
	v_add_u32_e32 v43, v43, v44
	v_ashrrev_i32_e32 v43, 1, v43
	v_lshrrev_b32_e32 v44, 31, v42
	v_add3_u32 v4, v6, v4, v43
	v_add_u32_e32 v42, v42, v44
	v_ashrrev_i32_e32 v6, 31, v4
	v_ashrrev_i32_e32 v42, 1, v42
	v_lshrrev_b32_e32 v6, 30, v6
	v_add3_u32 v5, v7, v5, v42
	v_add_u32_e32 v4, v4, v6
	v_ashrrev_i32_e32 v6, 2, v4
	v_ashrrev_i32_e32 v4, 31, v5
	v_lshrrev_b32_e32 v4, 30, v4
	v_add_u32_e32 v4, v5, v4
	v_ashrrev_i32_e32 v7, 2, v4
	v_cvt_f32_i32_e32 v7, v7
	v_cvt_f32_i32_e32 v6, v6
	v_pk_mul_f32 v[4:5], v[32:33], v[30:31] op_sel_hi:[0,1]
	v_add_u32_e32 v33, 8, v33
	v_pk_fma_f32 v[2:3], v[4:5], v[6:7], v[2:3]
	scratch_store_dwordx4 off, v[0:3], off
	s_nop 1
	v_add_u32_e32 v0, s22, v34
	v_mad_u64_u32 v[0:1], s[34:35], v0, 36, s[24:25]
	v_mad_u64_u32 v[42:43], s[34:35], v10, 36, v[0:1]
	global_load_dword v30, v[42:43], off offset:32
	global_load_dwordx4 v[0:3], v[42:43], off offset:16
	global_load_dwordx4 v[4:7], v[42:43], off
	global_load_ushort v31, v[28:29], off offset:2
	global_load_ushort v44, v[28:29], off offset:4
	global_load_ubyte v47, v[18:19], off offset:66
	global_load_ushort v48, v[28:29], off offset:34
	global_load_ushort v49, v[28:29], off offset:36
	s_waitcnt vmcnt(4)
	v_lshrrev_b16_e32 v45, 8, v31
	v_and_b32_sdwa v31, s29, v31 dst_sel:DWORD dst_unused:UNUSED_PAD src0_sel:DWORD src1_sel:BYTE_0
	s_waitcnt vmcnt(2)
	v_lshlrev_b32_e32 v32, 8, v47
	v_and_or_b32 v31, v32, s30, v31
	s_waitcnt vmcnt(1)
	v_and_b32_sdwa v32, s29, v48 dst_sel:DWORD dst_unused:UNUSED_PAD src0_sel:DWORD src1_sel:BYTE_0
	v_lshlrev_b32_e32 v42, 5, v32
	v_lshrrev_b16_e32 v42, 7, v42
	v_and_b32_e32 v43, 1, v48
	v_bfe_i32 v51, v42, 0, 1
	v_bfe_u32 v42, v32, 3, 1
	v_sub_u16_e32 v50, 0, v43
	v_lshrrev_b32_e32 v43, 1, v32
	v_cmp_ne_u16_e32 vcc, 0, v42
	v_bfe_i32 v43, v43, 0, 1
	v_lshlrev_b16_e32 v52, 8, v43
	v_cndmask_b32_e64 v42, 0, -1, vcc
	v_lshlrev_b16_e32 v53, 8, v42
	v_or_b32_sdwa v43, v50, v52 dst_sel:DWORD dst_unused:UNUSED_PAD src0_sel:BYTE_0 src1_sel:DWORD
	v_or_b32_sdwa v42, v51, v53 dst_sel:WORD_1 dst_unused:UNUSED_PAD src0_sel:BYTE_0 src1_sel:DWORD
	v_bfe_i32 v55, v32, 4, 1
	v_or_b32_sdwa v54, v43, v42 dst_sel:DWORD dst_unused:UNUSED_PAD src0_sel:WORD_0 src1_sel:DWORD
	v_lshlrev_b32_e32 v42, 1, v32
	v_lshrrev_b32_e32 v43, 5, v32
	v_lshrrev_b32_e32 v32, 7, v32
	v_cmp_ne_u16_e32 vcc, 0, v32
	v_bfe_i32 v43, v43, 0, 1
	v_lshrrev_b16_e32 v42, 7, v42
	v_cndmask_b32_e64 v32, 0, -1, vcc
	v_bfe_i32 v56, v42, 0, 1
	v_lshlrev_b16_e32 v57, 8, v43
	v_lshlrev_b16_e32 v32, 8, v32
	v_lshlrev_b32_e32 v31, 3, v31
	v_or_b32_sdwa v42, v55, v57 dst_sel:DWORD dst_unused:UNUSED_PAD src0_sel:BYTE_0 src1_sel:DWORD
	v_or_b32_sdwa v43, v56, v32 dst_sel:WORD_1 dst_unused:UNUSED_PAD src0_sel:BYTE_0 src1_sel:DWORD
	v_lshlrev_b16_e32 v50, 8, v50
	v_or_b32_sdwa v58, v42, v43 dst_sel:DWORD dst_unused:UNUSED_PAD src0_sel:WORD_0 src1_sel:DWORD
	global_load_dwordx2 v[42:43], v31, s[20:21]
	v_lshlrev_b16_e32 v51, 8, v51
	v_lshrrev_b16_e32 v46, 8, v44
	v_cvt_f32_f16_e32 v4, v4
	s_waitcnt vmcnt(0)
	v_xor_b32_e32 v31, v42, v54
	v_and_b32_e32 v42, 0xffffff00, v31
	v_sub_i16 v42, v42, v52 clamp
	v_lshlrev_b16_e32 v52, 8, v31
	v_and_b32_e32 v42, 0xffffff00, v42
	v_sub_i16 v50, v52, v50 clamp
	v_or_b32_sdwa v42, v50, v42 dst_sel:DWORD dst_unused:UNUSED_PAD src0_sel:BYTE_1 src1_sel:DWORD
	v_and_b32_sdwa v50, v31, s31 dst_sel:DWORD dst_unused:UNUSED_PAD src0_sel:WORD_1 src1_sel:DWORD
	v_sub_i16 v50, v50, v53 clamp
	v_lshlrev_b16_sdwa v31, v35, v31 dst_sel:DWORD dst_unused:UNUSED_PAD src0_sel:DWORD src1_sel:WORD_1
	v_and_b32_e32 v50, 0xffffff00, v50
	v_sub_i16 v31, v31, v51 clamp
	v_or_b32_sdwa v31, v31, v50 dst_sel:WORD_1 dst_unused:UNUSED_PAD src0_sel:BYTE_1 src1_sel:DWORD
	v_lshlrev_b16_e32 v51, 8, v55
	v_or_b32_sdwa v31, v42, v31 dst_sel:DWORD dst_unused:UNUSED_PAD src0_sel:WORD_0 src1_sel:DWORD
	v_xor_b32_e32 v42, v43, v58
	v_and_b32_e32 v43, 0xffffff00, v42
	v_sub_i16 v43, v43, v57 clamp
	v_lshlrev_b16_e32 v50, 8, v42
	v_and_b32_e32 v43, 0xffffff00, v43
	v_sub_i16 v50, v50, v51 clamp
	v_or_b32_sdwa v43, v50, v43 dst_sel:DWORD dst_unused:UNUSED_PAD src0_sel:BYTE_1 src1_sel:DWORD
	v_and_b32_sdwa v50, v42, s31 dst_sel:DWORD dst_unused:UNUSED_PAD src0_sel:WORD_1 src1_sel:DWORD
	v_sub_i16 v32, v50, v32 clamp
	v_lshlrev_b16_sdwa v42, v35, v42 dst_sel:DWORD dst_unused:UNUSED_PAD src0_sel:DWORD src1_sel:WORD_1
	v_lshlrev_b16_e32 v50, 8, v56
	v_and_b32_e32 v32, 0xffffff00, v32
	v_sub_i16 v42, v42, v50 clamp
	v_or_b32_sdwa v32, v42, v32 dst_sel:WORD_1 dst_unused:UNUSED_PAD src0_sel:BYTE_1 src1_sel:DWORD
	v_lshlrev_b32_e32 v42, 6, v47
	v_or_b32_sdwa v32, v43, v32 dst_sel:DWORD dst_unused:UNUSED_PAD src0_sel:WORD_0 src1_sel:DWORD
	v_lshrrev_b16_e32 v43, 8, v48
	v_bfe_u32 v52, v43, 3, 1
	v_and_or_b32 v42, v42, s30, v45
	v_lshlrev_b32_e32 v45, 5, v43
	v_lshrrev_b32_e32 v51, 1, v43
	v_cmp_ne_u16_e32 vcc, 0, v52
	v_lshlrev_b16_e32 v48, 7, v48
	v_bfe_i32 v51, v51, 0, 1
	v_lshrrev_b16_e32 v45, 7, v45
	v_cndmask_b32_e64 v52, 0, -1, vcc
	v_ashrrev_i16_e32 v48, 15, v48
	v_bfe_i32 v45, v45, 0, 1
	v_lshlrev_b16_e32 v51, 8, v51
	v_lshlrev_b16_e32 v52, 8, v52
	v_or_b32_sdwa v53, v48, v51 dst_sel:DWORD dst_unused:UNUSED_PAD src0_sel:BYTE_0 src1_sel:DWORD
	v_or_b32_sdwa v54, v45, v52 dst_sel:WORD_1 dst_unused:UNUSED_PAD src0_sel:BYTE_0 src1_sel:DWORD
	v_bfe_i32 v55, v43, 4, 1
	v_or_b32_sdwa v53, v53, v54 dst_sel:DWORD dst_unused:UNUSED_PAD src0_sel:WORD_0 src1_sel:DWORD
	v_lshlrev_b32_e32 v54, 1, v43
	v_lshrrev_b32_e32 v56, 5, v43
	v_lshrrev_b32_e32 v43, 7, v43
	v_cmp_ne_u16_e32 vcc, 0, v43
	v_bfe_i32 v56, v56, 0, 1
	v_lshrrev_b16_e32 v54, 7, v54
	v_cndmask_b32_e64 v43, 0, -1, vcc
	v_bfe_i32 v54, v54, 0, 1
	v_lshlrev_b16_e32 v56, 8, v56
	v_lshlrev_b16_e32 v58, 8, v43
	v_lshlrev_b32_e32 v42, 3, v42
	v_or_b32_sdwa v57, v55, v56 dst_sel:DWORD dst_unused:UNUSED_PAD src0_sel:BYTE_0 src1_sel:DWORD
	v_or_b32_sdwa v43, v54, v58 dst_sel:WORD_1 dst_unused:UNUSED_PAD src0_sel:BYTE_0 src1_sel:DWORD
	v_lshlrev_b16_e32 v48, 8, v48
	v_or_b32_sdwa v57, v57, v43 dst_sel:DWORD dst_unused:UNUSED_PAD src0_sel:WORD_0 src1_sel:DWORD
	global_load_dwordx2 v[42:43], v42, s[20:21]
	v_lshlrev_b16_e32 v45, 8, v45
	v_mov_b32_e32 v50, 0
	v_dot4c_i32_i8_e32 v50, v31, v5
	v_dot4c_i32_i8_e32 v50, v32, v6
	s_waitcnt vmcnt(0)
	v_xor_b32_e32 v42, v42, v53
	v_and_b32_e32 v53, 0xffffff00, v42
	v_sub_i16 v51, v53, v51 clamp
	v_lshlrev_b16_e32 v53, 8, v42
	v_and_b32_e32 v51, 0xffffff00, v51
	v_sub_i16 v48, v53, v48 clamp
	v_or_b32_sdwa v48, v48, v51 dst_sel:DWORD dst_unused:UNUSED_PAD src0_sel:BYTE_1 src1_sel:DWORD
	v_and_b32_sdwa v51, v42, s31 dst_sel:DWORD dst_unused:UNUSED_PAD src0_sel:WORD_1 src1_sel:DWORD
	v_sub_i16 v51, v51, v52 clamp
	v_lshlrev_b16_sdwa v42, v35, v42 dst_sel:DWORD dst_unused:UNUSED_PAD src0_sel:DWORD src1_sel:WORD_1
	v_and_b32_e32 v51, 0xffffff00, v51
	v_sub_i16 v42, v42, v45 clamp
	v_or_b32_sdwa v42, v42, v51 dst_sel:WORD_1 dst_unused:UNUSED_PAD src0_sel:BYTE_1 src1_sel:DWORD
	s_nop 0
	v_or_b32_sdwa v51, v48, v42 dst_sel:DWORD dst_unused:UNUSED_PAD src0_sel:WORD_0 src1_sel:DWORD
	v_xor_b32_e32 v42, v43, v57
	v_and_b32_e32 v43, 0xffffff00, v42
	v_sub_i16 v43, v43, v56 clamp
	v_lshlrev_b16_e32 v45, 8, v42
	v_lshlrev_b16_e32 v48, 8, v55
	v_and_b32_e32 v43, 0xffffff00, v43
	v_sub_i16 v45, v45, v48 clamp
	v_or_b32_sdwa v43, v45, v43 dst_sel:DWORD dst_unused:UNUSED_PAD src0_sel:BYTE_1 src1_sel:DWORD
	v_and_b32_sdwa v45, v42, s31 dst_sel:DWORD dst_unused:UNUSED_PAD src0_sel:WORD_1 src1_sel:DWORD
	v_sub_i16 v45, v45, v58 clamp
	v_lshlrev_b16_sdwa v42, v35, v42 dst_sel:DWORD dst_unused:UNUSED_PAD src0_sel:DWORD src1_sel:WORD_1
	v_lshlrev_b16_e32 v48, 8, v54
	v_and_b32_e32 v45, 0xffffff00, v45
	v_sub_i16 v42, v42, v48 clamp
	v_or_b32_sdwa v42, v42, v45 dst_sel:WORD_1 dst_unused:UNUSED_PAD src0_sel:BYTE_1 src1_sel:DWORD
	v_and_b32_e32 v45, 1, v49
	v_or_b32_sdwa v52, v43, v42 dst_sel:DWORD dst_unused:UNUSED_PAD src0_sel:WORD_0 src1_sel:DWORD
	v_and_b32_sdwa v42, s29, v44 dst_sel:DWORD dst_unused:UNUSED_PAD src0_sel:DWORD src1_sel:BYTE_0
	v_lshlrev_b32_e32 v43, 4, v47
	v_and_or_b32 v42, v43, s30, v42
	v_and_b32_sdwa v43, s29, v49 dst_sel:DWORD dst_unused:UNUSED_PAD src0_sel:DWORD src1_sel:BYTE_0
	v_bfe_u32 v53, v43, 3, 1
	v_lshlrev_b32_e32 v44, 5, v43
	v_lshrrev_b32_e32 v48, 1, v43
	v_cmp_ne_u16_e32 vcc, 0, v53
	v_bfe_i32 v48, v48, 0, 1
	v_lshrrev_b16_e32 v44, 7, v44
	v_cndmask_b32_e64 v53, 0, -1, vcc
	v_sub_u16_e32 v45, 0, v45
	v_bfe_i32 v44, v44, 0, 1
	v_lshlrev_b16_e32 v48, 8, v48
	v_lshlrev_b16_e32 v53, 8, v53
	v_or_b32_sdwa v54, v45, v48 dst_sel:DWORD dst_unused:UNUSED_PAD src0_sel:BYTE_0 src1_sel:DWORD
	v_or_b32_sdwa v55, v44, v53 dst_sel:WORD_1 dst_unused:UNUSED_PAD src0_sel:BYTE_0 src1_sel:DWORD
	v_bfe_i32 v56, v43, 4, 1
	v_or_b32_sdwa v54, v54, v55 dst_sel:DWORD dst_unused:UNUSED_PAD src0_sel:WORD_0 src1_sel:DWORD
	v_lshlrev_b32_e32 v55, 1, v43
	v_lshrrev_b32_e32 v57, 5, v43
	v_lshrrev_b32_e32 v43, 7, v43
	v_cmp_ne_u16_e32 vcc, 0, v43
	v_bfe_i32 v57, v57, 0, 1
	v_lshrrev_b16_e32 v55, 7, v55
	v_cndmask_b32_e64 v43, 0, -1, vcc
	v_bfe_i32 v55, v55, 0, 1
	v_lshlrev_b16_e32 v57, 8, v57
	v_lshlrev_b16_e32 v59, 8, v43
	v_lshlrev_b32_e32 v42, 3, v42
	v_or_b32_sdwa v58, v56, v57 dst_sel:DWORD dst_unused:UNUSED_PAD src0_sel:BYTE_0 src1_sel:DWORD
	v_or_b32_sdwa v43, v55, v59 dst_sel:WORD_1 dst_unused:UNUSED_PAD src0_sel:BYTE_0 src1_sel:DWORD
	v_lshlrev_b16_e32 v45, 8, v45
	v_or_b32_sdwa v58, v58, v43 dst_sel:DWORD dst_unused:UNUSED_PAD src0_sel:WORD_0 src1_sel:DWORD
	global_load_dwordx2 v[42:43], v42, s[20:21]
	v_lshlrev_b16_e32 v44, 8, v44
	v_dot4c_i32_i8_e32 v50, v51, v7
	v_dot4c_i32_i8_e32 v50, v52, v0
	s_waitcnt vmcnt(0)
	v_xor_b32_e32 v42, v42, v54
	v_and_b32_e32 v54, 0xffffff00, v42
	v_sub_i16 v48, v54, v48 clamp
	v_lshlrev_b16_e32 v54, 8, v42
	v_and_b32_e32 v48, 0xffffff00, v48
	v_sub_i16 v45, v54, v45 clamp
	v_or_b32_sdwa v45, v45, v48 dst_sel:DWORD dst_unused:UNUSED_PAD src0_sel:BYTE_1 src1_sel:DWORD
	v_and_b32_sdwa v48, v42, s31 dst_sel:DWORD dst_unused:UNUSED_PAD src0_sel:WORD_1 src1_sel:DWORD
	v_sub_i16 v48, v48, v53 clamp
	v_lshlrev_b16_sdwa v42, v35, v42 dst_sel:DWORD dst_unused:UNUSED_PAD src0_sel:DWORD src1_sel:WORD_1
	v_and_b32_e32 v48, 0xffffff00, v48
	v_sub_i16 v42, v42, v44 clamp
	v_or_b32_sdwa v42, v42, v48 dst_sel:WORD_1 dst_unused:UNUSED_PAD src0_sel:BYTE_1 src1_sel:DWORD
	s_nop 0
	v_or_b32_sdwa v53, v45, v42 dst_sel:DWORD dst_unused:UNUSED_PAD src0_sel:WORD_0 src1_sel:DWORD
	v_xor_b32_e32 v42, v43, v58
	v_and_b32_e32 v43, 0xffffff00, v42
	v_sub_i16 v43, v43, v57 clamp
	v_lshlrev_b16_e32 v44, 8, v42
	v_lshlrev_b16_e32 v45, 8, v56
	v_and_b32_e32 v43, 0xffffff00, v43
	v_sub_i16 v44, v44, v45 clamp
	v_or_b32_sdwa v43, v44, v43 dst_sel:DWORD dst_unused:UNUSED_PAD src0_sel:BYTE_1 src1_sel:DWORD
	v_and_b32_sdwa v44, v42, s31 dst_sel:DWORD dst_unused:UNUSED_PAD src0_sel:WORD_1 src1_sel:DWORD
	v_sub_i16 v44, v44, v59 clamp
	v_lshlrev_b16_sdwa v42, v35, v42 dst_sel:DWORD dst_unused:UNUSED_PAD src0_sel:DWORD src1_sel:WORD_1
	v_lshlrev_b16_e32 v45, 8, v55
	v_and_b32_e32 v44, 0xffffff00, v44
	v_sub_i16 v42, v42, v45 clamp
	v_or_b32_sdwa v42, v42, v44 dst_sel:WORD_1 dst_unused:UNUSED_PAD src0_sel:BYTE_1 src1_sel:DWORD
	v_mov_b32_e32 v44, 0
	v_or_b32_sdwa v54, v43, v42 dst_sel:DWORD dst_unused:UNUSED_PAD src0_sel:WORD_0 src1_sel:DWORD
	v_lshrrev_b16_e32 v43, 8, v49
	v_bfe_u32 v48, v43, 3, 1
	v_lshlrev_b32_e32 v42, 2, v47
	v_lshlrev_b32_e32 v45, 5, v43
	v_lshrrev_b32_e32 v47, 1, v43
	v_cmp_ne_u16_e32 vcc, 0, v48
	v_and_or_b32 v42, v42, s30, v46
	v_lshlrev_b16_e32 v46, 7, v49
	v_bfe_i32 v47, v47, 0, 1
	v_lshrrev_b16_e32 v45, 7, v45
	v_cndmask_b32_e64 v48, 0, -1, vcc
	v_ashrrev_i16_e32 v46, 15, v46
	v_bfe_i32 v45, v45, 0, 1
	v_lshlrev_b16_e32 v47, 8, v47
	v_lshlrev_b16_e32 v48, 8, v48
	v_or_b32_sdwa v49, v46, v47 dst_sel:DWORD dst_unused:UNUSED_PAD src0_sel:BYTE_0 src1_sel:DWORD
	v_or_b32_sdwa v55, v45, v48 dst_sel:WORD_1 dst_unused:UNUSED_PAD src0_sel:BYTE_0 src1_sel:DWORD
	v_bfe_i32 v56, v43, 4, 1
	v_or_b32_sdwa v49, v49, v55 dst_sel:DWORD dst_unused:UNUSED_PAD src0_sel:WORD_0 src1_sel:DWORD
	v_lshlrev_b32_e32 v55, 1, v43
	v_lshrrev_b32_e32 v57, 5, v43
	v_lshrrev_b32_e32 v43, 7, v43
	v_cmp_ne_u16_e32 vcc, 0, v43
	v_bfe_i32 v57, v57, 0, 1
	v_lshrrev_b16_e32 v55, 7, v55
	v_cndmask_b32_e64 v43, 0, -1, vcc
	v_bfe_i32 v55, v55, 0, 1
	v_lshlrev_b16_e32 v57, 8, v57
	v_lshlrev_b16_e32 v59, 8, v43
	v_lshlrev_b32_e32 v42, 3, v42
	v_or_b32_sdwa v58, v56, v57 dst_sel:DWORD dst_unused:UNUSED_PAD src0_sel:BYTE_0 src1_sel:DWORD
	v_or_b32_sdwa v43, v55, v59 dst_sel:WORD_1 dst_unused:UNUSED_PAD src0_sel:BYTE_0 src1_sel:DWORD
	v_lshlrev_b16_e32 v46, 8, v46
	v_or_b32_sdwa v58, v58, v43 dst_sel:DWORD dst_unused:UNUSED_PAD src0_sel:WORD_0 src1_sel:DWORD
	global_load_dwordx2 v[42:43], v42, s[20:21]
	v_lshlrev_b16_e32 v45, 8, v45
	v_dot4c_i32_i8_e32 v44, v53, v1
	v_dot4c_i32_i8_e32 v44, v54, v2
	s_waitcnt vmcnt(0)
	v_xor_b32_e32 v42, v42, v49
	v_and_b32_e32 v49, 0xffffff00, v42
	v_sub_i16 v47, v49, v47 clamp
	v_lshlrev_b16_e32 v49, 8, v42
	v_and_b32_e32 v47, 0xffffff00, v47
	v_sub_i16 v46, v49, v46 clamp
	v_or_b32_sdwa v46, v46, v47 dst_sel:DWORD dst_unused:UNUSED_PAD src0_sel:BYTE_1 src1_sel:DWORD
	v_and_b32_sdwa v47, v42, s31 dst_sel:DWORD dst_unused:UNUSED_PAD src0_sel:WORD_1 src1_sel:DWORD
	v_sub_i16 v47, v47, v48 clamp
	v_lshlrev_b16_sdwa v42, v35, v42 dst_sel:DWORD dst_unused:UNUSED_PAD src0_sel:DWORD src1_sel:WORD_1
	v_and_b32_e32 v47, 0xffffff00, v47
	v_sub_i16 v42, v42, v45 clamp
	v_or_b32_sdwa v42, v42, v47 dst_sel:WORD_1 dst_unused:UNUSED_PAD src0_sel:BYTE_1 src1_sel:DWORD
	s_nop 0
	v_or_b32_sdwa v60, v46, v42 dst_sel:DWORD dst_unused:UNUSED_PAD src0_sel:WORD_0 src1_sel:DWORD
	v_xor_b32_e32 v42, v43, v58
	v_and_b32_e32 v43, 0xffffff00, v42
	v_sub_i16 v43, v43, v57 clamp
	v_lshlrev_b16_e32 v45, 8, v42
	v_lshlrev_b16_e32 v46, 8, v56
	v_and_b32_e32 v43, 0xffffff00, v43
	v_sub_i16 v45, v45, v46 clamp
	v_or_b32_sdwa v43, v45, v43 dst_sel:DWORD dst_unused:UNUSED_PAD src0_sel:BYTE_1 src1_sel:DWORD
	v_and_b32_sdwa v45, v42, s31 dst_sel:DWORD dst_unused:UNUSED_PAD src0_sel:WORD_1 src1_sel:DWORD
	v_sub_i16 v45, v45, v59 clamp
	v_lshlrev_b16_sdwa v42, v35, v42 dst_sel:DWORD dst_unused:UNUSED_PAD src0_sel:DWORD src1_sel:WORD_1
	v_lshlrev_b16_e32 v46, 8, v55
	v_and_b32_e32 v45, 0xffffff00, v45
	v_sub_i16 v42, v42, v46 clamp
	v_or_b32_sdwa v42, v42, v45 dst_sel:WORD_1 dst_unused:UNUSED_PAD src0_sel:BYTE_1 src1_sel:DWORD
	v_dot4c_i32_i8_e32 v44, v60, v3
	v_or_b32_sdwa v55, v43, v42 dst_sel:DWORD dst_unused:UNUSED_PAD src0_sel:WORD_0 src1_sel:DWORD
	global_load_ushort v45, v[24:25], off
	global_load_ushort v42, v[26:27], off offset:2
	global_load_ushort v46, v[26:27], off offset:4
	global_load_ubyte v49, v[22:23], off offset:66
	global_load_ushort v56, v[26:27], off offset:34
	global_load_ushort v57, v[26:27], off offset:36
	v_dot4c_i32_i8_e32 v44, v55, v30
	s_waitcnt vmcnt(4)
	v_lshrrev_b16_e32 v47, 8, v42
	v_and_b32_sdwa v42, s29, v42 dst_sel:DWORD dst_unused:UNUSED_PAD src0_sel:DWORD src1_sel:BYTE_0
	s_waitcnt vmcnt(2)
	v_lshlrev_b32_e32 v43, 8, v49
	v_and_or_b32 v42, v43, s30, v42
	s_waitcnt vmcnt(1)
	v_and_b32_sdwa v43, s29, v56 dst_sel:DWORD dst_unused:UNUSED_PAD src0_sel:DWORD src1_sel:BYTE_0
	v_bfe_u32 v62, v43, 3, 1
	v_lshlrev_b32_e32 v58, 5, v43
	v_lshrrev_b32_e32 v61, 1, v43
	v_cmp_ne_u16_e32 vcc, 0, v62
	v_and_b32_e32 v59, 1, v56
	v_bfe_i32 v61, v61, 0, 1
	v_lshrrev_b16_e32 v58, 7, v58
	v_cndmask_b32_e64 v62, 0, -1, vcc
	v_sub_u16_e32 v59, 0, v59
	v_bfe_i32 v58, v58, 0, 1
	v_lshlrev_b16_e32 v61, 8, v61
	v_lshlrev_b16_e32 v62, 8, v62
	v_or_b32_sdwa v63, v59, v61 dst_sel:DWORD dst_unused:UNUSED_PAD src0_sel:BYTE_0 src1_sel:DWORD
	v_or_b32_sdwa v64, v58, v62 dst_sel:WORD_1 dst_unused:UNUSED_PAD src0_sel:BYTE_0 src1_sel:DWORD
	v_bfe_i32 v65, v43, 4, 1
	v_or_b32_sdwa v63, v63, v64 dst_sel:DWORD dst_unused:UNUSED_PAD src0_sel:WORD_0 src1_sel:DWORD
	v_lshlrev_b32_e32 v64, 1, v43
	v_lshrrev_b32_e32 v66, 5, v43
	v_lshrrev_b32_e32 v43, 7, v43
	v_cmp_ne_u16_e32 vcc, 0, v43
	v_bfe_i32 v66, v66, 0, 1
	v_lshrrev_b16_e32 v64, 7, v64
	v_cndmask_b32_e64 v43, 0, -1, vcc
	v_bfe_i32 v64, v64, 0, 1
	v_lshlrev_b16_e32 v66, 8, v66
	v_lshlrev_b16_e32 v68, 8, v43
	v_lshlrev_b32_e32 v42, 3, v42
	v_or_b32_sdwa v67, v65, v66 dst_sel:DWORD dst_unused:UNUSED_PAD src0_sel:BYTE_0 src1_sel:DWORD
	v_or_b32_sdwa v43, v64, v68 dst_sel:WORD_1 dst_unused:UNUSED_PAD src0_sel:BYTE_0 src1_sel:DWORD
	v_lshlrev_b16_e32 v59, 8, v59
	v_or_b32_sdwa v67, v67, v43 dst_sel:DWORD dst_unused:UNUSED_PAD src0_sel:WORD_0 src1_sel:DWORD
	global_load_dwordx2 v[42:43], v42, s[20:21]
	v_lshlrev_b16_e32 v58, 8, v58
	v_lshrrev_b16_e32 v48, 8, v46
	s_waitcnt vmcnt(0)
	v_xor_b32_e32 v42, v42, v63
	v_and_b32_e32 v63, 0xffffff00, v42
	v_sub_i16 v61, v63, v61 clamp
	v_lshlrev_b16_e32 v63, 8, v42
	v_and_b32_e32 v61, 0xffffff00, v61
	v_sub_i16 v59, v63, v59 clamp
	v_or_b32_sdwa v59, v59, v61 dst_sel:DWORD dst_unused:UNUSED_PAD src0_sel:BYTE_1 src1_sel:DWORD
	v_and_b32_sdwa v61, v42, s31 dst_sel:DWORD dst_unused:UNUSED_PAD src0_sel:WORD_1 src1_sel:DWORD
	v_sub_i16 v61, v61, v62 clamp
	v_lshlrev_b16_sdwa v42, v35, v42 dst_sel:DWORD dst_unused:UNUSED_PAD src0_sel:DWORD src1_sel:WORD_1
	v_and_b32_e32 v61, 0xffffff00, v61
	v_sub_i16 v42, v42, v58 clamp
	v_or_b32_sdwa v42, v42, v61 dst_sel:WORD_1 dst_unused:UNUSED_PAD src0_sel:BYTE_1 src1_sel:DWORD
	v_lshlrev_b16_e32 v61, 8, v65
	v_or_b32_sdwa v58, v59, v42 dst_sel:DWORD dst_unused:UNUSED_PAD src0_sel:WORD_0 src1_sel:DWORD
	v_xor_b32_e32 v42, v43, v67
	v_and_b32_e32 v43, 0xffffff00, v42
	v_sub_i16 v43, v43, v66 clamp
	v_lshlrev_b16_e32 v59, 8, v42
	v_and_b32_e32 v43, 0xffffff00, v43
	v_sub_i16 v59, v59, v61 clamp
	v_or_b32_sdwa v43, v59, v43 dst_sel:DWORD dst_unused:UNUSED_PAD src0_sel:BYTE_1 src1_sel:DWORD
	v_and_b32_sdwa v59, v42, s31 dst_sel:DWORD dst_unused:UNUSED_PAD src0_sel:WORD_1 src1_sel:DWORD
	v_sub_i16 v59, v59, v68 clamp
	v_lshlrev_b16_sdwa v42, v35, v42 dst_sel:DWORD dst_unused:UNUSED_PAD src0_sel:DWORD src1_sel:WORD_1
	v_lshlrev_b16_e32 v61, 8, v64
	v_and_b32_e32 v59, 0xffffff00, v59
	v_sub_i16 v42, v42, v61 clamp
	v_or_b32_sdwa v42, v42, v59 dst_sel:WORD_1 dst_unused:UNUSED_PAD src0_sel:BYTE_1 src1_sel:DWORD
	v_mov_b32_e32 v61, 0
	v_or_b32_sdwa v59, v43, v42 dst_sel:DWORD dst_unused:UNUSED_PAD src0_sel:WORD_0 src1_sel:DWORD
	v_dot4c_i32_i8_e32 v61, v58, v5
	v_dot4c_i32_i8_e32 v61, v59, v6
	v_lshrrev_b16_e32 v6, 8, v56
	v_lshlrev_b32_e32 v42, 5, v6
	v_lshrrev_b16_e32 v42, 7, v42
	v_lshlrev_b32_e32 v5, 6, v49
	v_lshlrev_b16_e32 v43, 7, v56
	v_bfe_i32 v56, v42, 0, 1
	v_bfe_u32 v42, v6, 3, 1
	v_and_or_b32 v5, v5, s30, v47
	v_ashrrev_i16_e32 v47, 15, v43
	v_lshrrev_b32_e32 v43, 1, v6
	v_cmp_ne_u16_e32 vcc, 0, v42
	v_bfe_i32 v43, v43, 0, 1
	v_lshlrev_b16_e32 v62, 8, v43
	v_cndmask_b32_e64 v42, 0, -1, vcc
	v_lshlrev_b16_e32 v63, 8, v42
	v_or_b32_sdwa v43, v47, v62 dst_sel:DWORD dst_unused:UNUSED_PAD src0_sel:BYTE_0 src1_sel:DWORD
	v_or_b32_sdwa v42, v56, v63 dst_sel:WORD_1 dst_unused:UNUSED_PAD src0_sel:BYTE_0 src1_sel:DWORD
	v_bfe_i32 v65, v6, 4, 1
	v_or_b32_sdwa v64, v43, v42 dst_sel:DWORD dst_unused:UNUSED_PAD src0_sel:WORD_0 src1_sel:DWORD
	v_lshlrev_b32_e32 v42, 1, v6
	v_lshrrev_b32_e32 v43, 5, v6
	v_lshrrev_b32_e32 v6, 7, v6
	v_cmp_ne_u16_e32 vcc, 0, v6
	v_bfe_i32 v43, v43, 0, 1
	v_lshrrev_b16_e32 v42, 7, v42
	v_cndmask_b32_e64 v6, 0, -1, vcc
	v_bfe_i32 v66, v42, 0, 1
	v_lshlrev_b16_e32 v67, 8, v43
	v_lshlrev_b16_e32 v6, 8, v6
	v_lshlrev_b32_e32 v5, 3, v5
	v_or_b32_sdwa v42, v65, v67 dst_sel:DWORD dst_unused:UNUSED_PAD src0_sel:BYTE_0 src1_sel:DWORD
	v_or_b32_sdwa v43, v66, v6 dst_sel:WORD_1 dst_unused:UNUSED_PAD src0_sel:BYTE_0 src1_sel:DWORD
	v_lshlrev_b16_e32 v47, 8, v47
	v_or_b32_sdwa v68, v42, v43 dst_sel:DWORD dst_unused:UNUSED_PAD src0_sel:WORD_0 src1_sel:DWORD
	global_load_dwordx2 v[42:43], v5, s[20:21]
	v_lshlrev_b16_e32 v56, 8, v56
	s_waitcnt vmcnt(0)
	v_xor_b32_e32 v5, v42, v64
	v_and_b32_e32 v42, 0xffffff00, v5
	v_sub_i16 v42, v42, v62 clamp
	v_lshlrev_b16_e32 v62, 8, v5
	v_and_b32_e32 v42, 0xffffff00, v42
	v_sub_i16 v47, v62, v47 clamp
	v_or_b32_sdwa v42, v47, v42 dst_sel:DWORD dst_unused:UNUSED_PAD src0_sel:BYTE_1 src1_sel:DWORD
	v_and_b32_sdwa v47, v5, s31 dst_sel:DWORD dst_unused:UNUSED_PAD src0_sel:WORD_1 src1_sel:DWORD
	v_sub_i16 v47, v47, v63 clamp
	v_lshlrev_b16_sdwa v5, v35, v5 dst_sel:DWORD dst_unused:UNUSED_PAD src0_sel:DWORD src1_sel:WORD_1
	v_and_b32_e32 v47, 0xffffff00, v47
	v_sub_i16 v5, v5, v56 clamp
	v_or_b32_sdwa v5, v5, v47 dst_sel:WORD_1 dst_unused:UNUSED_PAD src0_sel:BYTE_1 src1_sel:DWORD
	v_lshlrev_b16_e32 v47, 8, v65
	v_or_b32_sdwa v56, v42, v5 dst_sel:DWORD dst_unused:UNUSED_PAD src0_sel:WORD_0 src1_sel:DWORD
	v_xor_b32_e32 v5, v43, v68
	v_and_b32_e32 v42, 0xffffff00, v5
	v_sub_i16 v42, v42, v67 clamp
	v_lshlrev_b16_e32 v43, 8, v5
	v_and_b32_e32 v42, 0xffffff00, v42
	v_sub_i16 v43, v43, v47 clamp
	v_or_b32_sdwa v42, v43, v42 dst_sel:DWORD dst_unused:UNUSED_PAD src0_sel:BYTE_1 src1_sel:DWORD
	v_and_b32_sdwa v43, v5, s31 dst_sel:DWORD dst_unused:UNUSED_PAD src0_sel:WORD_1 src1_sel:DWORD
	v_sub_i16 v6, v43, v6 clamp
	v_lshlrev_b16_sdwa v5, v35, v5 dst_sel:DWORD dst_unused:UNUSED_PAD src0_sel:DWORD src1_sel:WORD_1
	v_lshlrev_b16_e32 v43, 8, v66
	v_and_b32_e32 v6, 0xffffff00, v6
	v_sub_i16 v5, v5, v43 clamp
	v_or_b32_sdwa v5, v5, v6 dst_sel:WORD_1 dst_unused:UNUSED_PAD src0_sel:BYTE_1 src1_sel:DWORD
	v_dot4c_i32_i8_e32 v61, v56, v7
	v_or_b32_sdwa v62, v42, v5 dst_sel:DWORD dst_unused:UNUSED_PAD src0_sel:WORD_0 src1_sel:DWORD
	v_dot4c_i32_i8_e32 v61, v62, v0
	v_and_b32_sdwa v0, s29, v46 dst_sel:DWORD dst_unused:UNUSED_PAD src0_sel:DWORD src1_sel:BYTE_0
	v_lshlrev_b32_e32 v5, 4, v49
	v_and_or_b32 v0, v5, s30, v0
	v_and_b32_sdwa v5, s29, v57 dst_sel:DWORD dst_unused:UNUSED_PAD src0_sel:DWORD src1_sel:BYTE_0
	v_lshlrev_b32_e32 v6, 5, v5
	v_lshrrev_b16_e32 v6, 7, v6
	v_and_b32_e32 v7, 1, v57
	v_bfe_i32 v43, v6, 0, 1
	v_bfe_u32 v6, v5, 3, 1
	v_sub_u16_e32 v42, 0, v7
	v_lshrrev_b32_e32 v7, 1, v5
	v_cmp_ne_u16_e32 vcc, 0, v6
	v_bfe_i32 v7, v7, 0, 1
	v_lshlrev_b16_e32 v46, 8, v7
	v_cndmask_b32_e64 v6, 0, -1, vcc
	v_lshlrev_b16_e32 v47, 8, v6
	v_or_b32_sdwa v7, v42, v46 dst_sel:DWORD dst_unused:UNUSED_PAD src0_sel:BYTE_0 src1_sel:DWORD
	v_or_b32_sdwa v6, v43, v47 dst_sel:WORD_1 dst_unused:UNUSED_PAD src0_sel:BYTE_0 src1_sel:DWORD
	v_bfe_i32 v64, v5, 4, 1
	v_or_b32_sdwa v63, v7, v6 dst_sel:DWORD dst_unused:UNUSED_PAD src0_sel:WORD_0 src1_sel:DWORD
	v_lshlrev_b32_e32 v6, 1, v5
	v_lshrrev_b32_e32 v7, 5, v5
	v_lshrrev_b32_e32 v5, 7, v5
	v_cmp_ne_u16_e32 vcc, 0, v5
	v_bfe_i32 v7, v7, 0, 1
	v_lshrrev_b16_e32 v6, 7, v6
	v_cndmask_b32_e64 v5, 0, -1, vcc
	v_bfe_i32 v65, v6, 0, 1
	v_lshlrev_b16_e32 v66, 8, v7
	v_lshlrev_b16_e32 v5, 8, v5
	v_lshlrev_b32_e32 v0, 3, v0
	v_or_b32_sdwa v6, v64, v66 dst_sel:DWORD dst_unused:UNUSED_PAD src0_sel:BYTE_0 src1_sel:DWORD
	v_or_b32_sdwa v7, v65, v5 dst_sel:WORD_1 dst_unused:UNUSED_PAD src0_sel:BYTE_0 src1_sel:DWORD
	v_lshlrev_b16_e32 v42, 8, v42
	v_or_b32_sdwa v67, v6, v7 dst_sel:DWORD dst_unused:UNUSED_PAD src0_sel:WORD_0 src1_sel:DWORD
	global_load_dwordx2 v[6:7], v0, s[20:21]
	v_lshlrev_b16_e32 v43, 8, v43
	s_waitcnt vmcnt(0)
	v_xor_b32_e32 v0, v6, v63
	v_and_b32_e32 v6, 0xffffff00, v0
	v_sub_i16 v6, v6, v46 clamp
	v_lshlrev_b16_e32 v46, 8, v0
	v_and_b32_e32 v6, 0xffffff00, v6
	v_sub_i16 v42, v46, v42 clamp
	v_or_b32_sdwa v6, v42, v6 dst_sel:DWORD dst_unused:UNUSED_PAD src0_sel:BYTE_1 src1_sel:DWORD
	v_and_b32_sdwa v42, v0, s31 dst_sel:DWORD dst_unused:UNUSED_PAD src0_sel:WORD_1 src1_sel:DWORD
	v_sub_i16 v42, v42, v47 clamp
	v_lshlrev_b16_sdwa v0, v35, v0 dst_sel:DWORD dst_unused:UNUSED_PAD src0_sel:DWORD src1_sel:WORD_1
	v_and_b32_e32 v42, 0xffffff00, v42
	v_sub_i16 v0, v0, v43 clamp
	v_or_b32_sdwa v0, v0, v42 dst_sel:WORD_1 dst_unused:UNUSED_PAD src0_sel:BYTE_1 src1_sel:DWORD
	v_lshlrev_b16_e32 v42, 8, v64
	v_or_b32_sdwa v63, v6, v0 dst_sel:DWORD dst_unused:UNUSED_PAD src0_sel:WORD_0 src1_sel:DWORD
	v_xor_b32_e32 v0, v7, v67
	v_and_b32_e32 v6, 0xffffff00, v0
	v_sub_i16 v6, v6, v66 clamp
	v_lshlrev_b16_e32 v7, 8, v0
	v_and_b32_e32 v6, 0xffffff00, v6
	v_sub_i16 v7, v7, v42 clamp
	v_or_b32_sdwa v6, v7, v6 dst_sel:DWORD dst_unused:UNUSED_PAD src0_sel:BYTE_1 src1_sel:DWORD
	v_and_b32_sdwa v7, v0, s31 dst_sel:DWORD dst_unused:UNUSED_PAD src0_sel:WORD_1 src1_sel:DWORD
	v_sub_i16 v5, v7, v5 clamp
	v_lshlrev_b16_sdwa v0, v35, v0 dst_sel:DWORD dst_unused:UNUSED_PAD src0_sel:DWORD src1_sel:WORD_1
	v_lshlrev_b16_e32 v7, 8, v65
	v_and_b32_e32 v5, 0xffffff00, v5
	v_sub_i16 v0, v0, v7 clamp
	v_or_b32_sdwa v0, v0, v5 dst_sel:WORD_1 dst_unused:UNUSED_PAD src0_sel:BYTE_1 src1_sel:DWORD
	v_mov_b32_e32 v5, 0
	v_dot4c_i32_i8_e32 v5, v63, v1
	v_lshrrev_b16_e32 v1, 8, v57
	v_or_b32_sdwa v64, v6, v0 dst_sel:DWORD dst_unused:UNUSED_PAD src0_sel:WORD_0 src1_sel:DWORD
	v_bfe_u32 v42, v1, 3, 1
	v_dot4c_i32_i8_e32 v5, v64, v2
	v_lshlrev_b32_e32 v2, 5, v1
	v_lshrrev_b32_e32 v7, 1, v1
	v_cmp_ne_u16_e32 vcc, 0, v42
	v_lshlrev_b16_e32 v6, 7, v57
	v_bfe_i32 v7, v7, 0, 1
	v_lshrrev_b16_e32 v2, 7, v2
	v_cndmask_b32_e64 v42, 0, -1, vcc
	v_ashrrev_i16_e32 v6, 15, v6
	v_bfe_i32 v2, v2, 0, 1
	v_lshlrev_b16_e32 v7, 8, v7
	v_lshlrev_b16_e32 v42, 8, v42
	v_lshlrev_b32_e32 v0, 2, v49
	v_or_b32_sdwa v43, v6, v7 dst_sel:DWORD dst_unused:UNUSED_PAD src0_sel:BYTE_0 src1_sel:DWORD
	v_or_b32_sdwa v46, v2, v42 dst_sel:WORD_1 dst_unused:UNUSED_PAD src0_sel:BYTE_0 src1_sel:DWORD
	v_and_or_b32 v0, v0, s30, v48
	v_or_b32_sdwa v43, v43, v46 dst_sel:DWORD dst_unused:UNUSED_PAD src0_sel:WORD_0 src1_sel:DWORD
	v_lshlrev_b32_e32 v46, 1, v1
	v_bfe_i32 v47, v1, 4, 1
	v_lshrrev_b32_e32 v48, 5, v1
	v_lshrrev_b32_e32 v1, 7, v1
	v_cmp_ne_u16_e32 vcc, 0, v1
	v_bfe_i32 v48, v48, 0, 1
	v_lshrrev_b16_e32 v46, 7, v46
	v_cndmask_b32_e64 v1, 0, -1, vcc
	v_bfe_i32 v46, v46, 0, 1
	v_lshlrev_b16_e32 v48, 8, v48
	v_lshlrev_b16_e32 v57, 8, v1
	v_lshlrev_b32_e32 v0, 3, v0
	v_or_b32_sdwa v49, v47, v48 dst_sel:DWORD dst_unused:UNUSED_PAD src0_sel:BYTE_0 src1_sel:DWORD
	v_or_b32_sdwa v1, v46, v57 dst_sel:WORD_1 dst_unused:UNUSED_PAD src0_sel:BYTE_0 src1_sel:DWORD
	v_lshlrev_b16_e32 v6, 8, v6
	v_or_b32_sdwa v49, v49, v1 dst_sel:DWORD dst_unused:UNUSED_PAD src0_sel:WORD_0 src1_sel:DWORD
	global_load_dwordx2 v[0:1], v0, s[20:21]
	v_lshlrev_b16_e32 v2, 8, v2
	s_waitcnt vmcnt(0)
	v_xor_b32_e32 v0, v0, v43
	v_and_b32_e32 v43, 0xffffff00, v0
	v_sub_i16 v7, v43, v7 clamp
	v_lshlrev_b16_e32 v43, 8, v0
	v_and_b32_e32 v7, 0xffffff00, v7
	v_sub_i16 v6, v43, v6 clamp
	v_or_b32_sdwa v6, v6, v7 dst_sel:DWORD dst_unused:UNUSED_PAD src0_sel:BYTE_1 src1_sel:DWORD
	v_and_b32_sdwa v7, v0, s31 dst_sel:DWORD dst_unused:UNUSED_PAD src0_sel:WORD_1 src1_sel:DWORD
	v_sub_i16 v7, v7, v42 clamp
	v_lshlrev_b16_sdwa v0, v35, v0 dst_sel:DWORD dst_unused:UNUSED_PAD src0_sel:DWORD src1_sel:WORD_1
	v_and_b32_e32 v7, 0xffffff00, v7
	v_sub_i16 v0, v0, v2 clamp
	v_or_b32_sdwa v0, v0, v7 dst_sel:WORD_1 dst_unused:UNUSED_PAD src0_sel:BYTE_1 src1_sel:DWORD
	v_add_u32_e32 v7, v44, v50
	v_or_b32_sdwa v65, v6, v0 dst_sel:DWORD dst_unused:UNUSED_PAD src0_sel:WORD_0 src1_sel:DWORD
	v_xor_b32_e32 v0, v1, v49
	v_and_b32_e32 v1, 0xffffff00, v0
	v_sub_i16 v1, v1, v48 clamp
	v_lshlrev_b16_e32 v2, 8, v0
	v_lshlrev_b16_e32 v6, 8, v47
	v_and_b32_e32 v1, 0xffffff00, v1
	v_sub_i16 v2, v2, v6 clamp
	v_or_b32_sdwa v1, v2, v1 dst_sel:DWORD dst_unused:UNUSED_PAD src0_sel:BYTE_1 src1_sel:DWORD
	v_and_b32_sdwa v2, v0, s31 dst_sel:DWORD dst_unused:UNUSED_PAD src0_sel:WORD_1 src1_sel:DWORD
	v_sub_i16 v2, v2, v57 clamp
	v_lshlrev_b16_sdwa v0, v35, v0 dst_sel:DWORD dst_unused:UNUSED_PAD src0_sel:DWORD src1_sel:WORD_1
	v_lshlrev_b16_e32 v6, 8, v46
	v_and_b32_e32 v2, 0xffffff00, v2
	v_sub_i16 v0, v0, v6 clamp
	v_or_b32_sdwa v0, v0, v2 dst_sel:WORD_1 dst_unused:UNUSED_PAD src0_sel:BYTE_1 src1_sel:DWORD
	v_dot4c_i32_i8_e32 v5, v65, v3
	v_or_b32_sdwa v57, v1, v0 dst_sel:DWORD dst_unused:UNUSED_PAD src0_sel:WORD_0 src1_sel:DWORD
	global_load_ushort v0, v[20:21], off
	global_load_ubyte v1, v[18:19], off offset:74
	global_load_ubyte v2, v[22:23], off offset:74
	v_dot4c_i32_i8_e32 v5, v57, v30
	v_lshrrev_b32_e32 v30, 31, v7
	v_add_u32_e32 v7, v7, v30
	v_ashrrev_i32_e32 v7, 1, v7
	v_cvt_f32_f16_e32 v46, v45
	s_waitcnt vmcnt(2)
	v_cvt_f32_f16_e32 v47, v0
	s_waitcnt vmcnt(1)
	v_lshrrev_b32_e32 v67, 4, v1
	s_waitcnt vmcnt(0)
	v_lshrrev_b32_e32 v66, 4, v2
	v_and_b32_e32 v69, 15, v1
	v_mul_lo_u32 v6, v5, v66
	v_add_u32_e32 v5, v5, v61
	v_mul_lo_u32 v1, v50, v69
	v_mul_lo_u32 v3, v44, v67
	v_lshrrev_b32_e32 v30, 31, v5
	v_and_b32_e32 v68, 15, v2
	v_add_u32_e32 v5, v5, v30
	v_add3_u32 v1, v3, v1, v7
	v_mul_lo_u32 v2, v61, v68
	v_ashrrev_i32_e32 v5, 1, v5
	v_ashrrev_i32_e32 v3, 31, v1
	v_add3_u32 v2, v6, v2, v5
	v_lshrrev_b32_e32 v3, 30, v3
	v_add_u32_e32 v1, v1, v3
	v_ashrrev_i32_e32 v3, 31, v2
	v_lshrrev_b32_e32 v3, 30, v3
	v_add_u32_e32 v2, v2, v3
	v_ashrrev_i32_e32 v1, 2, v1
	v_ashrrev_i32_e32 v2, 2, v2
	v_cvt_f32_i32_e32 v7, v2
	v_cvt_f32_i32_e32 v6, v1
	scratch_load_dwordx4 v[0:3], off, off offset:16
	v_pk_mul_f32 v[4:5], v[4:5], v[46:47] op_sel_hi:[0,1]
	s_waitcnt vmcnt(0)
	v_pk_fma_f32 v[0:1], v[4:5], v[6:7], v[0:1]
	v_add_u32_e32 v4, s27, v34
	v_mad_u64_u32 v[4:5], s[34:35], v4, 36, s[24:25]
	v_mad_u64_u32 v[48:49], s[34:35], v10, 36, v[4:5]
	global_load_dword v50, v[48:49], off offset:32
	global_load_dwordx4 v[4:7], v[48:49], off offset:16
	global_load_dwordx4 v[42:45], v[48:49], off
	s_waitcnt vmcnt(0)
	v_cvt_f32_f16_e32 v30, v42
	v_mov_b32_e32 v42, 0
	v_dot4c_i32_i8_e32 v42, v31, v43
	v_dot4c_i32_i8_e32 v42, v32, v44
	v_mov_b32_e32 v32, 0
	v_dot4c_i32_i8_e32 v32, v58, v43
	v_dot4c_i32_i8_e32 v32, v59, v44
	;; [unrolled: 1-line block ×3, first 2 shown]
	v_mov_b32_e32 v31, 0
	v_dot4c_i32_i8_e32 v32, v56, v45
	v_dot4c_i32_i8_e32 v42, v52, v4
	;; [unrolled: 1-line block ×4, first 2 shown]
	v_mov_b32_e32 v4, 0
	v_dot4c_i32_i8_e32 v31, v54, v6
	v_dot4c_i32_i8_e32 v4, v63, v5
	v_dot4c_i32_i8_e32 v31, v60, v7
	v_dot4c_i32_i8_e32 v4, v64, v6
	v_dot4c_i32_i8_e32 v31, v55, v50
	v_dot4c_i32_i8_e32 v4, v65, v7
	v_dot4c_i32_i8_e32 v4, v57, v50
	v_mul_lo_u32 v6, v32, v68
	v_mul_lo_u32 v7, v31, v67
	v_add_u32_e32 v31, v31, v42
	v_mul_lo_u32 v43, v4, v66
	v_add_u32_e32 v4, v4, v32
	v_lshrrev_b32_e32 v32, 31, v31
	v_add_u32_e32 v31, v31, v32
	v_lshrrev_b32_e32 v32, 31, v4
	v_mul_lo_u32 v5, v42, v69
	v_ashrrev_i32_e32 v31, 1, v31
	v_add_u32_e32 v4, v4, v32
	v_ashrrev_i32_e32 v4, 1, v4
	v_add3_u32 v5, v7, v5, v31
	v_add3_u32 v4, v43, v6, v4
	v_ashrrev_i32_e32 v6, 31, v5
	v_lshrrev_b32_e32 v6, 30, v6
	v_add_u32_e32 v5, v5, v6
	v_ashrrev_i32_e32 v6, 2, v5
	v_ashrrev_i32_e32 v5, 31, v4
	v_lshrrev_b32_e32 v5, 30, v5
	v_add_u32_e32 v4, v4, v5
	v_ashrrev_i32_e32 v7, 2, v4
	v_cvt_f32_i32_e32 v7, v7
	v_cvt_f32_i32_e32 v6, v6
	v_pk_mul_f32 v[4:5], v[30:31], v[46:47] op_sel_hi:[0,1]
	v_pk_fma_f32 v[2:3], v[4:5], v[6:7], v[2:3]
	scratch_store_dwordx4 off, v[0:3], off offset:16
	s_nop 1
	v_add_u32_e32 v0, s26, v34
	v_mad_u64_u32 v[0:1], s[34:35], v0, 36, s[24:25]
	v_mad_u64_u32 v[42:43], s[34:35], v10, 36, v[0:1]
	global_load_dword v30, v[42:43], off offset:32
	global_load_dwordx4 v[0:3], v[42:43], off offset:16
	global_load_dwordx4 v[4:7], v[42:43], off
	global_load_ushort v31, v[28:29], off offset:2
	global_load_ushort v46, v[28:29], off offset:4
	global_load_ubyte v49, v[18:19], off offset:66
	global_load_ushort v45, v[28:29], off offset:34
	global_load_ushort v50, v[28:29], off offset:36
	s_waitcnt vmcnt(4)
	v_lshrrev_b16_e32 v44, 8, v31
	v_and_b32_sdwa v31, s29, v31 dst_sel:DWORD dst_unused:UNUSED_PAD src0_sel:DWORD src1_sel:BYTE_0
	s_waitcnt vmcnt(2)
	v_lshlrev_b32_e32 v32, 8, v49
	v_and_or_b32 v31, v32, s30, v31
	s_waitcnt vmcnt(1)
	v_and_b32_sdwa v32, s29, v45 dst_sel:DWORD dst_unused:UNUSED_PAD src0_sel:DWORD src1_sel:BYTE_0
	v_lshlrev_b32_e32 v42, 5, v32
	v_lshrrev_b16_e32 v42, 7, v42
	v_and_b32_e32 v43, 1, v45
	v_bfe_i32 v51, v42, 0, 1
	v_bfe_u32 v42, v32, 3, 1
	v_sub_u16_e32 v47, 0, v43
	v_lshrrev_b32_e32 v43, 1, v32
	v_cmp_ne_u16_e32 vcc, 0, v42
	v_bfe_i32 v43, v43, 0, 1
	v_lshlrev_b16_e32 v52, 8, v43
	v_cndmask_b32_e64 v42, 0, -1, vcc
	v_lshlrev_b16_e32 v53, 8, v42
	v_or_b32_sdwa v43, v47, v52 dst_sel:DWORD dst_unused:UNUSED_PAD src0_sel:BYTE_0 src1_sel:DWORD
	v_or_b32_sdwa v42, v51, v53 dst_sel:WORD_1 dst_unused:UNUSED_PAD src0_sel:BYTE_0 src1_sel:DWORD
	v_bfe_i32 v55, v32, 4, 1
	v_or_b32_sdwa v54, v43, v42 dst_sel:DWORD dst_unused:UNUSED_PAD src0_sel:WORD_0 src1_sel:DWORD
	v_lshlrev_b32_e32 v42, 1, v32
	v_lshrrev_b32_e32 v43, 5, v32
	v_lshrrev_b32_e32 v32, 7, v32
	v_cmp_ne_u16_e32 vcc, 0, v32
	v_bfe_i32 v43, v43, 0, 1
	v_lshrrev_b16_e32 v42, 7, v42
	v_cndmask_b32_e64 v32, 0, -1, vcc
	v_bfe_i32 v56, v42, 0, 1
	v_lshlrev_b16_e32 v57, 8, v43
	v_lshlrev_b16_e32 v32, 8, v32
	v_lshlrev_b32_e32 v31, 3, v31
	v_or_b32_sdwa v42, v55, v57 dst_sel:DWORD dst_unused:UNUSED_PAD src0_sel:BYTE_0 src1_sel:DWORD
	v_or_b32_sdwa v43, v56, v32 dst_sel:WORD_1 dst_unused:UNUSED_PAD src0_sel:BYTE_0 src1_sel:DWORD
	v_lshlrev_b16_e32 v47, 8, v47
	v_or_b32_sdwa v58, v42, v43 dst_sel:DWORD dst_unused:UNUSED_PAD src0_sel:WORD_0 src1_sel:DWORD
	global_load_dwordx2 v[42:43], v31, s[20:21]
	v_lshlrev_b16_e32 v51, 8, v51
	v_lshrrev_b16_e32 v48, 8, v46
	v_cvt_f32_f16_e32 v4, v4
	s_waitcnt vmcnt(0)
	v_xor_b32_e32 v31, v42, v54
	v_and_b32_e32 v42, 0xffffff00, v31
	v_sub_i16 v42, v42, v52 clamp
	v_lshlrev_b16_e32 v52, 8, v31
	v_and_b32_e32 v42, 0xffffff00, v42
	v_sub_i16 v47, v52, v47 clamp
	v_or_b32_sdwa v42, v47, v42 dst_sel:DWORD dst_unused:UNUSED_PAD src0_sel:BYTE_1 src1_sel:DWORD
	v_and_b32_sdwa v47, v31, s31 dst_sel:DWORD dst_unused:UNUSED_PAD src0_sel:WORD_1 src1_sel:DWORD
	v_sub_i16 v47, v47, v53 clamp
	v_lshlrev_b16_sdwa v31, v35, v31 dst_sel:DWORD dst_unused:UNUSED_PAD src0_sel:DWORD src1_sel:WORD_1
	v_and_b32_e32 v47, 0xffffff00, v47
	v_sub_i16 v31, v31, v51 clamp
	v_or_b32_sdwa v31, v31, v47 dst_sel:WORD_1 dst_unused:UNUSED_PAD src0_sel:BYTE_1 src1_sel:DWORD
	v_lshlrev_b16_e32 v51, 8, v55
	v_or_b32_sdwa v31, v42, v31 dst_sel:DWORD dst_unused:UNUSED_PAD src0_sel:WORD_0 src1_sel:DWORD
	v_xor_b32_e32 v42, v43, v58
	v_and_b32_e32 v43, 0xffffff00, v42
	v_sub_i16 v43, v43, v57 clamp
	v_lshlrev_b16_e32 v47, 8, v42
	v_and_b32_e32 v43, 0xffffff00, v43
	v_sub_i16 v47, v47, v51 clamp
	v_or_b32_sdwa v43, v47, v43 dst_sel:DWORD dst_unused:UNUSED_PAD src0_sel:BYTE_1 src1_sel:DWORD
	v_and_b32_sdwa v47, v42, s31 dst_sel:DWORD dst_unused:UNUSED_PAD src0_sel:WORD_1 src1_sel:DWORD
	v_sub_i16 v32, v47, v32 clamp
	v_lshlrev_b16_sdwa v42, v35, v42 dst_sel:DWORD dst_unused:UNUSED_PAD src0_sel:DWORD src1_sel:WORD_1
	v_lshlrev_b16_e32 v47, 8, v56
	v_and_b32_e32 v32, 0xffffff00, v32
	v_sub_i16 v42, v42, v47 clamp
	v_or_b32_sdwa v32, v42, v32 dst_sel:WORD_1 dst_unused:UNUSED_PAD src0_sel:BYTE_1 src1_sel:DWORD
	v_mov_b32_e32 v42, 0
	v_or_b32_sdwa v32, v43, v32 dst_sel:DWORD dst_unused:UNUSED_PAD src0_sel:WORD_0 src1_sel:DWORD
	v_lshlrev_b32_e32 v43, 6, v49
	v_and_or_b32 v43, v43, s30, v44
	v_lshrrev_b16_e32 v44, 8, v45
	v_lshlrev_b16_e32 v45, 7, v45
	v_bfe_u32 v52, v44, 3, 1
	v_lshlrev_b32_e32 v47, 5, v44
	v_ashrrev_i16_e32 v51, 15, v45
	v_lshrrev_b32_e32 v45, 1, v44
	v_cmp_ne_u16_e32 vcc, 0, v52
	v_bfe_i32 v45, v45, 0, 1
	v_lshrrev_b16_e32 v47, 7, v47
	v_cndmask_b32_e64 v52, 0, -1, vcc
	v_bfe_i32 v47, v47, 0, 1
	v_lshlrev_b16_e32 v53, 8, v45
	v_lshlrev_b16_e32 v52, 8, v52
	v_or_b32_sdwa v45, v51, v53 dst_sel:DWORD dst_unused:UNUSED_PAD src0_sel:BYTE_0 src1_sel:DWORD
	v_or_b32_sdwa v54, v47, v52 dst_sel:WORD_1 dst_unused:UNUSED_PAD src0_sel:BYTE_0 src1_sel:DWORD
	v_bfe_i32 v55, v44, 4, 1
	v_or_b32_sdwa v54, v45, v54 dst_sel:DWORD dst_unused:UNUSED_PAD src0_sel:WORD_0 src1_sel:DWORD
	v_lshlrev_b32_e32 v45, 1, v44
	v_lshrrev_b32_e32 v56, 5, v44
	v_lshrrev_b32_e32 v44, 7, v44
	v_cmp_ne_u16_e32 vcc, 0, v44
	v_bfe_i32 v56, v56, 0, 1
	v_lshrrev_b16_e32 v45, 7, v45
	v_cndmask_b32_e64 v44, 0, -1, vcc
	v_bfe_i32 v57, v45, 0, 1
	v_lshlrev_b16_e32 v56, 8, v56
	v_lshlrev_b16_e32 v58, 8, v44
	v_lshlrev_b32_e32 v43, 3, v43
	v_or_b32_sdwa v45, v55, v56 dst_sel:DWORD dst_unused:UNUSED_PAD src0_sel:BYTE_0 src1_sel:DWORD
	v_or_b32_sdwa v44, v57, v58 dst_sel:WORD_1 dst_unused:UNUSED_PAD src0_sel:BYTE_0 src1_sel:DWORD
	v_lshlrev_b16_e32 v51, 8, v51
	v_or_b32_sdwa v59, v45, v44 dst_sel:DWORD dst_unused:UNUSED_PAD src0_sel:WORD_0 src1_sel:DWORD
	global_load_dwordx2 v[44:45], v43, s[20:21]
	v_lshlrev_b16_e32 v47, 8, v47
	v_dot4c_i32_i8_e32 v42, v31, v5
	v_dot4c_i32_i8_e32 v42, v32, v6
	s_waitcnt vmcnt(0)
	v_xor_b32_e32 v43, v44, v54
	v_and_b32_e32 v44, 0xffffff00, v43
	v_sub_i16 v44, v44, v53 clamp
	v_lshlrev_b16_e32 v53, 8, v43
	v_and_b32_e32 v44, 0xffffff00, v44
	v_sub_i16 v51, v53, v51 clamp
	v_or_b32_sdwa v44, v51, v44 dst_sel:DWORD dst_unused:UNUSED_PAD src0_sel:BYTE_1 src1_sel:DWORD
	v_and_b32_sdwa v51, v43, s31 dst_sel:DWORD dst_unused:UNUSED_PAD src0_sel:WORD_1 src1_sel:DWORD
	v_sub_i16 v51, v51, v52 clamp
	v_lshlrev_b16_sdwa v43, v35, v43 dst_sel:DWORD dst_unused:UNUSED_PAD src0_sel:DWORD src1_sel:WORD_1
	v_and_b32_e32 v51, 0xffffff00, v51
	v_sub_i16 v43, v43, v47 clamp
	v_or_b32_sdwa v43, v43, v51 dst_sel:WORD_1 dst_unused:UNUSED_PAD src0_sel:BYTE_1 src1_sel:DWORD
	v_lshlrev_b16_e32 v51, 8, v55
	v_or_b32_sdwa v43, v44, v43 dst_sel:DWORD dst_unused:UNUSED_PAD src0_sel:WORD_0 src1_sel:DWORD
	v_xor_b32_e32 v44, v45, v59
	v_and_b32_e32 v45, 0xffffff00, v44
	v_sub_i16 v45, v45, v56 clamp
	v_lshlrev_b16_e32 v47, 8, v44
	v_and_b32_e32 v45, 0xffffff00, v45
	v_sub_i16 v47, v47, v51 clamp
	v_or_b32_sdwa v45, v47, v45 dst_sel:DWORD dst_unused:UNUSED_PAD src0_sel:BYTE_1 src1_sel:DWORD
	v_and_b32_sdwa v47, v44, s31 dst_sel:DWORD dst_unused:UNUSED_PAD src0_sel:WORD_1 src1_sel:DWORD
	v_sub_i16 v47, v47, v58 clamp
	v_lshlrev_b16_sdwa v44, v35, v44 dst_sel:DWORD dst_unused:UNUSED_PAD src0_sel:DWORD src1_sel:WORD_1
	v_lshlrev_b16_e32 v51, 8, v57
	v_and_b32_e32 v47, 0xffffff00, v47
	v_sub_i16 v44, v44, v51 clamp
	v_or_b32_sdwa v44, v44, v47 dst_sel:WORD_1 dst_unused:UNUSED_PAD src0_sel:BYTE_1 src1_sel:DWORD
	v_and_b32_e32 v51, 1, v50
	v_or_b32_sdwa v44, v45, v44 dst_sel:DWORD dst_unused:UNUSED_PAD src0_sel:WORD_0 src1_sel:DWORD
	v_and_b32_sdwa v45, s29, v46 dst_sel:DWORD dst_unused:UNUSED_PAD src0_sel:DWORD src1_sel:BYTE_0
	v_lshlrev_b32_e32 v46, 4, v49
	v_and_or_b32 v45, v46, s30, v45
	v_and_b32_sdwa v46, s29, v50 dst_sel:DWORD dst_unused:UNUSED_PAD src0_sel:DWORD src1_sel:BYTE_0
	v_lshlrev_b32_e32 v47, 5, v46
	v_lshrrev_b16_e32 v47, 7, v47
	v_bfe_i32 v53, v47, 0, 1
	v_bfe_u32 v47, v46, 3, 1
	v_lshrrev_b32_e32 v52, 1, v46
	v_cmp_ne_u16_e32 vcc, 0, v47
	v_bfe_i32 v52, v52, 0, 1
	v_sub_u16_e32 v51, 0, v51
	v_cndmask_b32_e64 v47, 0, -1, vcc
	v_lshlrev_b16_e32 v52, 8, v52
	v_lshlrev_b16_e32 v55, 8, v47
	v_or_b32_sdwa v54, v51, v52 dst_sel:DWORD dst_unused:UNUSED_PAD src0_sel:BYTE_0 src1_sel:DWORD
	v_or_b32_sdwa v47, v53, v55 dst_sel:WORD_1 dst_unused:UNUSED_PAD src0_sel:BYTE_0 src1_sel:DWORD
	v_bfe_i32 v56, v46, 4, 1
	v_or_b32_sdwa v54, v54, v47 dst_sel:DWORD dst_unused:UNUSED_PAD src0_sel:WORD_0 src1_sel:DWORD
	v_lshlrev_b32_e32 v47, 1, v46
	v_lshrrev_b32_e32 v57, 5, v46
	v_lshrrev_b32_e32 v46, 7, v46
	v_cmp_ne_u16_e32 vcc, 0, v46
	v_bfe_i32 v57, v57, 0, 1
	v_lshrrev_b16_e32 v47, 7, v47
	v_cndmask_b32_e64 v46, 0, -1, vcc
	v_bfe_i32 v58, v47, 0, 1
	v_lshlrev_b16_e32 v57, 8, v57
	v_lshlrev_b16_e32 v59, 8, v46
	v_lshlrev_b32_e32 v45, 3, v45
	v_or_b32_sdwa v47, v56, v57 dst_sel:DWORD dst_unused:UNUSED_PAD src0_sel:BYTE_0 src1_sel:DWORD
	v_or_b32_sdwa v46, v58, v59 dst_sel:WORD_1 dst_unused:UNUSED_PAD src0_sel:BYTE_0 src1_sel:DWORD
	v_lshlrev_b16_e32 v51, 8, v51
	v_or_b32_sdwa v60, v47, v46 dst_sel:DWORD dst_unused:UNUSED_PAD src0_sel:WORD_0 src1_sel:DWORD
	global_load_dwordx2 v[46:47], v45, s[20:21]
	v_lshlrev_b32_e32 v49, 2, v49
	v_and_or_b32 v48, v49, s30, v48
	v_lshrrev_b16_e32 v49, 8, v50
	v_lshlrev_b16_e32 v50, 7, v50
	v_ashrrev_i16_e32 v50, 15, v50
	v_lshlrev_b32_e32 v48, 3, v48
	v_dot4c_i32_i8_e32 v42, v43, v7
	v_dot4c_i32_i8_e32 v42, v44, v0
	s_waitcnt vmcnt(0)
	v_xor_b32_e32 v45, v46, v54
	v_and_b32_e32 v46, 0xffffff00, v45
	v_sub_i16 v46, v46, v52 clamp
	v_lshlrev_b16_e32 v52, 8, v45
	v_and_b32_e32 v46, 0xffffff00, v46
	v_sub_i16 v51, v52, v51 clamp
	v_or_b32_sdwa v46, v51, v46 dst_sel:DWORD dst_unused:UNUSED_PAD src0_sel:BYTE_1 src1_sel:DWORD
	v_and_b32_sdwa v51, v45, s31 dst_sel:DWORD dst_unused:UNUSED_PAD src0_sel:WORD_1 src1_sel:DWORD
	v_sub_i16 v51, v51, v55 clamp
	v_lshlrev_b16_sdwa v45, v35, v45 dst_sel:DWORD dst_unused:UNUSED_PAD src0_sel:DWORD src1_sel:WORD_1
	v_lshlrev_b16_e32 v52, 8, v53
	v_and_b32_e32 v51, 0xffffff00, v51
	v_sub_i16 v45, v45, v52 clamp
	v_or_b32_sdwa v45, v45, v51 dst_sel:WORD_1 dst_unused:UNUSED_PAD src0_sel:BYTE_1 src1_sel:DWORD
	v_lshlrev_b16_e32 v52, 8, v56
	v_or_b32_sdwa v45, v46, v45 dst_sel:DWORD dst_unused:UNUSED_PAD src0_sel:WORD_0 src1_sel:DWORD
	v_xor_b32_e32 v46, v47, v60
	v_and_b32_e32 v47, 0xffffff00, v46
	v_sub_i16 v47, v47, v57 clamp
	v_lshlrev_b16_e32 v51, 8, v46
	v_and_b32_e32 v47, 0xffffff00, v47
	v_sub_i16 v51, v51, v52 clamp
	v_or_b32_sdwa v47, v51, v47 dst_sel:DWORD dst_unused:UNUSED_PAD src0_sel:BYTE_1 src1_sel:DWORD
	v_and_b32_sdwa v51, v46, s31 dst_sel:DWORD dst_unused:UNUSED_PAD src0_sel:WORD_1 src1_sel:DWORD
	v_sub_i16 v51, v51, v59 clamp
	v_lshlrev_b16_sdwa v46, v35, v46 dst_sel:DWORD dst_unused:UNUSED_PAD src0_sel:DWORD src1_sel:WORD_1
	v_lshlrev_b16_e32 v52, 8, v58
	v_and_b32_e32 v51, 0xffffff00, v51
	v_sub_i16 v46, v46, v52 clamp
	v_bfe_u32 v53, v49, 3, 1
	v_or_b32_sdwa v46, v46, v51 dst_sel:WORD_1 dst_unused:UNUSED_PAD src0_sel:BYTE_1 src1_sel:DWORD
	v_lshlrev_b32_e32 v51, 5, v49
	v_lshrrev_b32_e32 v52, 1, v49
	v_cmp_ne_u16_e32 vcc, 0, v53
	v_bfe_i32 v52, v52, 0, 1
	v_lshrrev_b16_e32 v51, 7, v51
	v_cndmask_b32_e64 v53, 0, -1, vcc
	v_bfe_i32 v51, v51, 0, 1
	v_lshlrev_b16_e32 v52, 8, v52
	v_lshlrev_b16_e32 v53, 8, v53
	v_or_b32_sdwa v54, v50, v52 dst_sel:DWORD dst_unused:UNUSED_PAD src0_sel:BYTE_0 src1_sel:DWORD
	v_or_b32_sdwa v55, v51, v53 dst_sel:WORD_1 dst_unused:UNUSED_PAD src0_sel:BYTE_0 src1_sel:DWORD
	v_bfe_i32 v56, v49, 4, 1
	v_or_b32_sdwa v54, v54, v55 dst_sel:DWORD dst_unused:UNUSED_PAD src0_sel:WORD_0 src1_sel:DWORD
	v_lshlrev_b32_e32 v55, 1, v49
	v_lshrrev_b32_e32 v57, 5, v49
	v_lshrrev_b32_e32 v49, 7, v49
	v_cmp_ne_u16_e32 vcc, 0, v49
	v_bfe_i32 v57, v57, 0, 1
	v_lshrrev_b16_e32 v55, 7, v55
	v_cndmask_b32_e64 v49, 0, -1, vcc
	v_bfe_i32 v55, v55, 0, 1
	v_lshlrev_b16_e32 v57, 8, v57
	v_lshlrev_b16_e32 v59, 8, v49
	v_or_b32_sdwa v58, v56, v57 dst_sel:DWORD dst_unused:UNUSED_PAD src0_sel:BYTE_0 src1_sel:DWORD
	v_or_b32_sdwa v49, v55, v59 dst_sel:WORD_1 dst_unused:UNUSED_PAD src0_sel:BYTE_0 src1_sel:DWORD
	v_lshlrev_b16_e32 v50, 8, v50
	v_or_b32_sdwa v58, v58, v49 dst_sel:DWORD dst_unused:UNUSED_PAD src0_sel:WORD_0 src1_sel:DWORD
	global_load_dwordx2 v[48:49], v48, s[20:21]
	v_lshlrev_b16_e32 v51, 8, v51
	v_or_b32_sdwa v46, v47, v46 dst_sel:DWORD dst_unused:UNUSED_PAD src0_sel:WORD_0 src1_sel:DWORD
	v_mov_b32_e32 v47, 0
	v_dot4c_i32_i8_e32 v47, v45, v1
	v_dot4c_i32_i8_e32 v47, v46, v2
	s_waitcnt vmcnt(0)
	v_xor_b32_e32 v48, v48, v54
	v_and_b32_e32 v54, 0xffffff00, v48
	v_sub_i16 v52, v54, v52 clamp
	v_lshlrev_b16_e32 v54, 8, v48
	v_and_b32_e32 v52, 0xffffff00, v52
	v_sub_i16 v50, v54, v50 clamp
	v_or_b32_sdwa v50, v50, v52 dst_sel:DWORD dst_unused:UNUSED_PAD src0_sel:BYTE_1 src1_sel:DWORD
	v_and_b32_sdwa v52, v48, s31 dst_sel:DWORD dst_unused:UNUSED_PAD src0_sel:WORD_1 src1_sel:DWORD
	v_sub_i16 v52, v52, v53 clamp
	v_lshlrev_b16_sdwa v48, v35, v48 dst_sel:DWORD dst_unused:UNUSED_PAD src0_sel:DWORD src1_sel:WORD_1
	v_and_b32_e32 v52, 0xffffff00, v52
	v_sub_i16 v48, v48, v51 clamp
	v_or_b32_sdwa v48, v48, v52 dst_sel:WORD_1 dst_unused:UNUSED_PAD src0_sel:BYTE_1 src1_sel:DWORD
	v_xor_b32_e32 v49, v49, v58
	v_or_b32_sdwa v48, v50, v48 dst_sel:DWORD dst_unused:UNUSED_PAD src0_sel:WORD_0 src1_sel:DWORD
	v_and_b32_e32 v50, 0xffffff00, v49
	v_sub_i16 v50, v50, v57 clamp
	v_lshlrev_b16_e32 v51, 8, v49
	v_lshlrev_b16_e32 v52, 8, v56
	v_and_b32_e32 v50, 0xffffff00, v50
	v_sub_i16 v51, v51, v52 clamp
	v_or_b32_sdwa v50, v51, v50 dst_sel:DWORD dst_unused:UNUSED_PAD src0_sel:BYTE_1 src1_sel:DWORD
	v_and_b32_sdwa v51, v49, s31 dst_sel:DWORD dst_unused:UNUSED_PAD src0_sel:WORD_1 src1_sel:DWORD
	v_sub_i16 v51, v51, v59 clamp
	v_lshlrev_b16_sdwa v49, v35, v49 dst_sel:DWORD dst_unused:UNUSED_PAD src0_sel:DWORD src1_sel:WORD_1
	v_lshlrev_b16_e32 v52, 8, v55
	v_and_b32_e32 v51, 0xffffff00, v51
	v_sub_i16 v49, v49, v52 clamp
	v_or_b32_sdwa v49, v49, v51 dst_sel:WORD_1 dst_unused:UNUSED_PAD src0_sel:BYTE_1 src1_sel:DWORD
	v_dot4c_i32_i8_e32 v47, v48, v3
	v_or_b32_sdwa v49, v50, v49 dst_sel:DWORD dst_unused:UNUSED_PAD src0_sel:WORD_0 src1_sel:DWORD
	global_load_ushort v50, v[24:25], off
	global_load_ushort v51, v[26:27], off offset:2
	global_load_ushort v54, v[26:27], off offset:4
	global_load_ubyte v57, v[22:23], off offset:66
	global_load_ushort v58, v[26:27], off offset:34
	global_load_ushort v59, v[26:27], off offset:36
	v_dot4c_i32_i8_e32 v47, v49, v30
	s_waitcnt vmcnt(4)
	v_lshrrev_b16_e32 v55, 8, v51
	v_and_b32_sdwa v51, s29, v51 dst_sel:DWORD dst_unused:UNUSED_PAD src0_sel:DWORD src1_sel:BYTE_0
	s_waitcnt vmcnt(2)
	v_lshlrev_b32_e32 v52, 8, v57
	v_and_or_b32 v51, v52, s30, v51
	s_waitcnt vmcnt(1)
	v_and_b32_sdwa v52, s29, v58 dst_sel:DWORD dst_unused:UNUSED_PAD src0_sel:DWORD src1_sel:BYTE_0
	v_lshlrev_b32_e32 v53, 5, v52
	v_lshrrev_b16_e32 v53, 7, v53
	v_bfe_i32 v62, v53, 0, 1
	v_bfe_u32 v53, v52, 3, 1
	v_lshrrev_b32_e32 v61, 1, v52
	v_cmp_ne_u16_e32 vcc, 0, v53
	v_and_b32_e32 v60, 1, v58
	v_bfe_i32 v61, v61, 0, 1
	v_cndmask_b32_e64 v53, 0, -1, vcc
	v_sub_u16_e32 v60, 0, v60
	v_lshlrev_b16_e32 v61, 8, v61
	v_lshlrev_b16_e32 v64, 8, v53
	v_or_b32_sdwa v63, v60, v61 dst_sel:DWORD dst_unused:UNUSED_PAD src0_sel:BYTE_0 src1_sel:DWORD
	v_or_b32_sdwa v53, v62, v64 dst_sel:WORD_1 dst_unused:UNUSED_PAD src0_sel:BYTE_0 src1_sel:DWORD
	v_bfe_i32 v65, v52, 4, 1
	v_or_b32_sdwa v63, v63, v53 dst_sel:DWORD dst_unused:UNUSED_PAD src0_sel:WORD_0 src1_sel:DWORD
	v_lshlrev_b32_e32 v53, 1, v52
	v_lshrrev_b32_e32 v66, 5, v52
	v_lshrrev_b32_e32 v52, 7, v52
	v_cmp_ne_u16_e32 vcc, 0, v52
	v_bfe_i32 v66, v66, 0, 1
	v_lshrrev_b16_e32 v53, 7, v53
	v_cndmask_b32_e64 v52, 0, -1, vcc
	v_bfe_i32 v67, v53, 0, 1
	v_lshlrev_b16_e32 v66, 8, v66
	v_lshlrev_b16_e32 v68, 8, v52
	v_lshlrev_b32_e32 v51, 3, v51
	v_or_b32_sdwa v53, v65, v66 dst_sel:DWORD dst_unused:UNUSED_PAD src0_sel:BYTE_0 src1_sel:DWORD
	v_or_b32_sdwa v52, v67, v68 dst_sel:WORD_1 dst_unused:UNUSED_PAD src0_sel:BYTE_0 src1_sel:DWORD
	v_lshlrev_b16_e32 v60, 8, v60
	v_or_b32_sdwa v69, v53, v52 dst_sel:DWORD dst_unused:UNUSED_PAD src0_sel:WORD_0 src1_sel:DWORD
	global_load_dwordx2 v[52:53], v51, s[20:21]
	v_lshrrev_b16_e32 v56, 8, v54
	s_waitcnt vmcnt(0)
	v_xor_b32_e32 v51, v52, v63
	v_and_b32_e32 v52, 0xffffff00, v51
	v_sub_i16 v52, v52, v61 clamp
	v_lshlrev_b16_e32 v61, 8, v51
	v_and_b32_e32 v52, 0xffffff00, v52
	v_sub_i16 v60, v61, v60 clamp
	v_or_b32_sdwa v52, v60, v52 dst_sel:DWORD dst_unused:UNUSED_PAD src0_sel:BYTE_1 src1_sel:DWORD
	v_and_b32_sdwa v60, v51, s31 dst_sel:DWORD dst_unused:UNUSED_PAD src0_sel:WORD_1 src1_sel:DWORD
	v_sub_i16 v60, v60, v64 clamp
	v_lshlrev_b16_sdwa v51, v35, v51 dst_sel:DWORD dst_unused:UNUSED_PAD src0_sel:DWORD src1_sel:WORD_1
	v_lshlrev_b16_e32 v61, 8, v62
	v_and_b32_e32 v60, 0xffffff00, v60
	v_sub_i16 v51, v51, v61 clamp
	v_or_b32_sdwa v51, v51, v60 dst_sel:WORD_1 dst_unused:UNUSED_PAD src0_sel:BYTE_1 src1_sel:DWORD
	v_lshlrev_b16_e32 v61, 8, v65
	v_or_b32_sdwa v60, v52, v51 dst_sel:DWORD dst_unused:UNUSED_PAD src0_sel:WORD_0 src1_sel:DWORD
	v_xor_b32_e32 v51, v53, v69
	v_and_b32_e32 v52, 0xffffff00, v51
	v_sub_i16 v52, v52, v66 clamp
	v_lshlrev_b16_e32 v53, 8, v51
	v_and_b32_e32 v52, 0xffffff00, v52
	v_sub_i16 v53, v53, v61 clamp
	v_or_b32_sdwa v52, v53, v52 dst_sel:DWORD dst_unused:UNUSED_PAD src0_sel:BYTE_1 src1_sel:DWORD
	v_and_b32_sdwa v53, v51, s31 dst_sel:DWORD dst_unused:UNUSED_PAD src0_sel:WORD_1 src1_sel:DWORD
	v_sub_i16 v53, v53, v68 clamp
	v_lshlrev_b16_sdwa v51, v35, v51 dst_sel:DWORD dst_unused:UNUSED_PAD src0_sel:DWORD src1_sel:WORD_1
	v_lshlrev_b16_e32 v61, 8, v67
	v_and_b32_e32 v53, 0xffffff00, v53
	v_sub_i16 v51, v51, v61 clamp
	v_or_b32_sdwa v51, v51, v53 dst_sel:WORD_1 dst_unused:UNUSED_PAD src0_sel:BYTE_1 src1_sel:DWORD
	v_lshlrev_b16_e32 v53, 7, v58
	v_or_b32_sdwa v61, v52, v51 dst_sel:DWORD dst_unused:UNUSED_PAD src0_sel:WORD_0 src1_sel:DWORD
	v_mov_b32_e32 v51, 0
	v_dot4c_i32_i8_e32 v51, v60, v5
	v_dot4c_i32_i8_e32 v51, v61, v6
	v_lshrrev_b16_e32 v6, 8, v58
	v_lshlrev_b32_e32 v52, 5, v6
	v_lshrrev_b16_e32 v52, 7, v52
	v_lshlrev_b32_e32 v5, 6, v57
	v_bfe_i32 v58, v52, 0, 1
	v_bfe_u32 v52, v6, 3, 1
	v_and_or_b32 v5, v5, s30, v55
	v_ashrrev_i16_e32 v55, 15, v53
	v_lshrrev_b32_e32 v53, 1, v6
	v_cmp_ne_u16_e32 vcc, 0, v52
	v_bfe_i32 v53, v53, 0, 1
	v_lshlrev_b16_e32 v62, 8, v53
	v_cndmask_b32_e64 v52, 0, -1, vcc
	v_lshlrev_b16_e32 v63, 8, v52
	v_or_b32_sdwa v53, v55, v62 dst_sel:DWORD dst_unused:UNUSED_PAD src0_sel:BYTE_0 src1_sel:DWORD
	v_or_b32_sdwa v52, v58, v63 dst_sel:WORD_1 dst_unused:UNUSED_PAD src0_sel:BYTE_0 src1_sel:DWORD
	v_bfe_i32 v65, v6, 4, 1
	v_or_b32_sdwa v64, v53, v52 dst_sel:DWORD dst_unused:UNUSED_PAD src0_sel:WORD_0 src1_sel:DWORD
	v_lshlrev_b32_e32 v52, 1, v6
	v_lshrrev_b32_e32 v53, 5, v6
	v_lshrrev_b32_e32 v6, 7, v6
	v_cmp_ne_u16_e32 vcc, 0, v6
	v_bfe_i32 v53, v53, 0, 1
	v_lshrrev_b16_e32 v52, 7, v52
	v_cndmask_b32_e64 v6, 0, -1, vcc
	v_bfe_i32 v66, v52, 0, 1
	v_lshlrev_b16_e32 v67, 8, v53
	v_lshlrev_b16_e32 v6, 8, v6
	v_lshlrev_b32_e32 v5, 3, v5
	v_or_b32_sdwa v52, v65, v67 dst_sel:DWORD dst_unused:UNUSED_PAD src0_sel:BYTE_0 src1_sel:DWORD
	v_or_b32_sdwa v53, v66, v6 dst_sel:WORD_1 dst_unused:UNUSED_PAD src0_sel:BYTE_0 src1_sel:DWORD
	v_lshlrev_b16_e32 v55, 8, v55
	v_or_b32_sdwa v68, v52, v53 dst_sel:DWORD dst_unused:UNUSED_PAD src0_sel:WORD_0 src1_sel:DWORD
	global_load_dwordx2 v[52:53], v5, s[20:21]
	v_lshlrev_b16_e32 v58, 8, v58
	s_waitcnt vmcnt(0)
	v_xor_b32_e32 v5, v52, v64
	v_and_b32_e32 v52, 0xffffff00, v5
	v_sub_i16 v52, v52, v62 clamp
	v_lshlrev_b16_e32 v62, 8, v5
	v_and_b32_e32 v52, 0xffffff00, v52
	v_sub_i16 v55, v62, v55 clamp
	v_or_b32_sdwa v52, v55, v52 dst_sel:DWORD dst_unused:UNUSED_PAD src0_sel:BYTE_1 src1_sel:DWORD
	v_and_b32_sdwa v55, v5, s31 dst_sel:DWORD dst_unused:UNUSED_PAD src0_sel:WORD_1 src1_sel:DWORD
	v_sub_i16 v55, v55, v63 clamp
	v_lshlrev_b16_sdwa v5, v35, v5 dst_sel:DWORD dst_unused:UNUSED_PAD src0_sel:DWORD src1_sel:WORD_1
	v_and_b32_e32 v55, 0xffffff00, v55
	v_sub_i16 v5, v5, v58 clamp
	v_or_b32_sdwa v5, v5, v55 dst_sel:WORD_1 dst_unused:UNUSED_PAD src0_sel:BYTE_1 src1_sel:DWORD
	v_lshlrev_b16_e32 v55, 8, v65
	v_or_b32_sdwa v58, v52, v5 dst_sel:DWORD dst_unused:UNUSED_PAD src0_sel:WORD_0 src1_sel:DWORD
	v_xor_b32_e32 v5, v53, v68
	v_and_b32_e32 v52, 0xffffff00, v5
	v_sub_i16 v52, v52, v67 clamp
	v_lshlrev_b16_e32 v53, 8, v5
	v_and_b32_e32 v52, 0xffffff00, v52
	v_sub_i16 v53, v53, v55 clamp
	v_or_b32_sdwa v52, v53, v52 dst_sel:DWORD dst_unused:UNUSED_PAD src0_sel:BYTE_1 src1_sel:DWORD
	v_and_b32_sdwa v53, v5, s31 dst_sel:DWORD dst_unused:UNUSED_PAD src0_sel:WORD_1 src1_sel:DWORD
	v_sub_i16 v6, v53, v6 clamp
	v_lshlrev_b16_sdwa v5, v35, v5 dst_sel:DWORD dst_unused:UNUSED_PAD src0_sel:DWORD src1_sel:WORD_1
	v_lshlrev_b16_e32 v53, 8, v66
	v_and_b32_e32 v6, 0xffffff00, v6
	v_sub_i16 v5, v5, v53 clamp
	v_or_b32_sdwa v5, v5, v6 dst_sel:WORD_1 dst_unused:UNUSED_PAD src0_sel:BYTE_1 src1_sel:DWORD
	v_dot4c_i32_i8_e32 v51, v58, v7
	v_or_b32_sdwa v62, v52, v5 dst_sel:DWORD dst_unused:UNUSED_PAD src0_sel:WORD_0 src1_sel:DWORD
	v_dot4c_i32_i8_e32 v51, v62, v0
	v_and_b32_sdwa v0, s29, v54 dst_sel:DWORD dst_unused:UNUSED_PAD src0_sel:DWORD src1_sel:BYTE_0
	v_lshlrev_b32_e32 v5, 4, v57
	v_and_or_b32 v0, v5, s30, v0
	v_and_b32_sdwa v5, s29, v59 dst_sel:DWORD dst_unused:UNUSED_PAD src0_sel:DWORD src1_sel:BYTE_0
	v_lshlrev_b32_e32 v6, 5, v5
	v_lshrrev_b16_e32 v6, 7, v6
	v_and_b32_e32 v7, 1, v59
	v_bfe_i32 v53, v6, 0, 1
	v_bfe_u32 v6, v5, 3, 1
	v_sub_u16_e32 v52, 0, v7
	v_lshrrev_b32_e32 v7, 1, v5
	v_cmp_ne_u16_e32 vcc, 0, v6
	v_bfe_i32 v7, v7, 0, 1
	v_lshlrev_b16_e32 v54, 8, v7
	v_cndmask_b32_e64 v6, 0, -1, vcc
	v_lshlrev_b16_e32 v55, 8, v6
	v_or_b32_sdwa v7, v52, v54 dst_sel:DWORD dst_unused:UNUSED_PAD src0_sel:BYTE_0 src1_sel:DWORD
	v_or_b32_sdwa v6, v53, v55 dst_sel:WORD_1 dst_unused:UNUSED_PAD src0_sel:BYTE_0 src1_sel:DWORD
	v_bfe_i32 v64, v5, 4, 1
	v_or_b32_sdwa v63, v7, v6 dst_sel:DWORD dst_unused:UNUSED_PAD src0_sel:WORD_0 src1_sel:DWORD
	v_lshlrev_b32_e32 v6, 1, v5
	v_lshrrev_b32_e32 v7, 5, v5
	v_lshrrev_b32_e32 v5, 7, v5
	v_cmp_ne_u16_e32 vcc, 0, v5
	v_bfe_i32 v7, v7, 0, 1
	v_lshrrev_b16_e32 v6, 7, v6
	v_cndmask_b32_e64 v5, 0, -1, vcc
	v_bfe_i32 v65, v6, 0, 1
	v_lshlrev_b16_e32 v66, 8, v7
	v_lshlrev_b16_e32 v5, 8, v5
	v_lshlrev_b32_e32 v0, 3, v0
	v_or_b32_sdwa v6, v64, v66 dst_sel:DWORD dst_unused:UNUSED_PAD src0_sel:BYTE_0 src1_sel:DWORD
	v_or_b32_sdwa v7, v65, v5 dst_sel:WORD_1 dst_unused:UNUSED_PAD src0_sel:BYTE_0 src1_sel:DWORD
	v_lshlrev_b16_e32 v52, 8, v52
	v_or_b32_sdwa v67, v6, v7 dst_sel:DWORD dst_unused:UNUSED_PAD src0_sel:WORD_0 src1_sel:DWORD
	global_load_dwordx2 v[6:7], v0, s[20:21]
	v_lshlrev_b16_e32 v53, 8, v53
	s_waitcnt vmcnt(0)
	v_xor_b32_e32 v0, v6, v63
	v_and_b32_e32 v6, 0xffffff00, v0
	v_sub_i16 v6, v6, v54 clamp
	v_lshlrev_b16_e32 v54, 8, v0
	v_and_b32_e32 v6, 0xffffff00, v6
	v_sub_i16 v52, v54, v52 clamp
	v_or_b32_sdwa v6, v52, v6 dst_sel:DWORD dst_unused:UNUSED_PAD src0_sel:BYTE_1 src1_sel:DWORD
	v_and_b32_sdwa v52, v0, s31 dst_sel:DWORD dst_unused:UNUSED_PAD src0_sel:WORD_1 src1_sel:DWORD
	v_sub_i16 v52, v52, v55 clamp
	v_lshlrev_b16_sdwa v0, v35, v0 dst_sel:DWORD dst_unused:UNUSED_PAD src0_sel:DWORD src1_sel:WORD_1
	v_and_b32_e32 v52, 0xffffff00, v52
	v_sub_i16 v0, v0, v53 clamp
	v_or_b32_sdwa v0, v0, v52 dst_sel:WORD_1 dst_unused:UNUSED_PAD src0_sel:BYTE_1 src1_sel:DWORD
	v_lshlrev_b16_e32 v52, 8, v64
	v_or_b32_sdwa v63, v6, v0 dst_sel:DWORD dst_unused:UNUSED_PAD src0_sel:WORD_0 src1_sel:DWORD
	v_xor_b32_e32 v0, v7, v67
	v_and_b32_e32 v6, 0xffffff00, v0
	v_sub_i16 v6, v6, v66 clamp
	v_lshlrev_b16_e32 v7, 8, v0
	v_and_b32_e32 v6, 0xffffff00, v6
	v_sub_i16 v7, v7, v52 clamp
	v_or_b32_sdwa v6, v7, v6 dst_sel:DWORD dst_unused:UNUSED_PAD src0_sel:BYTE_1 src1_sel:DWORD
	v_and_b32_sdwa v7, v0, s31 dst_sel:DWORD dst_unused:UNUSED_PAD src0_sel:WORD_1 src1_sel:DWORD
	v_sub_i16 v5, v7, v5 clamp
	v_lshlrev_b16_sdwa v0, v35, v0 dst_sel:DWORD dst_unused:UNUSED_PAD src0_sel:DWORD src1_sel:WORD_1
	v_lshlrev_b16_e32 v7, 8, v65
	v_and_b32_e32 v5, 0xffffff00, v5
	v_sub_i16 v0, v0, v7 clamp
	v_or_b32_sdwa v0, v0, v5 dst_sel:WORD_1 dst_unused:UNUSED_PAD src0_sel:BYTE_1 src1_sel:DWORD
	v_mov_b32_e32 v5, 0
	v_dot4c_i32_i8_e32 v5, v63, v1
	v_lshrrev_b16_e32 v1, 8, v59
	v_or_b32_sdwa v64, v6, v0 dst_sel:DWORD dst_unused:UNUSED_PAD src0_sel:WORD_0 src1_sel:DWORD
	v_bfe_u32 v52, v1, 3, 1
	v_dot4c_i32_i8_e32 v5, v64, v2
	v_lshlrev_b32_e32 v2, 5, v1
	v_lshrrev_b32_e32 v7, 1, v1
	v_cmp_ne_u16_e32 vcc, 0, v52
	v_lshlrev_b16_e32 v6, 7, v59
	v_bfe_i32 v7, v7, 0, 1
	v_lshrrev_b16_e32 v2, 7, v2
	v_cndmask_b32_e64 v52, 0, -1, vcc
	v_ashrrev_i16_e32 v6, 15, v6
	v_bfe_i32 v2, v2, 0, 1
	v_lshlrev_b16_e32 v7, 8, v7
	v_lshlrev_b16_e32 v52, 8, v52
	v_lshlrev_b32_e32 v0, 2, v57
	v_or_b32_sdwa v53, v6, v7 dst_sel:DWORD dst_unused:UNUSED_PAD src0_sel:BYTE_0 src1_sel:DWORD
	v_or_b32_sdwa v54, v2, v52 dst_sel:WORD_1 dst_unused:UNUSED_PAD src0_sel:BYTE_0 src1_sel:DWORD
	v_and_or_b32 v0, v0, s30, v56
	v_or_b32_sdwa v53, v53, v54 dst_sel:DWORD dst_unused:UNUSED_PAD src0_sel:WORD_0 src1_sel:DWORD
	v_lshlrev_b32_e32 v54, 1, v1
	v_bfe_i32 v55, v1, 4, 1
	v_lshrrev_b32_e32 v56, 5, v1
	v_lshrrev_b32_e32 v1, 7, v1
	v_cmp_ne_u16_e32 vcc, 0, v1
	v_bfe_i32 v56, v56, 0, 1
	v_lshrrev_b16_e32 v54, 7, v54
	v_cndmask_b32_e64 v1, 0, -1, vcc
	v_bfe_i32 v54, v54, 0, 1
	v_lshlrev_b16_e32 v56, 8, v56
	v_lshlrev_b16_e32 v59, 8, v1
	v_lshlrev_b32_e32 v0, 3, v0
	v_or_b32_sdwa v57, v55, v56 dst_sel:DWORD dst_unused:UNUSED_PAD src0_sel:BYTE_0 src1_sel:DWORD
	v_or_b32_sdwa v1, v54, v59 dst_sel:WORD_1 dst_unused:UNUSED_PAD src0_sel:BYTE_0 src1_sel:DWORD
	v_lshlrev_b16_e32 v6, 8, v6
	v_or_b32_sdwa v57, v57, v1 dst_sel:DWORD dst_unused:UNUSED_PAD src0_sel:WORD_0 src1_sel:DWORD
	global_load_dwordx2 v[0:1], v0, s[20:21]
	v_lshlrev_b16_e32 v2, 8, v2
	s_waitcnt vmcnt(0)
	v_xor_b32_e32 v0, v0, v53
	v_and_b32_e32 v53, 0xffffff00, v0
	v_sub_i16 v7, v53, v7 clamp
	v_lshlrev_b16_e32 v53, 8, v0
	v_and_b32_e32 v7, 0xffffff00, v7
	v_sub_i16 v6, v53, v6 clamp
	v_or_b32_sdwa v6, v6, v7 dst_sel:DWORD dst_unused:UNUSED_PAD src0_sel:BYTE_1 src1_sel:DWORD
	v_and_b32_sdwa v7, v0, s31 dst_sel:DWORD dst_unused:UNUSED_PAD src0_sel:WORD_1 src1_sel:DWORD
	v_sub_i16 v7, v7, v52 clamp
	v_lshlrev_b16_sdwa v0, v35, v0 dst_sel:DWORD dst_unused:UNUSED_PAD src0_sel:DWORD src1_sel:WORD_1
	v_and_b32_e32 v7, 0xffffff00, v7
	v_sub_i16 v0, v0, v2 clamp
	v_or_b32_sdwa v0, v0, v7 dst_sel:WORD_1 dst_unused:UNUSED_PAD src0_sel:BYTE_1 src1_sel:DWORD
	v_add_u32_e32 v7, v47, v42
	v_or_b32_sdwa v65, v6, v0 dst_sel:DWORD dst_unused:UNUSED_PAD src0_sel:WORD_0 src1_sel:DWORD
	v_xor_b32_e32 v0, v1, v57
	v_and_b32_e32 v1, 0xffffff00, v0
	v_sub_i16 v1, v1, v56 clamp
	v_lshlrev_b16_e32 v2, 8, v0
	v_lshlrev_b16_e32 v6, 8, v55
	v_and_b32_e32 v1, 0xffffff00, v1
	v_sub_i16 v2, v2, v6 clamp
	v_or_b32_sdwa v1, v2, v1 dst_sel:DWORD dst_unused:UNUSED_PAD src0_sel:BYTE_1 src1_sel:DWORD
	v_and_b32_sdwa v2, v0, s31 dst_sel:DWORD dst_unused:UNUSED_PAD src0_sel:WORD_1 src1_sel:DWORD
	v_sub_i16 v2, v2, v59 clamp
	v_lshlrev_b16_sdwa v0, v35, v0 dst_sel:DWORD dst_unused:UNUSED_PAD src0_sel:DWORD src1_sel:WORD_1
	v_lshlrev_b16_e32 v6, 8, v54
	v_and_b32_e32 v2, 0xffffff00, v2
	v_sub_i16 v0, v0, v6 clamp
	v_or_b32_sdwa v0, v0, v2 dst_sel:WORD_1 dst_unused:UNUSED_PAD src0_sel:BYTE_1 src1_sel:DWORD
	v_dot4c_i32_i8_e32 v5, v65, v3
	v_or_b32_sdwa v59, v1, v0 dst_sel:DWORD dst_unused:UNUSED_PAD src0_sel:WORD_0 src1_sel:DWORD
	global_load_ushort v0, v[20:21], off
	global_load_ubyte v1, v[18:19], off offset:74
	global_load_ubyte v2, v[22:23], off offset:74
	v_dot4c_i32_i8_e32 v5, v59, v30
	v_lshrrev_b32_e32 v30, 31, v7
	v_add_u32_e32 v7, v7, v30
	v_ashrrev_i32_e32 v7, 1, v7
	v_cvt_f32_f16_e32 v54, v50
	s_waitcnt vmcnt(2)
	v_cvt_f32_f16_e32 v55, v0
	s_waitcnt vmcnt(1)
	v_lshrrev_b32_e32 v67, 4, v1
	s_waitcnt vmcnt(0)
	v_lshrrev_b32_e32 v66, 4, v2
	v_and_b32_e32 v69, 15, v1
	v_mul_lo_u32 v6, v5, v66
	v_add_u32_e32 v5, v5, v51
	v_mul_lo_u32 v1, v42, v69
	v_mul_lo_u32 v3, v47, v67
	v_lshrrev_b32_e32 v30, 31, v5
	v_and_b32_e32 v68, 15, v2
	v_add_u32_e32 v5, v5, v30
	v_add3_u32 v1, v3, v1, v7
	v_mul_lo_u32 v2, v51, v68
	v_ashrrev_i32_e32 v5, 1, v5
	v_ashrrev_i32_e32 v3, 31, v1
	v_add3_u32 v2, v6, v2, v5
	v_lshrrev_b32_e32 v3, 30, v3
	v_add_u32_e32 v1, v1, v3
	v_ashrrev_i32_e32 v3, 31, v2
	v_lshrrev_b32_e32 v3, 30, v3
	v_add_u32_e32 v2, v2, v3
	v_ashrrev_i32_e32 v1, 2, v1
	v_ashrrev_i32_e32 v2, 2, v2
	v_cvt_f32_i32_e32 v7, v2
	v_cvt_f32_i32_e32 v6, v1
	scratch_load_dwordx4 v[0:3], off, off offset:32
	v_pk_mul_f32 v[4:5], v[4:5], v[54:55] op_sel_hi:[0,1]
	v_mov_b32_e32 v47, 0
	s_waitcnt vmcnt(0)
	v_pk_fma_f32 v[0:1], v[4:5], v[6:7], v[0:1]
	v_add_u32_e32 v4, s19, v34
	v_mad_u64_u32 v[4:5], s[34:35], v4, 36, s[24:25]
	v_mad_u64_u32 v[56:57], s[34:35], v10, 36, v[4:5]
	global_load_dword v42, v[56:57], off offset:32
	global_load_dwordx4 v[4:7], v[56:57], off offset:16
	global_load_dwordx4 v[50:53], v[56:57], off
	s_waitcnt vmcnt(0)
	v_dot4c_i32_i8_e32 v47, v31, v51
	v_dot4c_i32_i8_e32 v47, v32, v52
	v_mov_b32_e32 v32, 0
	v_dot4c_i32_i8_e32 v32, v60, v51
	v_dot4c_i32_i8_e32 v32, v61, v52
	;; [unrolled: 1-line block ×3, first 2 shown]
	v_mov_b32_e32 v31, 0
	v_dot4c_i32_i8_e32 v32, v58, v53
	v_dot4c_i32_i8_e32 v47, v44, v4
	;; [unrolled: 1-line block ×4, first 2 shown]
	v_mov_b32_e32 v4, 0
	v_dot4c_i32_i8_e32 v31, v46, v6
	v_dot4c_i32_i8_e32 v4, v63, v5
	v_dot4c_i32_i8_e32 v31, v48, v7
	v_dot4c_i32_i8_e32 v4, v64, v6
	v_dot4c_i32_i8_e32 v31, v49, v42
	v_dot4c_i32_i8_e32 v4, v65, v7
	v_dot4c_i32_i8_e32 v4, v59, v42
	v_mul_lo_u32 v6, v32, v68
	v_mul_lo_u32 v7, v31, v67
	v_add_u32_e32 v31, v31, v47
	v_mul_lo_u32 v42, v4, v66
	v_add_u32_e32 v4, v4, v32
	v_lshrrev_b32_e32 v32, 31, v31
	v_add_u32_e32 v31, v31, v32
	v_lshrrev_b32_e32 v32, 31, v4
	v_mul_lo_u32 v5, v47, v69
	v_ashrrev_i32_e32 v31, 1, v31
	v_add_u32_e32 v4, v4, v32
	v_ashrrev_i32_e32 v4, 1, v4
	v_add3_u32 v5, v7, v5, v31
	v_add3_u32 v4, v42, v6, v4
	v_ashrrev_i32_e32 v6, 31, v5
	v_lshrrev_b32_e32 v6, 30, v6
	v_add_u32_e32 v5, v5, v6
	v_ashrrev_i32_e32 v6, 2, v5
	v_ashrrev_i32_e32 v5, 31, v4
	v_lshrrev_b32_e32 v5, 30, v5
	v_add_u32_e32 v4, v4, v5
	v_cvt_f32_f16_e32 v30, v50
	v_ashrrev_i32_e32 v7, 2, v4
	v_cvt_f32_i32_e32 v7, v7
	v_cvt_f32_i32_e32 v6, v6
	v_pk_mul_f32 v[4:5], v[30:31], v[54:55] op_sel_hi:[0,1]
	v_bfe_u32 v45, v40, 1, 7
	v_bfe_i32 v45, v45, 0, 1
	v_pk_fma_f32 v[2:3], v[4:5], v[6:7], v[2:3]
	scratch_store_dwordx4 off, v[0:3], off offset:32
	v_lshlrev_b16_e32 v45, 8, v45
	v_bfe_u32 v50, v40, 5, 3
	v_add_u32_e32 v0, s15, v34
	v_mad_u64_u32 v[0:1], s[34:35], v0, 36, s[24:25]
	v_mad_u64_u32 v[42:43], s[34:35], v10, 36, v[0:1]
	global_load_dword v30, v[42:43], off offset:32
	global_load_dwordx4 v[0:3], v[42:43], off offset:16
	global_load_dwordx4 v[4:7], v[42:43], off
	global_load_ushort v31, v[28:29], off offset:4
	s_nop 0
	global_load_ubyte v43, v[18:19], off offset:66
	global_load_ushort v44, v[28:29], off offset:36
	v_and_b32_e32 v28, 0xff, v41
	v_lshrrev_b16_e32 v42, 8, v41
	v_and_b32_e32 v41, 1, v40
	v_sub_u16_e32 v41, 0, v41
	v_or_b32_sdwa v47, v41, v45 dst_sel:DWORD dst_unused:UNUSED_PAD src0_sel:BYTE_0 src1_sel:DWORD
	v_bfe_i32 v50, v50, 0, 1
	v_bfe_i32 v49, v40, 4, 1
	v_lshlrev_b16_e32 v50, 8, v50
	v_or_b32_sdwa v52, v49, v50 dst_sel:DWORD dst_unused:UNUSED_PAD src0_sel:BYTE_0 src1_sel:DWORD
	v_lshlrev_b16_e32 v41, 8, v41
	v_add_u32_e32 v34, 64, v34
	s_waitcnt vmcnt(3)
	v_cvt_f32_f16_e32 v4, v4
	s_waitcnt vmcnt(1)
	v_lshlrev_b32_e32 v29, 8, v43
	v_and_or_b32 v28, v29, s30, v28
	v_lshlrev_b32_sdwa v29, v36, v40 dst_sel:DWORD dst_unused:UNUSED_PAD src0_sel:DWORD src1_sel:BYTE_0
	v_lshrrev_b16_e32 v29, 7, v29
	v_bfe_i32 v46, v29, 0, 1
	v_bfe_u32 v29, v40, 3, 1
	v_cmp_ne_u16_e32 vcc, 0, v29
	v_lshlrev_b32_e32 v28, 3, v28
	v_lshrrev_b16_e32 v32, 8, v31
	v_cndmask_b32_e64 v29, 0, -1, vcc
	v_lshlrev_b16_e32 v48, 8, v29
	v_or_b32_sdwa v29, v46, v48 dst_sel:WORD_1 dst_unused:UNUSED_PAD src0_sel:BYTE_0 src1_sel:DWORD
	v_lshlrev_b16_e32 v46, 8, v46
	v_or_b32_sdwa v47, v47, v29 dst_sel:DWORD dst_unused:UNUSED_PAD src0_sel:WORD_0 src1_sel:DWORD
	v_lshlrev_b32_sdwa v29, v37, v40 dst_sel:DWORD dst_unused:UNUSED_PAD src0_sel:DWORD src1_sel:BYTE_0
	v_lshrrev_b16_e32 v29, 7, v29
	v_bfe_i32 v51, v29, 0, 1
	v_bfe_u32 v29, v40, 7, 1
	v_cmp_ne_u16_e32 vcc, 0, v29
	s_nop 1
	v_cndmask_b32_e64 v29, 0, -1, vcc
	v_lshlrev_b16_e32 v53, 8, v29
	v_or_b32_sdwa v29, v51, v53 dst_sel:WORD_1 dst_unused:UNUSED_PAD src0_sel:BYTE_0 src1_sel:DWORD
	s_nop 0
	v_or_b32_sdwa v52, v52, v29 dst_sel:DWORD dst_unused:UNUSED_PAD src0_sel:WORD_0 src1_sel:DWORD
	global_load_dwordx2 v[28:29], v28, s[20:21]
	s_waitcnt vmcnt(0)
	v_xor_b32_e32 v28, v28, v47
	v_and_b32_e32 v47, 0xffffff00, v28
	v_sub_i16 v45, v47, v45 clamp
	v_lshlrev_b16_e32 v47, 8, v28
	v_and_b32_e32 v45, 0xffffff00, v45
	v_sub_i16 v41, v47, v41 clamp
	v_or_b32_sdwa v41, v41, v45 dst_sel:DWORD dst_unused:UNUSED_PAD src0_sel:BYTE_1 src1_sel:DWORD
	v_and_b32_sdwa v45, v28, s31 dst_sel:DWORD dst_unused:UNUSED_PAD src0_sel:WORD_1 src1_sel:DWORD
	v_sub_i16 v45, v45, v48 clamp
	v_lshlrev_b16_sdwa v28, v35, v28 dst_sel:DWORD dst_unused:UNUSED_PAD src0_sel:DWORD src1_sel:WORD_1
	v_and_b32_e32 v45, 0xffffff00, v45
	v_sub_i16 v28, v28, v46 clamp
	v_or_b32_sdwa v28, v28, v45 dst_sel:WORD_1 dst_unused:UNUSED_PAD src0_sel:BYTE_1 src1_sel:DWORD
	v_xor_b32_e32 v29, v29, v52
	v_or_b32_sdwa v28, v41, v28 dst_sel:DWORD dst_unused:UNUSED_PAD src0_sel:WORD_0 src1_sel:DWORD
	v_and_b32_e32 v41, 0xffffff00, v29
	v_sub_i16 v41, v41, v50 clamp
	v_lshlrev_b16_e32 v45, 8, v29
	v_lshlrev_b16_e32 v46, 8, v49
	v_and_b32_e32 v41, 0xffffff00, v41
	v_sub_i16 v45, v45, v46 clamp
	v_or_b32_sdwa v41, v45, v41 dst_sel:DWORD dst_unused:UNUSED_PAD src0_sel:BYTE_1 src1_sel:DWORD
	v_and_b32_sdwa v45, v29, s31 dst_sel:DWORD dst_unused:UNUSED_PAD src0_sel:WORD_1 src1_sel:DWORD
	v_sub_i16 v45, v45, v53 clamp
	v_lshlrev_b16_sdwa v29, v35, v29 dst_sel:DWORD dst_unused:UNUSED_PAD src0_sel:DWORD src1_sel:WORD_1
	v_lshlrev_b16_e32 v46, 8, v51
	v_and_b32_e32 v45, 0xffffff00, v45
	v_sub_i16 v29, v29, v46 clamp
	v_or_b32_sdwa v29, v29, v45 dst_sel:WORD_1 dst_unused:UNUSED_PAD src0_sel:BYTE_1 src1_sel:DWORD
	s_nop 0
	v_or_b32_sdwa v41, v41, v29 dst_sel:DWORD dst_unused:UNUSED_PAD src0_sel:WORD_0 src1_sel:DWORD
	v_mov_b32_e32 v29, 0
	v_dot4c_i32_i8_e32 v29, v28, v5
	v_dot4c_i32_i8_e32 v29, v41, v6
	v_lshrrev_b16_e32 v41, 8, v40
	v_lshlrev_b32_e32 v28, 6, v43
	v_lshlrev_b16_e32 v40, 7, v40
	v_bfe_u32 v46, v41, 3, 1
	v_and_or_b32 v28, v28, s30, v42
	v_lshlrev_b32_e32 v42, 5, v41
	v_ashrrev_i16_e32 v45, 15, v40
	v_lshrrev_b32_e32 v40, 1, v41
	v_cmp_ne_u16_e32 vcc, 0, v46
	v_bfe_i32 v40, v40, 0, 1
	v_lshrrev_b16_e32 v42, 7, v42
	v_cndmask_b32_e64 v46, 0, -1, vcc
	v_bfe_i32 v42, v42, 0, 1
	v_lshlrev_b16_e32 v47, 8, v40
	v_lshlrev_b16_e32 v46, 8, v46
	v_or_b32_sdwa v40, v45, v47 dst_sel:DWORD dst_unused:UNUSED_PAD src0_sel:BYTE_0 src1_sel:DWORD
	v_or_b32_sdwa v48, v42, v46 dst_sel:WORD_1 dst_unused:UNUSED_PAD src0_sel:BYTE_0 src1_sel:DWORD
	v_lshrrev_b32_e32 v50, 5, v41
	v_or_b32_sdwa v48, v40, v48 dst_sel:DWORD dst_unused:UNUSED_PAD src0_sel:WORD_0 src1_sel:DWORD
	v_lshlrev_b32_e32 v40, 1, v41
	v_lshrrev_b16_e32 v40, 7, v40
	v_bfe_i32 v51, v40, 0, 1
	v_lshrrev_b32_e32 v40, 7, v41
	v_cmp_ne_u16_e32 vcc, 0, v40
	v_bfe_i32 v50, v50, 0, 1
	v_bfe_i32 v49, v41, 4, 1
	v_cndmask_b32_e64 v40, 0, -1, vcc
	v_lshlrev_b16_e32 v50, 8, v50
	v_lshlrev_b16_e32 v52, 8, v40
	v_lshlrev_b32_e32 v28, 3, v28
	v_or_b32_sdwa v41, v49, v50 dst_sel:DWORD dst_unused:UNUSED_PAD src0_sel:BYTE_0 src1_sel:DWORD
	v_or_b32_sdwa v40, v51, v52 dst_sel:WORD_1 dst_unused:UNUSED_PAD src0_sel:BYTE_0 src1_sel:DWORD
	v_lshlrev_b16_e32 v45, 8, v45
	v_or_b32_sdwa v53, v41, v40 dst_sel:DWORD dst_unused:UNUSED_PAD src0_sel:WORD_0 src1_sel:DWORD
	global_load_dwordx2 v[40:41], v28, s[20:21]
	v_lshlrev_b16_e32 v42, 8, v42
	s_waitcnt vmcnt(0)
	v_xor_b32_e32 v28, v40, v48
	v_and_b32_e32 v40, 0xffffff00, v28
	v_sub_i16 v40, v40, v47 clamp
	v_lshlrev_b16_e32 v47, 8, v28
	v_and_b32_e32 v40, 0xffffff00, v40
	v_sub_i16 v45, v47, v45 clamp
	v_or_b32_sdwa v40, v45, v40 dst_sel:DWORD dst_unused:UNUSED_PAD src0_sel:BYTE_1 src1_sel:DWORD
	v_and_b32_sdwa v45, v28, s31 dst_sel:DWORD dst_unused:UNUSED_PAD src0_sel:WORD_1 src1_sel:DWORD
	v_sub_i16 v45, v45, v46 clamp
	v_lshlrev_b16_sdwa v28, v35, v28 dst_sel:DWORD dst_unused:UNUSED_PAD src0_sel:DWORD src1_sel:WORD_1
	v_and_b32_e32 v45, 0xffffff00, v45
	v_sub_i16 v28, v28, v42 clamp
	v_or_b32_sdwa v28, v28, v45 dst_sel:WORD_1 dst_unused:UNUSED_PAD src0_sel:BYTE_1 src1_sel:DWORD
	v_lshlrev_b16_e32 v45, 8, v49
	v_or_b32_sdwa v28, v40, v28 dst_sel:DWORD dst_unused:UNUSED_PAD src0_sel:WORD_0 src1_sel:DWORD
	v_xor_b32_e32 v40, v41, v53
	v_and_b32_e32 v41, 0xffffff00, v40
	v_sub_i16 v41, v41, v50 clamp
	v_lshlrev_b16_e32 v42, 8, v40
	v_and_b32_e32 v41, 0xffffff00, v41
	v_sub_i16 v42, v42, v45 clamp
	v_or_b32_sdwa v41, v42, v41 dst_sel:DWORD dst_unused:UNUSED_PAD src0_sel:BYTE_1 src1_sel:DWORD
	v_and_b32_sdwa v42, v40, s31 dst_sel:DWORD dst_unused:UNUSED_PAD src0_sel:WORD_1 src1_sel:DWORD
	v_sub_i16 v42, v42, v52 clamp
	v_lshlrev_b16_sdwa v40, v35, v40 dst_sel:DWORD dst_unused:UNUSED_PAD src0_sel:DWORD src1_sel:WORD_1
	v_lshlrev_b16_e32 v45, 8, v51
	v_and_b32_e32 v42, 0xffffff00, v42
	v_sub_i16 v40, v40, v45 clamp
	v_or_b32_sdwa v40, v40, v42 dst_sel:WORD_1 dst_unused:UNUSED_PAD src0_sel:BYTE_1 src1_sel:DWORD
	v_dot4c_i32_i8_e32 v29, v28, v7
	v_and_b32_sdwa v28, s29, v31 dst_sel:DWORD dst_unused:UNUSED_PAD src0_sel:DWORD src1_sel:BYTE_0
	v_lshlrev_b32_e32 v31, 4, v43
	v_or_b32_sdwa v40, v41, v40 dst_sel:DWORD dst_unused:UNUSED_PAD src0_sel:WORD_0 src1_sel:DWORD
	v_and_or_b32 v28, v31, s30, v28
	v_and_b32_sdwa v31, s29, v44 dst_sel:DWORD dst_unused:UNUSED_PAD src0_sel:DWORD src1_sel:BYTE_0
	v_dot4c_i32_i8_e32 v29, v40, v0
	v_lshlrev_b32_e32 v40, 5, v31
	v_lshrrev_b16_e32 v40, 7, v40
	v_and_b32_e32 v41, 1, v44
	v_bfe_i32 v45, v40, 0, 1
	v_bfe_u32 v40, v31, 3, 1
	v_sub_u16_e32 v42, 0, v41
	v_lshrrev_b32_e32 v41, 1, v31
	v_cmp_ne_u16_e32 vcc, 0, v40
	v_bfe_i32 v41, v41, 0, 1
	v_lshlrev_b16_e32 v46, 8, v41
	v_cndmask_b32_e64 v40, 0, -1, vcc
	v_lshlrev_b16_e32 v47, 8, v40
	v_or_b32_sdwa v41, v42, v46 dst_sel:DWORD dst_unused:UNUSED_PAD src0_sel:BYTE_0 src1_sel:DWORD
	v_or_b32_sdwa v40, v45, v47 dst_sel:WORD_1 dst_unused:UNUSED_PAD src0_sel:BYTE_0 src1_sel:DWORD
	v_bfe_i32 v49, v31, 4, 1
	v_or_b32_sdwa v48, v41, v40 dst_sel:DWORD dst_unused:UNUSED_PAD src0_sel:WORD_0 src1_sel:DWORD
	v_lshlrev_b32_e32 v40, 1, v31
	v_lshrrev_b32_e32 v41, 5, v31
	v_lshrrev_b32_e32 v31, 7, v31
	v_cmp_ne_u16_e32 vcc, 0, v31
	v_bfe_i32 v41, v41, 0, 1
	v_lshrrev_b16_e32 v40, 7, v40
	v_cndmask_b32_e64 v31, 0, -1, vcc
	v_bfe_i32 v50, v40, 0, 1
	v_lshlrev_b16_e32 v51, 8, v41
	v_lshlrev_b16_e32 v31, 8, v31
	v_lshlrev_b32_e32 v28, 3, v28
	v_or_b32_sdwa v40, v49, v51 dst_sel:DWORD dst_unused:UNUSED_PAD src0_sel:BYTE_0 src1_sel:DWORD
	v_or_b32_sdwa v41, v50, v31 dst_sel:WORD_1 dst_unused:UNUSED_PAD src0_sel:BYTE_0 src1_sel:DWORD
	v_lshlrev_b16_e32 v42, 8, v42
	v_or_b32_sdwa v52, v40, v41 dst_sel:DWORD dst_unused:UNUSED_PAD src0_sel:WORD_0 src1_sel:DWORD
	global_load_dwordx2 v[40:41], v28, s[20:21]
	v_lshlrev_b16_e32 v45, 8, v45
	s_waitcnt vmcnt(0)
	v_xor_b32_e32 v28, v40, v48
	v_and_b32_e32 v40, 0xffffff00, v28
	v_sub_i16 v40, v40, v46 clamp
	v_lshlrev_b16_e32 v46, 8, v28
	v_and_b32_e32 v40, 0xffffff00, v40
	v_sub_i16 v42, v46, v42 clamp
	v_or_b32_sdwa v40, v42, v40 dst_sel:DWORD dst_unused:UNUSED_PAD src0_sel:BYTE_1 src1_sel:DWORD
	v_and_b32_sdwa v42, v28, s31 dst_sel:DWORD dst_unused:UNUSED_PAD src0_sel:WORD_1 src1_sel:DWORD
	v_sub_i16 v42, v42, v47 clamp
	v_lshlrev_b16_sdwa v28, v35, v28 dst_sel:DWORD dst_unused:UNUSED_PAD src0_sel:DWORD src1_sel:WORD_1
	v_and_b32_e32 v42, 0xffffff00, v42
	v_sub_i16 v28, v28, v45 clamp
	v_or_b32_sdwa v28, v28, v42 dst_sel:WORD_1 dst_unused:UNUSED_PAD src0_sel:BYTE_1 src1_sel:DWORD
	v_lshlrev_b16_e32 v45, 8, v49
	v_or_b32_sdwa v28, v40, v28 dst_sel:DWORD dst_unused:UNUSED_PAD src0_sel:WORD_0 src1_sel:DWORD
	v_xor_b32_e32 v40, v41, v52
	v_and_b32_e32 v41, 0xffffff00, v40
	v_sub_i16 v41, v41, v51 clamp
	v_lshlrev_b16_e32 v42, 8, v40
	v_and_b32_e32 v41, 0xffffff00, v41
	v_sub_i16 v42, v42, v45 clamp
	v_or_b32_sdwa v41, v42, v41 dst_sel:DWORD dst_unused:UNUSED_PAD src0_sel:BYTE_1 src1_sel:DWORD
	v_and_b32_sdwa v42, v40, s31 dst_sel:DWORD dst_unused:UNUSED_PAD src0_sel:WORD_1 src1_sel:DWORD
	v_sub_i16 v31, v42, v31 clamp
	v_lshlrev_b16_sdwa v40, v35, v40 dst_sel:DWORD dst_unused:UNUSED_PAD src0_sel:DWORD src1_sel:WORD_1
	v_lshlrev_b16_e32 v42, 8, v50
	v_and_b32_e32 v31, 0xffffff00, v31
	v_sub_i16 v40, v40, v42 clamp
	v_or_b32_sdwa v31, v40, v31 dst_sel:WORD_1 dst_unused:UNUSED_PAD src0_sel:BYTE_1 src1_sel:DWORD
	s_nop 0
	v_or_b32_sdwa v40, v41, v31 dst_sel:DWORD dst_unused:UNUSED_PAD src0_sel:WORD_0 src1_sel:DWORD
	v_mov_b32_e32 v31, 0
	v_dot4c_i32_i8_e32 v31, v28, v1
	v_lshlrev_b32_e32 v28, 2, v43
	v_and_or_b32 v28, v28, s30, v32
	v_lshrrev_b16_e32 v32, 8, v44
	v_dot4c_i32_i8_e32 v31, v40, v2
	v_lshlrev_b32_e32 v40, 5, v32
	v_lshrrev_b16_e32 v40, 7, v40
	v_lshlrev_b16_e32 v41, 7, v44
	v_bfe_i32 v43, v40, 0, 1
	v_bfe_u32 v40, v32, 3, 1
	v_ashrrev_i16_e32 v42, 15, v41
	v_lshrrev_b32_e32 v41, 1, v32
	v_cmp_ne_u16_e32 vcc, 0, v40
	v_bfe_i32 v41, v41, 0, 1
	v_lshlrev_b16_e32 v44, 8, v41
	v_cndmask_b32_e64 v40, 0, -1, vcc
	v_lshlrev_b16_e32 v45, 8, v40
	v_or_b32_sdwa v41, v42, v44 dst_sel:DWORD dst_unused:UNUSED_PAD src0_sel:BYTE_0 src1_sel:DWORD
	v_or_b32_sdwa v40, v43, v45 dst_sel:WORD_1 dst_unused:UNUSED_PAD src0_sel:BYTE_0 src1_sel:DWORD
	v_bfe_i32 v47, v32, 4, 1
	v_or_b32_sdwa v46, v41, v40 dst_sel:DWORD dst_unused:UNUSED_PAD src0_sel:WORD_0 src1_sel:DWORD
	v_lshlrev_b32_e32 v40, 1, v32
	v_lshrrev_b32_e32 v41, 5, v32
	v_lshrrev_b32_e32 v32, 7, v32
	v_cmp_ne_u16_e32 vcc, 0, v32
	v_bfe_i32 v41, v41, 0, 1
	v_lshrrev_b16_e32 v40, 7, v40
	v_cndmask_b32_e64 v32, 0, -1, vcc
	v_bfe_i32 v48, v40, 0, 1
	v_lshlrev_b16_e32 v49, 8, v41
	v_lshlrev_b16_e32 v32, 8, v32
	v_lshlrev_b32_e32 v28, 3, v28
	v_or_b32_sdwa v40, v47, v49 dst_sel:DWORD dst_unused:UNUSED_PAD src0_sel:BYTE_0 src1_sel:DWORD
	v_or_b32_sdwa v41, v48, v32 dst_sel:WORD_1 dst_unused:UNUSED_PAD src0_sel:BYTE_0 src1_sel:DWORD
	v_lshlrev_b16_e32 v42, 8, v42
	v_or_b32_sdwa v50, v40, v41 dst_sel:DWORD dst_unused:UNUSED_PAD src0_sel:WORD_0 src1_sel:DWORD
	global_load_dwordx2 v[40:41], v28, s[20:21]
	v_lshlrev_b16_e32 v43, 8, v43
	s_waitcnt vmcnt(0)
	v_xor_b32_e32 v28, v40, v46
	v_and_b32_e32 v40, 0xffffff00, v28
	v_sub_i16 v40, v40, v44 clamp
	v_lshlrev_b16_e32 v44, 8, v28
	v_and_b32_e32 v40, 0xffffff00, v40
	v_sub_i16 v42, v44, v42 clamp
	v_or_b32_sdwa v40, v42, v40 dst_sel:DWORD dst_unused:UNUSED_PAD src0_sel:BYTE_1 src1_sel:DWORD
	v_and_b32_sdwa v42, v28, s31 dst_sel:DWORD dst_unused:UNUSED_PAD src0_sel:WORD_1 src1_sel:DWORD
	v_sub_i16 v42, v42, v45 clamp
	v_lshlrev_b16_sdwa v28, v35, v28 dst_sel:DWORD dst_unused:UNUSED_PAD src0_sel:DWORD src1_sel:WORD_1
	v_and_b32_e32 v42, 0xffffff00, v42
	v_sub_i16 v28, v28, v43 clamp
	v_or_b32_sdwa v28, v28, v42 dst_sel:WORD_1 dst_unused:UNUSED_PAD src0_sel:BYTE_1 src1_sel:DWORD
	v_lshlrev_b16_e32 v43, 8, v47
	v_or_b32_sdwa v28, v40, v28 dst_sel:DWORD dst_unused:UNUSED_PAD src0_sel:WORD_0 src1_sel:DWORD
	v_xor_b32_e32 v40, v41, v50
	v_and_b32_e32 v41, 0xffffff00, v40
	v_sub_i16 v41, v41, v49 clamp
	v_lshlrev_b16_e32 v42, 8, v40
	v_and_b32_e32 v41, 0xffffff00, v41
	v_sub_i16 v42, v42, v43 clamp
	v_or_b32_sdwa v41, v42, v41 dst_sel:DWORD dst_unused:UNUSED_PAD src0_sel:BYTE_1 src1_sel:DWORD
	v_and_b32_sdwa v42, v40, s31 dst_sel:DWORD dst_unused:UNUSED_PAD src0_sel:WORD_1 src1_sel:DWORD
	v_sub_i16 v32, v42, v32 clamp
	v_lshlrev_b16_sdwa v40, v35, v40 dst_sel:DWORD dst_unused:UNUSED_PAD src0_sel:DWORD src1_sel:WORD_1
	v_lshlrev_b16_e32 v42, 8, v48
	v_and_b32_e32 v32, 0xffffff00, v32
	v_sub_i16 v40, v40, v42 clamp
	v_or_b32_sdwa v32, v40, v32 dst_sel:WORD_1 dst_unused:UNUSED_PAD src0_sel:BYTE_1 src1_sel:DWORD
	v_dot4c_i32_i8_e32 v31, v28, v3
	v_or_b32_sdwa v32, v41, v32 dst_sel:DWORD dst_unused:UNUSED_PAD src0_sel:WORD_0 src1_sel:DWORD
	v_dot4c_i32_i8_e32 v31, v32, v30
	global_load_ushort v28, v[24:25], off
	global_load_ushort v32, v[26:27], off offset:4
	global_load_ubyte v41, v[22:23], off offset:66
	global_load_ushort v42, v[26:27], off offset:36
	v_and_b32_e32 v24, 0xff, v39
	v_and_b32_e32 v27, 1, v38
	v_lshrrev_b16_e32 v40, 8, v39
	v_sub_u16_e32 v39, 0, v27
	v_bfe_u32 v27, v38, 1, 7
	v_bfe_i32 v27, v27, 0, 1
	v_lshlrev_b16_e32 v44, 8, v27
	v_or_b32_sdwa v27, v39, v44 dst_sel:DWORD dst_unused:UNUSED_PAD src0_sel:BYTE_0 src1_sel:DWORD
	v_bfe_i32 v47, v38, 4, 1
	v_lshlrev_b16_e32 v39, 8, v39
	s_waitcnt vmcnt(1)
	v_lshlrev_b32_e32 v26, 8, v41
	v_and_or_b32 v24, v26, s30, v24
	v_lshlrev_b32_sdwa v26, v36, v38 dst_sel:DWORD dst_unused:UNUSED_PAD src0_sel:DWORD src1_sel:BYTE_0
	v_lshrrev_b16_e32 v26, 7, v26
	v_bfe_i32 v43, v26, 0, 1
	v_bfe_u32 v26, v38, 3, 1
	v_cmp_ne_u16_e32 vcc, 0, v26
	v_lshlrev_b32_e32 v24, 3, v24
	v_lshrrev_b16_e32 v25, 8, v32
	v_cndmask_b32_e64 v26, 0, -1, vcc
	v_lshlrev_b16_e32 v45, 8, v26
	v_or_b32_sdwa v26, v43, v45 dst_sel:WORD_1 dst_unused:UNUSED_PAD src0_sel:BYTE_0 src1_sel:DWORD
	v_lshlrev_b16_e32 v43, 8, v43
	v_or_b32_sdwa v46, v27, v26 dst_sel:DWORD dst_unused:UNUSED_PAD src0_sel:WORD_0 src1_sel:DWORD
	v_lshlrev_b32_sdwa v26, v37, v38 dst_sel:DWORD dst_unused:UNUSED_PAD src0_sel:DWORD src1_sel:BYTE_0
	v_lshrrev_b16_e32 v26, 7, v26
	v_bfe_i32 v48, v26, 0, 1
	v_bfe_u32 v26, v38, 7, 1
	v_bfe_u32 v27, v38, 5, 3
	v_cmp_ne_u16_e32 vcc, 0, v26
	v_bfe_i32 v27, v27, 0, 1
	v_lshlrev_b16_e32 v49, 8, v27
	v_cndmask_b32_e64 v26, 0, -1, vcc
	v_lshlrev_b16_e32 v50, 8, v26
	v_or_b32_sdwa v27, v47, v49 dst_sel:DWORD dst_unused:UNUSED_PAD src0_sel:BYTE_0 src1_sel:DWORD
	v_or_b32_sdwa v26, v48, v50 dst_sel:WORD_1 dst_unused:UNUSED_PAD src0_sel:BYTE_0 src1_sel:DWORD
	s_nop 0
	v_or_b32_sdwa v51, v27, v26 dst_sel:DWORD dst_unused:UNUSED_PAD src0_sel:WORD_0 src1_sel:DWORD
	global_load_dwordx2 v[26:27], v24, s[20:21]
	s_waitcnt vmcnt(0)
	v_xor_b32_e32 v24, v26, v46
	v_and_b32_e32 v26, 0xffffff00, v24
	v_sub_i16 v26, v26, v44 clamp
	v_lshlrev_b16_e32 v44, 8, v24
	v_and_b32_e32 v26, 0xffffff00, v26
	v_sub_i16 v39, v44, v39 clamp
	v_or_b32_sdwa v26, v39, v26 dst_sel:DWORD dst_unused:UNUSED_PAD src0_sel:BYTE_1 src1_sel:DWORD
	v_and_b32_sdwa v39, v24, s31 dst_sel:DWORD dst_unused:UNUSED_PAD src0_sel:WORD_1 src1_sel:DWORD
	v_sub_i16 v39, v39, v45 clamp
	v_lshlrev_b16_sdwa v24, v35, v24 dst_sel:DWORD dst_unused:UNUSED_PAD src0_sel:DWORD src1_sel:WORD_1
	v_and_b32_e32 v39, 0xffffff00, v39
	v_sub_i16 v24, v24, v43 clamp
	v_or_b32_sdwa v24, v24, v39 dst_sel:WORD_1 dst_unused:UNUSED_PAD src0_sel:BYTE_1 src1_sel:DWORD
	v_lshlrev_b16_e32 v43, 8, v47
	v_or_b32_sdwa v26, v26, v24 dst_sel:DWORD dst_unused:UNUSED_PAD src0_sel:WORD_0 src1_sel:DWORD
	v_xor_b32_e32 v24, v27, v51
	v_and_b32_e32 v27, 0xffffff00, v24
	v_sub_i16 v27, v27, v49 clamp
	v_lshlrev_b16_e32 v39, 8, v24
	v_and_b32_e32 v27, 0xffffff00, v27
	v_sub_i16 v39, v39, v43 clamp
	v_or_b32_sdwa v27, v39, v27 dst_sel:DWORD dst_unused:UNUSED_PAD src0_sel:BYTE_1 src1_sel:DWORD
	v_and_b32_sdwa v39, v24, s31 dst_sel:DWORD dst_unused:UNUSED_PAD src0_sel:WORD_1 src1_sel:DWORD
	v_sub_i16 v39, v39, v50 clamp
	v_lshlrev_b16_sdwa v24, v35, v24 dst_sel:DWORD dst_unused:UNUSED_PAD src0_sel:DWORD src1_sel:WORD_1
	v_lshlrev_b16_e32 v43, 8, v48
	v_and_b32_e32 v39, 0xffffff00, v39
	v_sub_i16 v24, v24, v43 clamp
	v_or_b32_sdwa v24, v24, v39 dst_sel:WORD_1 dst_unused:UNUSED_PAD src0_sel:BYTE_1 src1_sel:DWORD
	s_nop 0
	v_or_b32_sdwa v27, v27, v24 dst_sel:DWORD dst_unused:UNUSED_PAD src0_sel:WORD_0 src1_sel:DWORD
	v_mov_b32_e32 v24, 0
	v_dot4c_i32_i8_e32 v24, v26, v5
	v_dot4c_i32_i8_e32 v24, v27, v6
	v_lshrrev_b16_e32 v6, 8, v38
	v_lshlrev_b32_e32 v26, 5, v6
	v_lshrrev_b16_e32 v26, 7, v26
	v_lshlrev_b16_e32 v27, 7, v38
	v_bfe_i32 v39, v26, 0, 1
	v_bfe_u32 v26, v6, 3, 1
	v_ashrrev_i16_e32 v38, 15, v27
	v_lshrrev_b32_e32 v27, 1, v6
	v_cmp_ne_u16_e32 vcc, 0, v26
	v_lshlrev_b32_e32 v5, 6, v41
	v_bfe_i32 v27, v27, 0, 1
	v_cndmask_b32_e64 v26, 0, -1, vcc
	v_and_or_b32 v5, v5, s30, v40
	v_lshlrev_b16_e32 v40, 8, v27
	v_lshlrev_b16_e32 v43, 8, v26
	v_or_b32_sdwa v27, v38, v40 dst_sel:DWORD dst_unused:UNUSED_PAD src0_sel:BYTE_0 src1_sel:DWORD
	v_or_b32_sdwa v26, v39, v43 dst_sel:WORD_1 dst_unused:UNUSED_PAD src0_sel:BYTE_0 src1_sel:DWORD
	v_bfe_i32 v45, v6, 4, 1
	v_or_b32_sdwa v44, v27, v26 dst_sel:DWORD dst_unused:UNUSED_PAD src0_sel:WORD_0 src1_sel:DWORD
	v_lshlrev_b32_e32 v26, 1, v6
	v_lshrrev_b32_e32 v27, 5, v6
	v_lshrrev_b32_e32 v6, 7, v6
	v_cmp_ne_u16_e32 vcc, 0, v6
	v_bfe_i32 v27, v27, 0, 1
	v_lshrrev_b16_e32 v26, 7, v26
	v_cndmask_b32_e64 v6, 0, -1, vcc
	v_bfe_i32 v46, v26, 0, 1
	v_lshlrev_b16_e32 v47, 8, v27
	v_lshlrev_b16_e32 v6, 8, v6
	v_lshlrev_b32_e32 v5, 3, v5
	v_or_b32_sdwa v26, v45, v47 dst_sel:DWORD dst_unused:UNUSED_PAD src0_sel:BYTE_0 src1_sel:DWORD
	v_or_b32_sdwa v27, v46, v6 dst_sel:WORD_1 dst_unused:UNUSED_PAD src0_sel:BYTE_0 src1_sel:DWORD
	v_lshlrev_b16_e32 v38, 8, v38
	v_or_b32_sdwa v48, v26, v27 dst_sel:DWORD dst_unused:UNUSED_PAD src0_sel:WORD_0 src1_sel:DWORD
	global_load_dwordx2 v[26:27], v5, s[20:21]
	v_lshlrev_b16_e32 v39, 8, v39
	s_waitcnt vmcnt(0)
	v_xor_b32_e32 v5, v26, v44
	v_and_b32_e32 v26, 0xffffff00, v5
	v_sub_i16 v26, v26, v40 clamp
	v_lshlrev_b16_e32 v40, 8, v5
	v_and_b32_e32 v26, 0xffffff00, v26
	v_sub_i16 v38, v40, v38 clamp
	v_or_b32_sdwa v26, v38, v26 dst_sel:DWORD dst_unused:UNUSED_PAD src0_sel:BYTE_1 src1_sel:DWORD
	v_and_b32_sdwa v38, v5, s31 dst_sel:DWORD dst_unused:UNUSED_PAD src0_sel:WORD_1 src1_sel:DWORD
	v_sub_i16 v38, v38, v43 clamp
	v_lshlrev_b16_sdwa v5, v35, v5 dst_sel:DWORD dst_unused:UNUSED_PAD src0_sel:DWORD src1_sel:WORD_1
	v_and_b32_e32 v38, 0xffffff00, v38
	v_sub_i16 v5, v5, v39 clamp
	v_or_b32_sdwa v5, v5, v38 dst_sel:WORD_1 dst_unused:UNUSED_PAD src0_sel:BYTE_1 src1_sel:DWORD
	v_lshlrev_b16_e32 v39, 8, v45
	v_or_b32_sdwa v5, v26, v5 dst_sel:DWORD dst_unused:UNUSED_PAD src0_sel:WORD_0 src1_sel:DWORD
	v_xor_b32_e32 v26, v27, v48
	v_and_b32_e32 v27, 0xffffff00, v26
	v_sub_i16 v27, v27, v47 clamp
	v_lshlrev_b16_e32 v38, 8, v26
	v_and_b32_e32 v27, 0xffffff00, v27
	v_sub_i16 v38, v38, v39 clamp
	v_or_b32_sdwa v27, v38, v27 dst_sel:DWORD dst_unused:UNUSED_PAD src0_sel:BYTE_1 src1_sel:DWORD
	v_and_b32_sdwa v38, v26, s31 dst_sel:DWORD dst_unused:UNUSED_PAD src0_sel:WORD_1 src1_sel:DWORD
	v_sub_i16 v6, v38, v6 clamp
	v_lshlrev_b16_sdwa v26, v35, v26 dst_sel:DWORD dst_unused:UNUSED_PAD src0_sel:DWORD src1_sel:WORD_1
	v_lshlrev_b16_e32 v38, 8, v46
	v_and_b32_e32 v6, 0xffffff00, v6
	v_sub_i16 v26, v26, v38 clamp
	v_or_b32_sdwa v6, v26, v6 dst_sel:WORD_1 dst_unused:UNUSED_PAD src0_sel:BYTE_1 src1_sel:DWORD
	v_dot4c_i32_i8_e32 v24, v5, v7
	v_or_b32_sdwa v6, v27, v6 dst_sel:DWORD dst_unused:UNUSED_PAD src0_sel:WORD_0 src1_sel:DWORD
	v_dot4c_i32_i8_e32 v24, v6, v0
	v_and_b32_sdwa v0, s29, v32 dst_sel:DWORD dst_unused:UNUSED_PAD src0_sel:DWORD src1_sel:BYTE_0
	v_lshlrev_b32_e32 v5, 4, v41
	v_and_or_b32 v0, v5, s30, v0
	v_and_b32_sdwa v5, s29, v42 dst_sel:DWORD dst_unused:UNUSED_PAD src0_sel:DWORD src1_sel:BYTE_0
	v_lshlrev_b32_e32 v6, 5, v5
	v_lshrrev_b16_e32 v6, 7, v6
	v_and_b32_e32 v7, 1, v42
	v_bfe_i32 v27, v6, 0, 1
	v_bfe_u32 v6, v5, 3, 1
	v_sub_u16_e32 v26, 0, v7
	v_lshrrev_b32_e32 v7, 1, v5
	v_cmp_ne_u16_e32 vcc, 0, v6
	v_bfe_i32 v7, v7, 0, 1
	v_lshlrev_b16_e32 v32, 8, v7
	v_cndmask_b32_e64 v6, 0, -1, vcc
	v_lshlrev_b16_e32 v38, 8, v6
	v_or_b32_sdwa v7, v26, v32 dst_sel:DWORD dst_unused:UNUSED_PAD src0_sel:BYTE_0 src1_sel:DWORD
	v_or_b32_sdwa v6, v27, v38 dst_sel:WORD_1 dst_unused:UNUSED_PAD src0_sel:BYTE_0 src1_sel:DWORD
	v_bfe_i32 v40, v5, 4, 1
	v_or_b32_sdwa v39, v7, v6 dst_sel:DWORD dst_unused:UNUSED_PAD src0_sel:WORD_0 src1_sel:DWORD
	v_lshlrev_b32_e32 v6, 1, v5
	v_lshrrev_b32_e32 v7, 5, v5
	v_lshrrev_b32_e32 v5, 7, v5
	v_cmp_ne_u16_e32 vcc, 0, v5
	v_bfe_i32 v7, v7, 0, 1
	v_lshrrev_b16_e32 v6, 7, v6
	v_cndmask_b32_e64 v5, 0, -1, vcc
	v_bfe_i32 v43, v6, 0, 1
	v_lshlrev_b16_e32 v44, 8, v7
	v_lshlrev_b16_e32 v5, 8, v5
	v_lshlrev_b32_e32 v0, 3, v0
	v_or_b32_sdwa v6, v40, v44 dst_sel:DWORD dst_unused:UNUSED_PAD src0_sel:BYTE_0 src1_sel:DWORD
	v_or_b32_sdwa v7, v43, v5 dst_sel:WORD_1 dst_unused:UNUSED_PAD src0_sel:BYTE_0 src1_sel:DWORD
	v_lshlrev_b16_e32 v26, 8, v26
	v_or_b32_sdwa v45, v6, v7 dst_sel:DWORD dst_unused:UNUSED_PAD src0_sel:WORD_0 src1_sel:DWORD
	global_load_dwordx2 v[6:7], v0, s[20:21]
	v_lshlrev_b16_e32 v27, 8, v27
	s_waitcnt vmcnt(0)
	v_xor_b32_e32 v0, v6, v39
	v_and_b32_e32 v6, 0xffffff00, v0
	v_sub_i16 v6, v6, v32 clamp
	v_lshlrev_b16_e32 v32, 8, v0
	v_and_b32_e32 v6, 0xffffff00, v6
	v_sub_i16 v26, v32, v26 clamp
	v_or_b32_sdwa v6, v26, v6 dst_sel:DWORD dst_unused:UNUSED_PAD src0_sel:BYTE_1 src1_sel:DWORD
	v_and_b32_sdwa v26, v0, s31 dst_sel:DWORD dst_unused:UNUSED_PAD src0_sel:WORD_1 src1_sel:DWORD
	v_sub_i16 v26, v26, v38 clamp
	v_lshlrev_b16_sdwa v0, v35, v0 dst_sel:DWORD dst_unused:UNUSED_PAD src0_sel:DWORD src1_sel:WORD_1
	v_and_b32_e32 v26, 0xffffff00, v26
	v_sub_i16 v0, v0, v27 clamp
	v_or_b32_sdwa v0, v0, v26 dst_sel:WORD_1 dst_unused:UNUSED_PAD src0_sel:BYTE_1 src1_sel:DWORD
	v_lshlrev_b16_e32 v27, 8, v40
	v_or_b32_sdwa v0, v6, v0 dst_sel:DWORD dst_unused:UNUSED_PAD src0_sel:WORD_0 src1_sel:DWORD
	v_xor_b32_e32 v6, v7, v45
	v_and_b32_e32 v7, 0xffffff00, v6
	v_sub_i16 v7, v7, v44 clamp
	v_lshlrev_b16_e32 v26, 8, v6
	v_and_b32_e32 v7, 0xffffff00, v7
	v_sub_i16 v26, v26, v27 clamp
	v_or_b32_sdwa v7, v26, v7 dst_sel:DWORD dst_unused:UNUSED_PAD src0_sel:BYTE_1 src1_sel:DWORD
	v_and_b32_sdwa v26, v6, s31 dst_sel:DWORD dst_unused:UNUSED_PAD src0_sel:WORD_1 src1_sel:DWORD
	v_sub_i16 v5, v26, v5 clamp
	v_lshlrev_b16_sdwa v6, v35, v6 dst_sel:DWORD dst_unused:UNUSED_PAD src0_sel:DWORD src1_sel:WORD_1
	v_lshlrev_b16_e32 v26, 8, v43
	v_and_b32_e32 v5, 0xffffff00, v5
	v_sub_i16 v6, v6, v26 clamp
	v_or_b32_sdwa v5, v6, v5 dst_sel:WORD_1 dst_unused:UNUSED_PAD src0_sel:BYTE_1 src1_sel:DWORD
	s_nop 0
	v_or_b32_sdwa v6, v7, v5 dst_sel:DWORD dst_unused:UNUSED_PAD src0_sel:WORD_0 src1_sel:DWORD
	v_mov_b32_e32 v5, 0
	v_dot4c_i32_i8_e32 v5, v0, v1
	v_lshlrev_b32_e32 v0, 2, v41
	v_lshrrev_b16_e32 v1, 8, v42
	v_and_or_b32 v0, v0, s30, v25
	v_bfe_u32 v25, v1, 3, 1
	v_dot4c_i32_i8_e32 v5, v6, v2
	v_lshlrev_b32_e32 v2, 5, v1
	v_lshrrev_b32_e32 v7, 1, v1
	v_cmp_ne_u16_e32 vcc, 0, v25
	v_lshlrev_b16_e32 v6, 7, v42
	v_bfe_i32 v7, v7, 0, 1
	v_lshrrev_b16_e32 v2, 7, v2
	v_cndmask_b32_e64 v25, 0, -1, vcc
	v_ashrrev_i16_e32 v6, 15, v6
	v_bfe_i32 v2, v2, 0, 1
	v_lshlrev_b16_e32 v7, 8, v7
	v_lshlrev_b16_e32 v25, 8, v25
	v_or_b32_sdwa v26, v6, v7 dst_sel:DWORD dst_unused:UNUSED_PAD src0_sel:BYTE_0 src1_sel:DWORD
	v_or_b32_sdwa v27, v2, v25 dst_sel:WORD_1 dst_unused:UNUSED_PAD src0_sel:BYTE_0 src1_sel:DWORD
	v_bfe_i32 v32, v1, 4, 1
	v_or_b32_sdwa v26, v26, v27 dst_sel:DWORD dst_unused:UNUSED_PAD src0_sel:WORD_0 src1_sel:DWORD
	v_lshlrev_b32_e32 v27, 1, v1
	v_lshrrev_b32_e32 v38, 5, v1
	v_lshrrev_b32_e32 v1, 7, v1
	v_cmp_ne_u16_e32 vcc, 0, v1
	v_bfe_i32 v38, v38, 0, 1
	v_lshrrev_b16_e32 v27, 7, v27
	v_cndmask_b32_e64 v1, 0, -1, vcc
	v_bfe_i32 v27, v27, 0, 1
	v_lshlrev_b16_e32 v38, 8, v38
	v_lshlrev_b16_e32 v40, 8, v1
	v_lshlrev_b32_e32 v0, 3, v0
	v_or_b32_sdwa v39, v32, v38 dst_sel:DWORD dst_unused:UNUSED_PAD src0_sel:BYTE_0 src1_sel:DWORD
	v_or_b32_sdwa v1, v27, v40 dst_sel:WORD_1 dst_unused:UNUSED_PAD src0_sel:BYTE_0 src1_sel:DWORD
	v_lshlrev_b16_e32 v6, 8, v6
	v_or_b32_sdwa v39, v39, v1 dst_sel:DWORD dst_unused:UNUSED_PAD src0_sel:WORD_0 src1_sel:DWORD
	global_load_dwordx2 v[0:1], v0, s[20:21]
	v_lshlrev_b16_e32 v2, 8, v2
	v_cmp_le_u32_e32 vcc, s5, v33
	s_or_b64 s[12:13], vcc, s[12:13]
	s_waitcnt vmcnt(0)
	v_xor_b32_e32 v0, v0, v26
	v_and_b32_e32 v26, 0xffffff00, v0
	v_sub_i16 v7, v26, v7 clamp
	v_lshlrev_b16_e32 v26, 8, v0
	v_and_b32_e32 v7, 0xffffff00, v7
	v_sub_i16 v6, v26, v6 clamp
	v_or_b32_sdwa v6, v6, v7 dst_sel:DWORD dst_unused:UNUSED_PAD src0_sel:BYTE_1 src1_sel:DWORD
	v_and_b32_sdwa v7, v0, s31 dst_sel:DWORD dst_unused:UNUSED_PAD src0_sel:WORD_1 src1_sel:DWORD
	v_sub_i16 v7, v7, v25 clamp
	v_lshlrev_b16_sdwa v0, v35, v0 dst_sel:DWORD dst_unused:UNUSED_PAD src0_sel:DWORD src1_sel:WORD_1
	v_and_b32_e32 v7, 0xffffff00, v7
	v_sub_i16 v0, v0, v2 clamp
	v_xor_b32_e32 v1, v1, v39
	v_or_b32_sdwa v0, v0, v7 dst_sel:WORD_1 dst_unused:UNUSED_PAD src0_sel:BYTE_1 src1_sel:DWORD
	v_and_b32_e32 v2, 0xffffff00, v1
	v_or_b32_sdwa v0, v6, v0 dst_sel:DWORD dst_unused:UNUSED_PAD src0_sel:WORD_0 src1_sel:DWORD
	v_sub_i16 v2, v2, v38 clamp
	v_lshlrev_b16_e32 v6, 8, v1
	v_lshlrev_b16_e32 v7, 8, v32
	v_and_b32_e32 v2, 0xffffff00, v2
	v_sub_i16 v6, v6, v7 clamp
	v_or_b32_sdwa v2, v6, v2 dst_sel:DWORD dst_unused:UNUSED_PAD src0_sel:BYTE_1 src1_sel:DWORD
	v_and_b32_sdwa v6, v1, s31 dst_sel:DWORD dst_unused:UNUSED_PAD src0_sel:WORD_1 src1_sel:DWORD
	v_sub_i16 v6, v6, v40 clamp
	v_lshlrev_b16_sdwa v1, v35, v1 dst_sel:DWORD dst_unused:UNUSED_PAD src0_sel:DWORD src1_sel:WORD_1
	v_lshlrev_b16_e32 v7, 8, v27
	v_and_b32_e32 v6, 0xffffff00, v6
	v_sub_i16 v1, v1, v7 clamp
	v_or_b32_sdwa v1, v1, v6 dst_sel:WORD_1 dst_unused:UNUSED_PAD src0_sel:BYTE_1 src1_sel:DWORD
	v_dot4c_i32_i8_e32 v5, v0, v3
	v_or_b32_sdwa v1, v2, v1 dst_sel:DWORD dst_unused:UNUSED_PAD src0_sel:WORD_0 src1_sel:DWORD
	v_dot4c_i32_i8_e32 v5, v1, v30
	global_load_ushort v0, v[20:21], off
	global_load_ubyte v1, v[18:19], off offset:74
	global_load_ubyte v2, v[22:23], off offset:74
	v_add_u32_e32 v7, v31, v29
	v_lshrrev_b32_e32 v18, 31, v7
	v_add_u32_e32 v7, v7, v18
	v_ashrrev_i32_e32 v7, 1, v7
	s_waitcnt vmcnt(1)
	v_lshrrev_b32_e32 v6, 4, v1
	s_waitcnt vmcnt(0)
	v_lshrrev_b32_e32 v3, 4, v2
	v_mul_lo_u32 v3, v5, v3
	v_add_u32_e32 v5, v5, v24
	v_and_b32_e32 v1, 15, v1
	v_lshrrev_b32_e32 v18, 31, v5
	v_and_b32_e32 v2, 15, v2
	v_mul_lo_u32 v1, v29, v1
	v_mul_lo_u32 v6, v31, v6
	v_add_u32_e32 v5, v5, v18
	v_mul_lo_u32 v2, v24, v2
	v_ashrrev_i32_e32 v5, 1, v5
	v_add3_u32 v1, v6, v1, v7
	v_add3_u32 v3, v3, v2, v5
	v_ashrrev_i32_e32 v2, 31, v1
	v_lshrrev_b32_e32 v2, 30, v2
	v_add_u32_e32 v1, v1, v2
	v_ashrrev_i32_e32 v2, 2, v1
	v_ashrrev_i32_e32 v1, 31, v3
	v_lshrrev_b32_e32 v1, 30, v1
	v_add_u32_e32 v1, v3, v1
	v_ashrrev_i32_e32 v3, 2, v1
	v_cvt_f32_f16_e32 v1, v0
	v_cvt_f32_f16_e32 v0, v28
	v_cvt_f32_i32_e32 v3, v3
	v_cvt_f32_i32_e32 v2, v2
	v_pk_mul_f32 v[0:1], v[4:5], v[0:1] op_sel_hi:[0,1]
	scratch_load_dwordx2 v[4:5], off, off offset:48
	s_waitcnt vmcnt(0)
	v_pk_fma_f32 v[0:1], v[0:1], v[2:3], v[4:5]
	scratch_store_dwordx2 off, v[0:1], off offset:48
	s_andn2_b64 exec, exec, s[12:13]
	s_cbranch_execnz .LBB190_2
.LBB190_3:
	s_or_b64 exec, exec, s[6:7]
	s_mov_b32 s5, 0
	v_cmp_eq_u32_e32 vcc, 0, v9
	s_waitcnt lgkmcnt(0)
	; wave barrier
	s_and_saveexec_b64 s[6:7], vcc
	s_cbranch_execz .LBB190_18
; %bb.4:
	scratch_load_dwordx2 v[2:3], off, off
	v_mbcnt_lo_u32_b32 v0, -1, 0
	v_mbcnt_hi_u32_b32 v9, -1, v0
	s_load_dwordx2 s[6:7], s[0:1], 0x38
	s_mul_i32 s0, s3, s14
	v_or_b32_e32 v1, s2, v8
	v_and_b32_e32 v0, 64, v9
	s_mul_i32 s4, s4, s18
	s_add_i32 s2, s0, s2
	v_cmp_gt_u32_e64 s[0:1], s10, v1
	v_xor_b32_e32 v1, 32, v9
	v_add_u32_e32 v14, 64, v0
	s_add_i32 s4, s2, s4
	v_cmp_lt_i32_e64 s[2:3], v1, v14
	v_cmp_gt_u32_e32 vcc, 2, v8
	s_nop 0
	v_cndmask_b32_e64 v0, v9, v1, s[2:3]
	v_lshlrev_b32_e32 v0, 2, v0
	v_xor_b32_e32 v1, 16, v9
	v_cmp_lt_i32_e64 s[2:3], v1, v14
	s_waitcnt vmcnt(0)
	ds_bpermute_b32 v4, v0, v2
	ds_bpermute_b32 v5, v0, v3
	v_cndmask_b32_e64 v1, v9, v1, s[2:3]
	v_lshlrev_b32_e32 v1, 2, v1
	s_waitcnt lgkmcnt(0)
	v_pk_add_f32 v[4:5], v[2:3], v[4:5]
	ds_bpermute_b32 v6, v1, v4
	ds_bpermute_b32 v7, v1, v5
	v_xor_b32_e32 v2, 8, v9
	v_cmp_lt_i32_e64 s[2:3], v2, v14
	v_xor_b32_e32 v3, 4, v9
	s_waitcnt lgkmcnt(0)
	v_pk_add_f32 v[4:5], v[4:5], v[6:7]
	v_cndmask_b32_e64 v2, v9, v2, s[2:3]
	v_lshlrev_b32_e32 v2, 2, v2
	ds_bpermute_b32 v6, v2, v4
	ds_bpermute_b32 v7, v2, v5
	v_cmp_lt_i32_e64 s[2:3], v3, v14
	s_waitcnt lgkmcnt(0)
	v_pk_add_f32 v[6:7], v[4:5], v[6:7]
	v_cndmask_b32_e64 v3, v9, v3, s[2:3]
	v_lshlrev_b32_e32 v3, 2, v3
	ds_bpermute_b32 v10, v3, v6
	ds_bpermute_b32 v11, v3, v7
	v_xor_b32_e32 v4, 2, v9
	v_cmp_lt_i32_e64 s[2:3], v4, v14
	v_xor_b32_e32 v5, 1, v9
	s_waitcnt lgkmcnt(0)
	v_pk_add_f32 v[10:11], v[6:7], v[10:11]
	v_cndmask_b32_e64 v4, v9, v4, s[2:3]
	v_lshlrev_b32_e32 v4, 2, v4
	ds_bpermute_b32 v12, v4, v10
	ds_bpermute_b32 v13, v4, v11
	v_cmp_lt_i32_e64 s[2:3], v5, v14
	s_waitcnt lgkmcnt(0)
	v_pk_add_f32 v[10:11], v[10:11], v[12:13]
	v_cndmask_b32_e64 v5, v9, v5, s[2:3]
	v_lshlrev_b32_e32 v6, 2, v5
	ds_bpermute_b32 v12, v6, v10
	ds_bpermute_b32 v13, v6, v11
	s_lshl_b64 s[2:3], s[4:5], 2
	s_add_u32 s2, s6, s2
	s_addc_u32 s3, s7, s3
	s_and_b64 s[0:1], vcc, s[0:1]
	s_waitcnt lgkmcnt(0)
	v_pk_add_f32 v[10:11], v[10:11], v[12:13]
	v_lshlrev_b32_e32 v5, 2, v8
	scratch_store_dwordx2 off, v[10:11], off
	s_and_saveexec_b64 s[4:5], s[0:1]
	s_cbranch_execz .LBB190_6
; %bb.5:
	scratch_load_dword v7, v5, off
	s_waitcnt vmcnt(0)
	global_store_dword v5, v7, s[2:3]
.LBB190_6:
	s_or_b64 exec, exec, s[4:5]
	scratch_load_dwordx2 v[10:11], off, off offset:8
	s_waitcnt vmcnt(0)
	ds_bpermute_b32 v12, v0, v10
	ds_bpermute_b32 v13, v0, v11
	s_waitcnt lgkmcnt(0)
	v_pk_add_f32 v[10:11], v[10:11], v[12:13]
	ds_bpermute_b32 v12, v1, v10
	ds_bpermute_b32 v13, v1, v11
	s_waitcnt lgkmcnt(0)
	v_pk_add_f32 v[10:11], v[10:11], v[12:13]
	;; [unrolled: 4-line block ×6, first 2 shown]
	scratch_store_dwordx2 off, v[10:11], off offset:8
	s_and_saveexec_b64 s[4:5], s[0:1]
	s_cbranch_execz .LBB190_8
; %bb.7:
	scratch_load_dword v7, v5, off offset:8
	v_add_u32_e32 v10, s10, v8
	v_mov_b32_e32 v11, 0
	v_lshl_add_u64 v[10:11], v[10:11], 2, s[2:3]
	s_waitcnt vmcnt(0)
	global_store_dword v[10:11], v7, off
.LBB190_8:
	s_or_b64 exec, exec, s[4:5]
	scratch_load_dwordx2 v[10:11], off, off offset:16
	s_waitcnt vmcnt(0)
	ds_bpermute_b32 v12, v0, v10
	ds_bpermute_b32 v13, v0, v11
	s_waitcnt lgkmcnt(0)
	v_pk_add_f32 v[10:11], v[10:11], v[12:13]
	ds_bpermute_b32 v12, v1, v10
	ds_bpermute_b32 v13, v1, v11
	s_waitcnt lgkmcnt(0)
	v_pk_add_f32 v[10:11], v[10:11], v[12:13]
	;; [unrolled: 4-line block ×6, first 2 shown]
	scratch_store_dwordx2 off, v[10:11], off offset:16
	s_and_saveexec_b64 s[4:5], s[0:1]
	s_cbranch_execz .LBB190_10
; %bb.9:
	scratch_load_dword v7, v5, off offset:16
	v_lshl_or_b32 v10, s10, 1, v8
	v_mov_b32_e32 v11, 0
	v_lshl_add_u64 v[10:11], v[10:11], 2, s[2:3]
	s_waitcnt vmcnt(0)
	global_store_dword v[10:11], v7, off
.LBB190_10:
	s_or_b64 exec, exec, s[4:5]
	scratch_load_dwordx2 v[10:11], off, off offset:24
	s_waitcnt vmcnt(0)
	ds_bpermute_b32 v12, v0, v10
	ds_bpermute_b32 v13, v0, v11
	s_waitcnt lgkmcnt(0)
	v_pk_add_f32 v[10:11], v[10:11], v[12:13]
	ds_bpermute_b32 v12, v1, v10
	ds_bpermute_b32 v13, v1, v11
	s_waitcnt lgkmcnt(0)
	v_pk_add_f32 v[10:11], v[10:11], v[12:13]
	;; [unrolled: 4-line block ×6, first 2 shown]
	scratch_store_dwordx2 off, v[10:11], off offset:24
	s_and_saveexec_b64 s[4:5], s[0:1]
	s_cbranch_execz .LBB190_12
; %bb.11:
	scratch_load_dword v7, v5, off offset:24
	v_mad_u64_u32 v[10:11], s[6:7], s10, 3, v[8:9]
	v_mov_b32_e32 v11, 0
	v_lshl_add_u64 v[10:11], v[10:11], 2, s[2:3]
	s_waitcnt vmcnt(0)
	global_store_dword v[10:11], v7, off
.LBB190_12:
	s_or_b64 exec, exec, s[4:5]
	scratch_load_dwordx2 v[10:11], off, off offset:32
	s_waitcnt vmcnt(0)
	ds_bpermute_b32 v12, v0, v10
	ds_bpermute_b32 v13, v0, v11
	s_waitcnt lgkmcnt(0)
	v_pk_add_f32 v[10:11], v[10:11], v[12:13]
	ds_bpermute_b32 v12, v1, v10
	ds_bpermute_b32 v13, v1, v11
	s_waitcnt lgkmcnt(0)
	v_pk_add_f32 v[10:11], v[10:11], v[12:13]
	;; [unrolled: 4-line block ×6, first 2 shown]
	scratch_store_dwordx2 off, v[10:11], off offset:32
	s_and_saveexec_b64 s[4:5], s[0:1]
	s_cbranch_execz .LBB190_14
; %bb.13:
	scratch_load_dword v7, v5, off offset:32
	v_lshl_or_b32 v10, s10, 2, v8
	v_mov_b32_e32 v11, 0
	v_lshl_add_u64 v[10:11], v[10:11], 2, s[2:3]
	s_waitcnt vmcnt(0)
	global_store_dword v[10:11], v7, off
.LBB190_14:
	s_or_b64 exec, exec, s[4:5]
	scratch_load_dwordx2 v[10:11], off, off offset:40
	s_waitcnt vmcnt(0)
	ds_bpermute_b32 v12, v0, v10
	ds_bpermute_b32 v13, v0, v11
	s_waitcnt lgkmcnt(0)
	v_pk_add_f32 v[10:11], v[10:11], v[12:13]
	ds_bpermute_b32 v12, v1, v10
	ds_bpermute_b32 v13, v1, v11
	s_waitcnt lgkmcnt(0)
	v_pk_add_f32 v[10:11], v[10:11], v[12:13]
	;; [unrolled: 4-line block ×6, first 2 shown]
	scratch_store_dwordx2 off, v[10:11], off offset:40
	s_and_saveexec_b64 s[4:5], s[0:1]
	s_cbranch_execz .LBB190_16
; %bb.15:
	scratch_load_dword v7, v5, off offset:40
	v_mad_u64_u32 v[10:11], s[6:7], s10, 5, v[8:9]
	v_mov_b32_e32 v11, 0
	v_lshl_add_u64 v[10:11], v[10:11], 2, s[2:3]
	s_waitcnt vmcnt(0)
	global_store_dword v[10:11], v7, off
.LBB190_16:
	s_or_b64 exec, exec, s[4:5]
	scratch_load_dwordx2 v[10:11], off, off offset:48
	s_waitcnt vmcnt(0)
	ds_bpermute_b32 v12, v0, v10
	ds_bpermute_b32 v13, v0, v11
	s_waitcnt lgkmcnt(0)
	v_pk_add_f32 v[10:11], v[10:11], v[12:13]
	ds_bpermute_b32 v0, v1, v10
	ds_bpermute_b32 v1, v1, v11
	s_waitcnt lgkmcnt(0)
	v_pk_add_f32 v[0:1], v[10:11], v[0:1]
	;; [unrolled: 4-line block ×6, first 2 shown]
	scratch_store_dwordx2 off, v[0:1], off offset:48
	s_and_b64 exec, exec, s[0:1]
	s_cbranch_execz .LBB190_18
; %bb.17:
	scratch_load_dword v2, v5, off offset:48
	s_mul_i32 s0, s10, 6
	v_or_b32_e32 v0, s0, v8
	v_mov_b32_e32 v1, 0
	v_lshl_add_u64 v[0:1], v[0:1], 2, s[2:3]
	s_waitcnt vmcnt(0)
	global_store_dword v[0:1], v2, off
.LBB190_18:
	s_endpgm
	.section	.rodata,"a",@progbits
	.p2align	6, 0x0
	.amdhsa_kernel _ZL13mul_mat_vec_qIL9ggml_type22ELi7ELb0ELb0EEvPKvS2_PKi31ggml_cuda_mm_fusion_args_devicePfj15HIP_vector_typeIjLj3EEjjjS8_jjjS8_jjjj
		.amdhsa_group_segment_fixed_size 0
		.amdhsa_private_segment_fixed_size 64
		.amdhsa_kernarg_size 144
		.amdhsa_user_sgpr_count 2
		.amdhsa_user_sgpr_dispatch_ptr 0
		.amdhsa_user_sgpr_queue_ptr 0
		.amdhsa_user_sgpr_kernarg_segment_ptr 1
		.amdhsa_user_sgpr_dispatch_id 0
		.amdhsa_user_sgpr_kernarg_preload_length 0
		.amdhsa_user_sgpr_kernarg_preload_offset 0
		.amdhsa_user_sgpr_private_segment_size 0
		.amdhsa_uses_dynamic_stack 0
		.amdhsa_enable_private_segment 1
		.amdhsa_system_sgpr_workgroup_id_x 1
		.amdhsa_system_sgpr_workgroup_id_y 1
		.amdhsa_system_sgpr_workgroup_id_z 1
		.amdhsa_system_sgpr_workgroup_info 0
		.amdhsa_system_vgpr_workitem_id 1
		.amdhsa_next_free_vgpr 72
		.amdhsa_next_free_sgpr 36
		.amdhsa_accum_offset 72
		.amdhsa_reserve_vcc 1
		.amdhsa_float_round_mode_32 0
		.amdhsa_float_round_mode_16_64 0
		.amdhsa_float_denorm_mode_32 3
		.amdhsa_float_denorm_mode_16_64 3
		.amdhsa_dx10_clamp 1
		.amdhsa_ieee_mode 1
		.amdhsa_fp16_overflow 0
		.amdhsa_tg_split 0
		.amdhsa_exception_fp_ieee_invalid_op 0
		.amdhsa_exception_fp_denorm_src 0
		.amdhsa_exception_fp_ieee_div_zero 0
		.amdhsa_exception_fp_ieee_overflow 0
		.amdhsa_exception_fp_ieee_underflow 0
		.amdhsa_exception_fp_ieee_inexact 0
		.amdhsa_exception_int_div_zero 0
	.end_amdhsa_kernel
	.section	.text._ZL13mul_mat_vec_qIL9ggml_type22ELi7ELb0ELb0EEvPKvS2_PKi31ggml_cuda_mm_fusion_args_devicePfj15HIP_vector_typeIjLj3EEjjjS8_jjjS8_jjjj,"axG",@progbits,_ZL13mul_mat_vec_qIL9ggml_type22ELi7ELb0ELb0EEvPKvS2_PKi31ggml_cuda_mm_fusion_args_devicePfj15HIP_vector_typeIjLj3EEjjjS8_jjjS8_jjjj,comdat
.Lfunc_end190:
	.size	_ZL13mul_mat_vec_qIL9ggml_type22ELi7ELb0ELb0EEvPKvS2_PKi31ggml_cuda_mm_fusion_args_devicePfj15HIP_vector_typeIjLj3EEjjjS8_jjjS8_jjjj, .Lfunc_end190-_ZL13mul_mat_vec_qIL9ggml_type22ELi7ELb0ELb0EEvPKvS2_PKi31ggml_cuda_mm_fusion_args_devicePfj15HIP_vector_typeIjLj3EEjjjS8_jjjS8_jjjj
                                        ; -- End function
	.section	.AMDGPU.csdata,"",@progbits
; Kernel info:
; codeLenInByte = 20860
; NumSgprs: 42
; NumVgprs: 72
; NumAgprs: 0
; TotalNumVgprs: 72
; ScratchSize: 64
; MemoryBound: 0
; FloatMode: 240
; IeeeMode: 1
; LDSByteSize: 0 bytes/workgroup (compile time only)
; SGPRBlocks: 5
; VGPRBlocks: 8
; NumSGPRsForWavesPerEU: 42
; NumVGPRsForWavesPerEU: 72
; AccumOffset: 72
; Occupancy: 7
; WaveLimiterHint : 0
; COMPUTE_PGM_RSRC2:SCRATCH_EN: 1
; COMPUTE_PGM_RSRC2:USER_SGPR: 2
; COMPUTE_PGM_RSRC2:TRAP_HANDLER: 0
; COMPUTE_PGM_RSRC2:TGID_X_EN: 1
; COMPUTE_PGM_RSRC2:TGID_Y_EN: 1
; COMPUTE_PGM_RSRC2:TGID_Z_EN: 1
; COMPUTE_PGM_RSRC2:TIDIG_COMP_CNT: 1
; COMPUTE_PGM_RSRC3_GFX90A:ACCUM_OFFSET: 17
; COMPUTE_PGM_RSRC3_GFX90A:TG_SPLIT: 0
	.section	.text._ZL13mul_mat_vec_qIL9ggml_type22ELi8ELb0ELb0EEvPKvS2_PKi31ggml_cuda_mm_fusion_args_devicePfj15HIP_vector_typeIjLj3EEjjjS8_jjjS8_jjjj,"axG",@progbits,_ZL13mul_mat_vec_qIL9ggml_type22ELi8ELb0ELb0EEvPKvS2_PKi31ggml_cuda_mm_fusion_args_devicePfj15HIP_vector_typeIjLj3EEjjjS8_jjjS8_jjjj,comdat
	.globl	_ZL13mul_mat_vec_qIL9ggml_type22ELi8ELb0ELb0EEvPKvS2_PKi31ggml_cuda_mm_fusion_args_devicePfj15HIP_vector_typeIjLj3EEjjjS8_jjjS8_jjjj ; -- Begin function _ZL13mul_mat_vec_qIL9ggml_type22ELi8ELb0ELb0EEvPKvS2_PKi31ggml_cuda_mm_fusion_args_devicePfj15HIP_vector_typeIjLj3EEjjjS8_jjjS8_jjjj
	.p2align	8
	.type	_ZL13mul_mat_vec_qIL9ggml_type22ELi8ELb0ELb0EEvPKvS2_PKi31ggml_cuda_mm_fusion_args_devicePfj15HIP_vector_typeIjLj3EEjjjS8_jjjS8_jjjj,@function
_ZL13mul_mat_vec_qIL9ggml_type22ELi8ELb0ELb0EEvPKvS2_PKi31ggml_cuda_mm_fusion_args_devicePfj15HIP_vector_typeIjLj3EEjjjS8_jjjS8_jjjj: ; @_ZL13mul_mat_vec_qIL9ggml_type22ELi8ELb0ELb0EEvPKvS2_PKi31ggml_cuda_mm_fusion_args_devicePfj15HIP_vector_typeIjLj3EEjjjS8_jjjS8_jjjj
; %bb.0:
	v_bfe_u32 v13, v0, 10, 10
	v_and_b32_e32 v12, 0x3ff, v0
	s_mov_b32 s20, 0
	s_load_dword s5, s[0:1], 0x40
	s_load_dwordx4 s[8:11], s[0:1], 0x50
	s_load_dword s27, s[0:1], 0x60
	s_load_dwordx4 s[12:15], s[0:1], 0x68
	;; [unrolled: 2-line block ×3, first 2 shown]
	v_lshl_or_b32 v4, v13, 6, v12
	s_mov_b32 s21, s20
	s_waitcnt lgkmcnt(0)
	s_lshr_b32 s5, s5, 8
	s_mov_b32 s22, s20
	s_mov_b32 s23, s20
	v_mov_b64_e32 v[0:1], s[20:21]
	v_lshrrev_b32_e32 v33, 3, v4
	s_lshl_b32 s2, s2, 1
	v_mov_b64_e32 v[2:3], s[22:23]
	v_cmp_gt_u32_e32 vcc, s5, v33
	scratch_store_dwordx4 off, v[0:3], off offset:48
	scratch_store_dwordx4 off, v[0:3], off offset:32
	scratch_store_dwordx4 off, v[0:3], off offset:16
	scratch_store_dwordx4 off, v[0:3], off
	s_and_saveexec_b64 s[6:7], vcc
	s_cbranch_execz .LBB191_3
; %bb.1:
	s_load_dwordx4 s[20:23], s[0:1], 0x0
	s_mul_i32 s17, s4, s17
	s_mul_i32 s24, s17, 36
	;; [unrolled: 1-line block ×3, first 2 shown]
	s_mul_hi_u32 s19, s17, 36
	s_waitcnt lgkmcnt(0)
	s_add_u32 s24, s22, s24
	s_addc_u32 s19, s23, s19
	s_mul_i32 s28, s13, 36
	s_mul_hi_u32 s29, s13, 36
	s_add_u32 s24, s24, s28
	s_mul_hi_u32 s11, s11, s3
	s_addc_u32 s25, s19, s29
	s_add_i32 s11, s3, s11
	s_lshr_b32 s11, s11, s27
	s_mul_i32 s11, s11, s12
	s_mul_hi_u32 s12, s15, s4
	s_add_i32 s12, s4, s12
	s_lshr_b32 s12, s12, s26
	s_mul_i32 s12, s12, s16
	s_mul_i32 s13, s2, s8
	s_add_i32 s12, s12, s11
	s_add_i32 s11, s12, s13
	;; [unrolled: 1-line block ×3, first 2 shown]
	s_mul_i32 s8, s8, s13
	v_lshl_add_u32 v1, v13, 6, v12
	s_add_i32 s8, s12, s8
	v_lshrrev_b32_e32 v1, 3, v1
	s_movk_i32 s12, 0x120
	v_mov_b64_e32 v[2:3], s[28:29]
	v_mad_u64_u32 v[2:3], s[12:13], v1, s12, v[2:3]
	v_and_b32_e32 v14, 7, v12
	v_mad_u64_u32 v[2:3], s[12:13], s17, 36, v[2:3]
	v_mad_u64_u32 v[2:3], s[12:13], v14, 36, v[2:3]
	v_lshlrev_b32_e32 v0, 1, v14
	v_mov_b32_e32 v15, 0
	v_lshl_add_u64 v[2:3], v[2:3], 0, s[22:23]
	v_lshlrev_b32_e32 v34, 3, v33
	s_mul_i32 s15, s9, 7
	s_mul_i32 s19, s9, 6
	;; [unrolled: 1-line block ×3, first 2 shown]
	s_lshl_b32 s27, s9, 2
	v_lshl_add_u64 v[16:17], v[2:3], 0, 16
	s_lshl_b32 s22, s9, 1
	s_mul_i32 s23, s9, 3
	s_mov_b64 s[12:13], 0
	s_movk_i32 s28, 0x52
	v_mov_b64_e32 v[18:19], s[20:21]
	v_lshlrev_b32_e32 v20, 1, v0
	v_mov_b32_e32 v21, v15
	s_movk_i32 s29, 0xff
	s_mov_b32 s30, 0xffff
	s_movk_i32 s31, 0x300
	s_movk_i32 s33, 0xff00
	s_mov_b64 s[16:17], 0x900
	v_mov_b32_e32 v35, 8
	v_mov_b32_e32 v36, 5
	;; [unrolled: 1-line block ×3, first 2 shown]
.LBB191_2:                              ; =>This Inner Loop Header: Depth=1
	v_add_u32_e32 v8, s11, v33
	v_mad_i64_i32 v[24:25], s[20:21], v8, s28, v[18:19]
	v_lshl_add_u64 v[28:29], v[24:25], 0, v[20:21]
	global_load_dword v30, v[16:17], off offset:16
	global_load_dwordx4 v[0:3], v[16:17], off
	global_load_dwordx4 v[4:7], v[16:17], off offset:-16
	global_load_ushort v10, v[28:29], off offset:2
	global_load_dword v38, v[28:29], off offset:2
	v_lshl_add_u64 v[8:9], v[24:25], 0, v[14:15]
	global_load_ubyte v26, v[8:9], off offset:66
	global_load_ushort v27, v[28:29], off offset:34
	global_load_dword v39, v[28:29], off offset:34
	s_getpc_b64 s[20:21]
	s_add_u32 s20, s20, _ZL9iq2s_grid@rel32@lo+4
	s_addc_u32 s21, s21, _ZL9iq2s_grid@rel32@hi+12
	v_lshl_add_u64 v[16:17], v[16:17], 0, s[16:17]
	s_waitcnt vmcnt(5)
	v_cvt_f32_f16_e32 v4, v4
	s_waitcnt vmcnt(4)
	v_lshrrev_b16_e32 v23, 8, v10
	v_and_b32_sdwa v10, s30, v10 dst_sel:DWORD dst_unused:UNUSED_PAD src0_sel:DWORD src1_sel:BYTE_0
	s_waitcnt vmcnt(2)
	v_lshlrev_b32_e32 v11, 8, v26
	v_and_or_b32 v10, v11, s31, v10
	s_waitcnt vmcnt(1)
	v_and_b32_sdwa v11, s30, v27 dst_sel:DWORD dst_unused:UNUSED_PAD src0_sel:DWORD src1_sel:BYTE_0
	v_bfe_u32 v43, v11, 3, 1
	v_lshlrev_b32_e32 v31, 5, v11
	v_lshrrev_b32_e32 v42, 1, v11
	v_cmp_ne_u16_e32 vcc, 0, v43
	v_and_b32_e32 v32, 1, v27
	v_bfe_i32 v42, v42, 0, 1
	v_lshrrev_b16_e32 v31, 7, v31
	v_cndmask_b32_e64 v43, 0, -1, vcc
	v_sub_u16_e32 v32, 0, v32
	v_bfe_i32 v31, v31, 0, 1
	v_lshlrev_b16_e32 v42, 8, v42
	v_lshlrev_b16_e32 v43, 8, v43
	v_or_b32_sdwa v44, v32, v42 dst_sel:DWORD dst_unused:UNUSED_PAD src0_sel:BYTE_0 src1_sel:DWORD
	v_or_b32_sdwa v45, v31, v43 dst_sel:WORD_1 dst_unused:UNUSED_PAD src0_sel:BYTE_0 src1_sel:DWORD
	v_bfe_i32 v46, v11, 4, 1
	v_or_b32_sdwa v44, v44, v45 dst_sel:DWORD dst_unused:UNUSED_PAD src0_sel:WORD_0 src1_sel:DWORD
	v_lshlrev_b32_e32 v45, 1, v11
	v_lshrrev_b32_e32 v47, 5, v11
	v_lshrrev_b32_e32 v11, 7, v11
	v_cmp_ne_u16_e32 vcc, 0, v11
	v_bfe_i32 v47, v47, 0, 1
	v_lshrrev_b16_e32 v45, 7, v45
	v_cndmask_b32_e64 v11, 0, -1, vcc
	v_bfe_i32 v45, v45, 0, 1
	v_lshlrev_b16_e32 v47, 8, v47
	v_lshlrev_b16_e32 v49, 8, v11
	v_lshlrev_b32_e32 v10, 3, v10
	v_or_b32_sdwa v48, v46, v47 dst_sel:DWORD dst_unused:UNUSED_PAD src0_sel:BYTE_0 src1_sel:DWORD
	v_or_b32_sdwa v11, v45, v49 dst_sel:WORD_1 dst_unused:UNUSED_PAD src0_sel:BYTE_0 src1_sel:DWORD
	v_lshlrev_b16_e32 v32, 8, v32
	v_or_b32_sdwa v48, v48, v11 dst_sel:DWORD dst_unused:UNUSED_PAD src0_sel:WORD_0 src1_sel:DWORD
	global_load_dwordx2 v[10:11], v10, s[20:21]
	v_lshlrev_b16_e32 v31, 8, v31
	s_waitcnt vmcnt(1)
	v_lshrrev_b32_e32 v40, 16, v39
	v_lshrrev_b32_e32 v22, 16, v38
	;; [unrolled: 1-line block ×3, first 2 shown]
	s_waitcnt vmcnt(0)
	v_xor_b32_e32 v10, v10, v44
	v_and_b32_e32 v44, 0xffffff00, v10
	v_sub_i16 v42, v44, v42 clamp
	v_lshlrev_b16_e32 v44, 8, v10
	v_and_b32_e32 v42, 0xffffff00, v42
	v_sub_i16 v32, v44, v32 clamp
	v_or_b32_sdwa v32, v32, v42 dst_sel:DWORD dst_unused:UNUSED_PAD src0_sel:BYTE_1 src1_sel:DWORD
	v_and_b32_sdwa v42, v10, s33 dst_sel:DWORD dst_unused:UNUSED_PAD src0_sel:WORD_1 src1_sel:DWORD
	v_sub_i16 v42, v42, v43 clamp
	v_lshlrev_b16_sdwa v10, v35, v10 dst_sel:DWORD dst_unused:UNUSED_PAD src0_sel:DWORD src1_sel:WORD_1
	v_and_b32_e32 v42, 0xffffff00, v42
	v_sub_i16 v10, v10, v31 clamp
	v_or_b32_sdwa v10, v10, v42 dst_sel:WORD_1 dst_unused:UNUSED_PAD src0_sel:BYTE_1 src1_sel:DWORD
	s_nop 0
	v_or_b32_sdwa v42, v32, v10 dst_sel:DWORD dst_unused:UNUSED_PAD src0_sel:WORD_0 src1_sel:DWORD
	v_xor_b32_e32 v10, v11, v48
	v_and_b32_e32 v11, 0xffffff00, v10
	v_sub_i16 v11, v11, v47 clamp
	v_lshlrev_b16_e32 v31, 8, v10
	v_lshlrev_b16_e32 v32, 8, v46
	v_and_b32_e32 v11, 0xffffff00, v11
	v_sub_i16 v31, v31, v32 clamp
	v_or_b32_sdwa v11, v31, v11 dst_sel:DWORD dst_unused:UNUSED_PAD src0_sel:BYTE_1 src1_sel:DWORD
	v_and_b32_sdwa v31, v10, s33 dst_sel:DWORD dst_unused:UNUSED_PAD src0_sel:WORD_1 src1_sel:DWORD
	v_sub_i16 v31, v31, v49 clamp
	v_lshlrev_b16_sdwa v10, v35, v10 dst_sel:DWORD dst_unused:UNUSED_PAD src0_sel:DWORD src1_sel:WORD_1
	v_lshlrev_b16_e32 v32, 8, v45
	v_and_b32_e32 v31, 0xffffff00, v31
	v_sub_i16 v10, v10, v32 clamp
	v_or_b32_sdwa v10, v10, v31 dst_sel:WORD_1 dst_unused:UNUSED_PAD src0_sel:BYTE_1 src1_sel:DWORD
	v_mov_b32_e32 v31, 0
	v_or_b32_sdwa v43, v11, v10 dst_sel:DWORD dst_unused:UNUSED_PAD src0_sel:WORD_0 src1_sel:DWORD
	v_lshrrev_b16_e32 v11, 8, v27
	v_lshlrev_b32_e32 v10, 6, v26
	v_bfe_u32 v44, v11, 3, 1
	v_and_or_b32 v10, v10, s31, v23
	v_lshlrev_b32_e32 v23, 5, v11
	v_lshrrev_b32_e32 v32, 1, v11
	v_cmp_ne_u16_e32 vcc, 0, v44
	v_lshlrev_b16_e32 v27, 7, v27
	v_bfe_i32 v32, v32, 0, 1
	v_lshrrev_b16_e32 v23, 7, v23
	v_cndmask_b32_e64 v44, 0, -1, vcc
	v_ashrrev_i16_e32 v27, 15, v27
	v_bfe_i32 v23, v23, 0, 1
	v_lshlrev_b16_e32 v32, 8, v32
	v_lshlrev_b16_e32 v44, 8, v44
	v_or_b32_sdwa v45, v27, v32 dst_sel:DWORD dst_unused:UNUSED_PAD src0_sel:BYTE_0 src1_sel:DWORD
	v_or_b32_sdwa v46, v23, v44 dst_sel:WORD_1 dst_unused:UNUSED_PAD src0_sel:BYTE_0 src1_sel:DWORD
	v_bfe_i32 v47, v11, 4, 1
	v_or_b32_sdwa v45, v45, v46 dst_sel:DWORD dst_unused:UNUSED_PAD src0_sel:WORD_0 src1_sel:DWORD
	v_lshlrev_b32_e32 v46, 1, v11
	v_lshrrev_b32_e32 v48, 5, v11
	v_lshrrev_b32_e32 v11, 7, v11
	v_cmp_ne_u16_e32 vcc, 0, v11
	v_bfe_i32 v48, v48, 0, 1
	v_lshrrev_b16_e32 v46, 7, v46
	v_cndmask_b32_e64 v11, 0, -1, vcc
	v_bfe_i32 v46, v46, 0, 1
	v_lshlrev_b16_e32 v48, 8, v48
	v_lshlrev_b16_e32 v50, 8, v11
	v_lshlrev_b32_e32 v10, 3, v10
	v_or_b32_sdwa v49, v47, v48 dst_sel:DWORD dst_unused:UNUSED_PAD src0_sel:BYTE_0 src1_sel:DWORD
	v_or_b32_sdwa v11, v46, v50 dst_sel:WORD_1 dst_unused:UNUSED_PAD src0_sel:BYTE_0 src1_sel:DWORD
	v_lshlrev_b16_e32 v27, 8, v27
	v_or_b32_sdwa v49, v49, v11 dst_sel:DWORD dst_unused:UNUSED_PAD src0_sel:WORD_0 src1_sel:DWORD
	global_load_dwordx2 v[10:11], v10, s[20:21]
	v_lshlrev_b16_e32 v23, 8, v23
	v_dot4c_i32_i8_e32 v31, v42, v5
	v_dot4c_i32_i8_e32 v31, v43, v6
	s_waitcnt vmcnt(0)
	v_xor_b32_e32 v10, v10, v45
	v_and_b32_e32 v45, 0xffffff00, v10
	v_sub_i16 v32, v45, v32 clamp
	v_lshlrev_b16_e32 v45, 8, v10
	v_and_b32_e32 v32, 0xffffff00, v32
	v_sub_i16 v27, v45, v27 clamp
	v_or_b32_sdwa v27, v27, v32 dst_sel:DWORD dst_unused:UNUSED_PAD src0_sel:BYTE_1 src1_sel:DWORD
	v_and_b32_sdwa v32, v10, s33 dst_sel:DWORD dst_unused:UNUSED_PAD src0_sel:WORD_1 src1_sel:DWORD
	v_sub_i16 v32, v32, v44 clamp
	v_lshlrev_b16_sdwa v10, v35, v10 dst_sel:DWORD dst_unused:UNUSED_PAD src0_sel:DWORD src1_sel:WORD_1
	v_and_b32_e32 v32, 0xffffff00, v32
	v_sub_i16 v10, v10, v23 clamp
	v_or_b32_sdwa v10, v10, v32 dst_sel:WORD_1 dst_unused:UNUSED_PAD src0_sel:BYTE_1 src1_sel:DWORD
	s_nop 0
	v_or_b32_sdwa v44, v27, v10 dst_sel:DWORD dst_unused:UNUSED_PAD src0_sel:WORD_0 src1_sel:DWORD
	v_xor_b32_e32 v10, v11, v49
	v_and_b32_e32 v11, 0xffffff00, v10
	v_sub_i16 v11, v11, v48 clamp
	v_lshlrev_b16_e32 v23, 8, v10
	v_lshlrev_b16_e32 v27, 8, v47
	v_and_b32_e32 v11, 0xffffff00, v11
	v_sub_i16 v23, v23, v27 clamp
	v_or_b32_sdwa v11, v23, v11 dst_sel:DWORD dst_unused:UNUSED_PAD src0_sel:BYTE_1 src1_sel:DWORD
	v_and_b32_sdwa v23, v10, s33 dst_sel:DWORD dst_unused:UNUSED_PAD src0_sel:WORD_1 src1_sel:DWORD
	v_sub_i16 v23, v23, v50 clamp
	v_lshlrev_b16_sdwa v10, v35, v10 dst_sel:DWORD dst_unused:UNUSED_PAD src0_sel:DWORD src1_sel:WORD_1
	v_lshlrev_b16_e32 v27, 8, v46
	v_and_b32_e32 v23, 0xffffff00, v23
	v_sub_i16 v10, v10, v27 clamp
	v_or_b32_sdwa v10, v10, v23 dst_sel:WORD_1 dst_unused:UNUSED_PAD src0_sel:BYTE_1 src1_sel:DWORD
	v_bfe_u32 v23, v40, 1, 7
	v_or_b32_sdwa v45, v11, v10 dst_sel:DWORD dst_unused:UNUSED_PAD src0_sel:WORD_0 src1_sel:DWORD
	v_lshlrev_b32_sdwa v11, v36, v39 dst_sel:DWORD dst_unused:UNUSED_PAD src0_sel:DWORD src1_sel:BYTE_2
	v_lshrrev_b16_e32 v11, 7, v11
	v_lshlrev_b32_e32 v10, 4, v26
	v_bfe_i32 v27, v11, 0, 1
	v_bfe_u32 v11, v39, 19, 1
	v_and_b32_e32 v46, 0x300, v10
	v_cmp_ne_u16_e32 vcc, 0, v11
	v_and_or_b32 v10, v22, s29, v46
	v_and_b32_e32 v22, 1, v40
	v_bfe_i32 v23, v23, 0, 1
	v_cndmask_b32_e64 v11, 0, -1, vcc
	v_sub_u16_e32 v22, 0, v22
	v_lshlrev_b16_e32 v23, 8, v23
	v_lshlrev_b16_e32 v47, 8, v11
	v_or_b32_sdwa v32, v22, v23 dst_sel:DWORD dst_unused:UNUSED_PAD src0_sel:BYTE_0 src1_sel:DWORD
	v_or_b32_sdwa v11, v27, v47 dst_sel:WORD_1 dst_unused:UNUSED_PAD src0_sel:BYTE_0 src1_sel:DWORD
	v_bfe_u32 v49, v40, 5, 3
	v_or_b32_sdwa v32, v32, v11 dst_sel:DWORD dst_unused:UNUSED_PAD src0_sel:WORD_0 src1_sel:DWORD
	v_lshlrev_b32_sdwa v11, v37, v39 dst_sel:DWORD dst_unused:UNUSED_PAD src0_sel:DWORD src1_sel:BYTE_2
	v_lshrrev_b16_e32 v11, 7, v11
	v_bfe_i32 v50, v11, 0, 1
	v_bfe_u32 v11, v40, 7, 1
	v_cmp_ne_u16_e32 vcc, 0, v11
	v_bfe_i32 v49, v49, 0, 1
	v_bfe_i32 v48, v39, 20, 1
	v_cndmask_b32_e64 v11, 0, -1, vcc
	v_lshlrev_b16_e32 v49, 8, v49
	v_lshlrev_b16_e32 v52, 8, v11
	v_lshlrev_b32_e32 v10, 3, v10
	v_or_b32_sdwa v51, v48, v49 dst_sel:DWORD dst_unused:UNUSED_PAD src0_sel:BYTE_0 src1_sel:DWORD
	v_or_b32_sdwa v11, v50, v52 dst_sel:WORD_1 dst_unused:UNUSED_PAD src0_sel:BYTE_0 src1_sel:DWORD
	v_lshlrev_b16_e32 v22, 8, v22
	v_or_b32_sdwa v51, v51, v11 dst_sel:DWORD dst_unused:UNUSED_PAD src0_sel:WORD_0 src1_sel:DWORD
	global_load_dwordx2 v[10:11], v10, s[20:21]
	v_lshlrev_b16_e32 v27, 8, v27
	v_dot4c_i32_i8_e32 v31, v44, v7
	v_dot4c_i32_i8_e32 v31, v45, v0
	s_waitcnt vmcnt(0)
	v_xor_b32_e32 v10, v10, v32
	v_and_b32_e32 v32, 0xffffff00, v10
	v_sub_i16 v23, v32, v23 clamp
	v_lshlrev_b16_e32 v32, 8, v10
	v_and_b32_e32 v23, 0xffffff00, v23
	v_sub_i16 v22, v32, v22 clamp
	v_or_b32_sdwa v22, v22, v23 dst_sel:DWORD dst_unused:UNUSED_PAD src0_sel:BYTE_1 src1_sel:DWORD
	v_and_b32_sdwa v23, v10, s33 dst_sel:DWORD dst_unused:UNUSED_PAD src0_sel:WORD_1 src1_sel:DWORD
	v_sub_i16 v23, v23, v47 clamp
	v_lshlrev_b16_sdwa v10, v35, v10 dst_sel:DWORD dst_unused:UNUSED_PAD src0_sel:DWORD src1_sel:WORD_1
	v_and_b32_e32 v23, 0xffffff00, v23
	v_sub_i16 v10, v10, v27 clamp
	v_or_b32_sdwa v10, v10, v23 dst_sel:WORD_1 dst_unused:UNUSED_PAD src0_sel:BYTE_1 src1_sel:DWORD
	v_xor_b32_e32 v11, v11, v51
	v_or_b32_sdwa v10, v22, v10 dst_sel:DWORD dst_unused:UNUSED_PAD src0_sel:WORD_0 src1_sel:DWORD
	v_and_b32_e32 v22, 0xffffff00, v11
	v_sub_i16 v22, v22, v49 clamp
	v_lshlrev_b16_e32 v23, 8, v11
	v_lshlrev_b16_e32 v27, 8, v48
	v_and_b32_e32 v22, 0xffffff00, v22
	v_sub_i16 v23, v23, v27 clamp
	v_or_b32_sdwa v22, v23, v22 dst_sel:DWORD dst_unused:UNUSED_PAD src0_sel:BYTE_1 src1_sel:DWORD
	v_and_b32_sdwa v23, v11, s33 dst_sel:DWORD dst_unused:UNUSED_PAD src0_sel:WORD_1 src1_sel:DWORD
	v_sub_i16 v23, v23, v52 clamp
	v_lshlrev_b16_sdwa v11, v35, v11 dst_sel:DWORD dst_unused:UNUSED_PAD src0_sel:DWORD src1_sel:WORD_1
	v_lshlrev_b16_e32 v27, 8, v50
	v_and_b32_e32 v23, 0xffffff00, v23
	v_sub_i16 v11, v11, v27 clamp
	v_or_b32_sdwa v11, v11, v23 dst_sel:WORD_1 dst_unused:UNUSED_PAD src0_sel:BYTE_1 src1_sel:DWORD
	v_mov_b32_e32 v32, 0
	v_or_b32_sdwa v11, v22, v11 dst_sel:DWORD dst_unused:UNUSED_PAD src0_sel:WORD_0 src1_sel:DWORD
	v_dot4c_i32_i8_e32 v32, v10, v1
	v_dot4c_i32_i8_e32 v32, v11, v2
	v_lshlrev_b32_e32 v11, 5, v41
	v_lshrrev_b16_e32 v11, 7, v11
	v_lshlrev_b32_e32 v10, 2, v26
	v_bfe_i32 v26, v11, 0, 1
	v_bfe_u32 v11, v39, 27, 1
	v_lshrrev_b32_e32 v23, 25, v39
	v_cmp_ne_u16_e32 vcc, 0, v11
	v_lshlrev_b16_e32 v22, 7, v40
	v_bfe_i32 v23, v23, 0, 1
	v_cndmask_b32_e64 v11, 0, -1, vcc
	v_ashrrev_i16_e32 v22, 15, v22
	v_lshlrev_b16_e32 v23, 8, v23
	v_lshlrev_b16_e32 v40, 8, v11
	v_or_b32_sdwa v27, v22, v23 dst_sel:DWORD dst_unused:UNUSED_PAD src0_sel:BYTE_0 src1_sel:DWORD
	v_or_b32_sdwa v11, v26, v40 dst_sel:WORD_1 dst_unused:UNUSED_PAD src0_sel:BYTE_0 src1_sel:DWORD
	v_lshrrev_b32_e32 v48, 29, v39
	v_or_b32_sdwa v27, v27, v11 dst_sel:DWORD dst_unused:UNUSED_PAD src0_sel:WORD_0 src1_sel:DWORD
	v_lshlrev_b32_e32 v11, 1, v41
	v_lshrrev_b16_e32 v11, 7, v11
	v_bfe_i32 v49, v11, 0, 1
	v_lshrrev_b32_e32 v11, 31, v39
	v_cmp_ne_u16_e32 vcc, 0, v11
	v_and_b32_e32 v47, 0x300, v10
	v_bfe_i32 v48, v48, 0, 1
	v_cndmask_b32_e64 v11, 0, -1, vcc
	v_or_b32_sdwa v10, v47, v38 dst_sel:DWORD dst_unused:UNUSED_PAD src0_sel:DWORD src1_sel:BYTE_3
	v_bfe_i32 v41, v41, 4, 1
	v_lshlrev_b16_e32 v48, 8, v48
	v_lshlrev_b16_e32 v51, 8, v11
	v_lshlrev_b32_e32 v10, 3, v10
	v_or_b32_sdwa v50, v41, v48 dst_sel:DWORD dst_unused:UNUSED_PAD src0_sel:BYTE_0 src1_sel:DWORD
	v_or_b32_sdwa v11, v49, v51 dst_sel:WORD_1 dst_unused:UNUSED_PAD src0_sel:BYTE_0 src1_sel:DWORD
	v_lshlrev_b16_e32 v22, 8, v22
	v_or_b32_sdwa v50, v50, v11 dst_sel:DWORD dst_unused:UNUSED_PAD src0_sel:WORD_0 src1_sel:DWORD
	global_load_dwordx2 v[10:11], v10, s[20:21]
	v_lshlrev_b16_e32 v26, 8, v26
	s_waitcnt vmcnt(0)
	v_xor_b32_e32 v10, v10, v27
	v_and_b32_e32 v27, 0xffffff00, v10
	v_sub_i16 v23, v27, v23 clamp
	v_lshlrev_b16_e32 v27, 8, v10
	v_and_b32_e32 v23, 0xffffff00, v23
	v_sub_i16 v22, v27, v22 clamp
	v_or_b32_sdwa v22, v22, v23 dst_sel:DWORD dst_unused:UNUSED_PAD src0_sel:BYTE_1 src1_sel:DWORD
	v_and_b32_sdwa v23, v10, s33 dst_sel:DWORD dst_unused:UNUSED_PAD src0_sel:WORD_1 src1_sel:DWORD
	v_sub_i16 v23, v23, v40 clamp
	v_lshlrev_b16_sdwa v10, v35, v10 dst_sel:DWORD dst_unused:UNUSED_PAD src0_sel:DWORD src1_sel:WORD_1
	v_and_b32_e32 v23, 0xffffff00, v23
	v_sub_i16 v10, v10, v26 clamp
	v_or_b32_sdwa v10, v10, v23 dst_sel:WORD_1 dst_unused:UNUSED_PAD src0_sel:BYTE_1 src1_sel:DWORD
	v_xor_b32_e32 v11, v11, v50
	v_or_b32_sdwa v10, v22, v10 dst_sel:DWORD dst_unused:UNUSED_PAD src0_sel:WORD_0 src1_sel:DWORD
	v_and_b32_e32 v22, 0xffffff00, v11
	v_sub_i16 v22, v22, v48 clamp
	v_lshlrev_b16_e32 v23, 8, v11
	v_lshlrev_b16_e32 v26, 8, v41
	v_and_b32_e32 v22, 0xffffff00, v22
	v_sub_i16 v23, v23, v26 clamp
	v_or_b32_sdwa v22, v23, v22 dst_sel:DWORD dst_unused:UNUSED_PAD src0_sel:BYTE_1 src1_sel:DWORD
	v_and_b32_sdwa v23, v11, s33 dst_sel:DWORD dst_unused:UNUSED_PAD src0_sel:WORD_1 src1_sel:DWORD
	v_sub_i16 v23, v23, v51 clamp
	v_lshlrev_b16_sdwa v11, v35, v11 dst_sel:DWORD dst_unused:UNUSED_PAD src0_sel:DWORD src1_sel:WORD_1
	v_lshlrev_b16_e32 v26, 8, v49
	v_and_b32_e32 v23, 0xffffff00, v23
	v_sub_i16 v11, v11, v26 clamp
	v_or_b32_sdwa v11, v11, v23 dst_sel:WORD_1 dst_unused:UNUSED_PAD src0_sel:BYTE_1 src1_sel:DWORD
	v_dot4c_i32_i8_e32 v32, v10, v3
	v_or_b32_sdwa v11, v22, v11 dst_sel:DWORD dst_unused:UNUSED_PAD src0_sel:WORD_0 src1_sel:DWORD
	v_add_u32_e32 v10, s8, v33
	v_dot4c_i32_i8_e32 v32, v11, v30
	v_mad_i64_i32 v[10:11], s[34:35], v10, s28, v[18:19]
	v_lshl_add_u64 v[26:27], v[10:11], 0, v[20:21]
	global_load_ushort v48, v[24:25], off
	global_load_ushort v49, v[26:27], off offset:2
	global_load_dword v41, v[26:27], off offset:2
	v_lshl_add_u64 v[22:23], v[10:11], 0, v[14:15]
	global_load_ubyte v54, v[22:23], off offset:66
	global_load_ushort v55, v[26:27], off offset:34
	global_load_dword v40, v[26:27], off offset:34
	s_waitcnt vmcnt(4)
	v_lshrrev_b16_e32 v53, 8, v49
	v_and_b32_sdwa v49, s30, v49 dst_sel:DWORD dst_unused:UNUSED_PAD src0_sel:DWORD src1_sel:BYTE_0
	s_waitcnt vmcnt(2)
	v_lshlrev_b32_e32 v50, 8, v54
	v_and_or_b32 v49, v50, s31, v49
	s_waitcnt vmcnt(1)
	v_and_b32_sdwa v50, s30, v55 dst_sel:DWORD dst_unused:UNUSED_PAD src0_sel:DWORD src1_sel:BYTE_0
	v_lshlrev_b32_e32 v51, 5, v50
	v_lshrrev_b16_e32 v51, 7, v51
	v_bfe_i32 v60, v51, 0, 1
	v_bfe_u32 v51, v50, 3, 1
	v_lshrrev_b32_e32 v59, 1, v50
	v_cmp_ne_u16_e32 vcc, 0, v51
	v_and_b32_e32 v58, 1, v55
	v_bfe_i32 v59, v59, 0, 1
	v_cndmask_b32_e64 v51, 0, -1, vcc
	v_sub_u16_e32 v58, 0, v58
	v_lshlrev_b16_e32 v59, 8, v59
	v_lshlrev_b16_e32 v62, 8, v51
	v_or_b32_sdwa v61, v58, v59 dst_sel:DWORD dst_unused:UNUSED_PAD src0_sel:BYTE_0 src1_sel:DWORD
	v_or_b32_sdwa v51, v60, v62 dst_sel:WORD_1 dst_unused:UNUSED_PAD src0_sel:BYTE_0 src1_sel:DWORD
	v_bfe_i32 v63, v50, 4, 1
	v_or_b32_sdwa v61, v61, v51 dst_sel:DWORD dst_unused:UNUSED_PAD src0_sel:WORD_0 src1_sel:DWORD
	v_lshlrev_b32_e32 v51, 1, v50
	v_lshrrev_b32_e32 v64, 5, v50
	v_lshrrev_b32_e32 v50, 7, v50
	v_cmp_ne_u16_e32 vcc, 0, v50
	v_bfe_i32 v64, v64, 0, 1
	v_lshrrev_b16_e32 v51, 7, v51
	v_cndmask_b32_e64 v50, 0, -1, vcc
	v_bfe_i32 v65, v51, 0, 1
	v_lshlrev_b16_e32 v64, 8, v64
	v_lshlrev_b16_e32 v66, 8, v50
	v_lshlrev_b32_e32 v49, 3, v49
	v_or_b32_sdwa v51, v63, v64 dst_sel:DWORD dst_unused:UNUSED_PAD src0_sel:BYTE_0 src1_sel:DWORD
	v_or_b32_sdwa v50, v65, v66 dst_sel:WORD_1 dst_unused:UNUSED_PAD src0_sel:BYTE_0 src1_sel:DWORD
	v_lshlrev_b16_e32 v58, 8, v58
	v_or_b32_sdwa v67, v51, v50 dst_sel:DWORD dst_unused:UNUSED_PAD src0_sel:WORD_0 src1_sel:DWORD
	global_load_dwordx2 v[50:51], v49, s[20:21]
	s_waitcnt vmcnt(1)
	v_lshrrev_b32_e32 v56, 16, v40
	v_lshrrev_b32_e32 v52, 16, v41
	v_lshrrev_b32_e32 v57, 24, v40
	s_waitcnt vmcnt(0)
	v_xor_b32_e32 v49, v50, v61
	v_and_b32_e32 v50, 0xffffff00, v49
	v_sub_i16 v50, v50, v59 clamp
	v_lshlrev_b16_e32 v59, 8, v49
	v_and_b32_e32 v50, 0xffffff00, v50
	v_sub_i16 v58, v59, v58 clamp
	v_or_b32_sdwa v50, v58, v50 dst_sel:DWORD dst_unused:UNUSED_PAD src0_sel:BYTE_1 src1_sel:DWORD
	v_and_b32_sdwa v58, v49, s33 dst_sel:DWORD dst_unused:UNUSED_PAD src0_sel:WORD_1 src1_sel:DWORD
	v_sub_i16 v58, v58, v62 clamp
	v_lshlrev_b16_sdwa v49, v35, v49 dst_sel:DWORD dst_unused:UNUSED_PAD src0_sel:DWORD src1_sel:WORD_1
	v_lshlrev_b16_e32 v59, 8, v60
	v_and_b32_e32 v58, 0xffffff00, v58
	v_sub_i16 v49, v49, v59 clamp
	v_or_b32_sdwa v49, v49, v58 dst_sel:WORD_1 dst_unused:UNUSED_PAD src0_sel:BYTE_1 src1_sel:DWORD
	v_lshlrev_b16_e32 v59, 8, v63
	v_or_b32_sdwa v58, v50, v49 dst_sel:DWORD dst_unused:UNUSED_PAD src0_sel:WORD_0 src1_sel:DWORD
	v_xor_b32_e32 v49, v51, v67
	v_and_b32_e32 v50, 0xffffff00, v49
	v_sub_i16 v50, v50, v64 clamp
	v_lshlrev_b16_e32 v51, 8, v49
	v_and_b32_e32 v50, 0xffffff00, v50
	v_sub_i16 v51, v51, v59 clamp
	v_or_b32_sdwa v50, v51, v50 dst_sel:DWORD dst_unused:UNUSED_PAD src0_sel:BYTE_1 src1_sel:DWORD
	v_and_b32_sdwa v51, v49, s33 dst_sel:DWORD dst_unused:UNUSED_PAD src0_sel:WORD_1 src1_sel:DWORD
	v_sub_i16 v51, v51, v66 clamp
	v_lshlrev_b16_sdwa v49, v35, v49 dst_sel:DWORD dst_unused:UNUSED_PAD src0_sel:DWORD src1_sel:WORD_1
	v_lshlrev_b16_e32 v59, 8, v65
	v_and_b32_e32 v51, 0xffffff00, v51
	v_sub_i16 v49, v49, v59 clamp
	v_or_b32_sdwa v49, v49, v51 dst_sel:WORD_1 dst_unused:UNUSED_PAD src0_sel:BYTE_1 src1_sel:DWORD
	v_lshlrev_b16_e32 v51, 7, v55
	v_or_b32_sdwa v59, v50, v49 dst_sel:DWORD dst_unused:UNUSED_PAD src0_sel:WORD_0 src1_sel:DWORD
	v_mov_b32_e32 v49, 0
	v_dot4c_i32_i8_e32 v49, v58, v5
	v_dot4c_i32_i8_e32 v49, v59, v6
	v_lshrrev_b16_e32 v6, 8, v55
	v_lshlrev_b32_e32 v50, 5, v6
	v_lshrrev_b16_e32 v50, 7, v50
	v_lshlrev_b32_e32 v5, 6, v54
	v_bfe_i32 v55, v50, 0, 1
	v_bfe_u32 v50, v6, 3, 1
	v_and_or_b32 v5, v5, s31, v53
	v_ashrrev_i16_e32 v53, 15, v51
	v_lshrrev_b32_e32 v51, 1, v6
	v_cmp_ne_u16_e32 vcc, 0, v50
	v_bfe_i32 v51, v51, 0, 1
	v_lshlrev_b16_e32 v60, 8, v51
	v_cndmask_b32_e64 v50, 0, -1, vcc
	v_lshlrev_b16_e32 v61, 8, v50
	v_or_b32_sdwa v51, v53, v60 dst_sel:DWORD dst_unused:UNUSED_PAD src0_sel:BYTE_0 src1_sel:DWORD
	v_or_b32_sdwa v50, v55, v61 dst_sel:WORD_1 dst_unused:UNUSED_PAD src0_sel:BYTE_0 src1_sel:DWORD
	v_bfe_i32 v63, v6, 4, 1
	v_or_b32_sdwa v62, v51, v50 dst_sel:DWORD dst_unused:UNUSED_PAD src0_sel:WORD_0 src1_sel:DWORD
	v_lshlrev_b32_e32 v50, 1, v6
	v_lshrrev_b32_e32 v51, 5, v6
	v_lshrrev_b32_e32 v6, 7, v6
	v_cmp_ne_u16_e32 vcc, 0, v6
	v_bfe_i32 v51, v51, 0, 1
	v_lshrrev_b16_e32 v50, 7, v50
	v_cndmask_b32_e64 v6, 0, -1, vcc
	v_bfe_i32 v64, v50, 0, 1
	v_lshlrev_b16_e32 v65, 8, v51
	v_lshlrev_b16_e32 v6, 8, v6
	v_lshlrev_b32_e32 v5, 3, v5
	v_or_b32_sdwa v50, v63, v65 dst_sel:DWORD dst_unused:UNUSED_PAD src0_sel:BYTE_0 src1_sel:DWORD
	v_or_b32_sdwa v51, v64, v6 dst_sel:WORD_1 dst_unused:UNUSED_PAD src0_sel:BYTE_0 src1_sel:DWORD
	v_lshlrev_b16_e32 v53, 8, v53
	v_or_b32_sdwa v66, v50, v51 dst_sel:DWORD dst_unused:UNUSED_PAD src0_sel:WORD_0 src1_sel:DWORD
	global_load_dwordx2 v[50:51], v5, s[20:21]
	v_lshlrev_b16_e32 v55, 8, v55
	s_waitcnt vmcnt(0)
	v_xor_b32_e32 v5, v50, v62
	v_and_b32_e32 v50, 0xffffff00, v5
	v_sub_i16 v50, v50, v60 clamp
	v_lshlrev_b16_e32 v60, 8, v5
	v_and_b32_e32 v50, 0xffffff00, v50
	v_sub_i16 v53, v60, v53 clamp
	v_or_b32_sdwa v50, v53, v50 dst_sel:DWORD dst_unused:UNUSED_PAD src0_sel:BYTE_1 src1_sel:DWORD
	v_and_b32_sdwa v53, v5, s33 dst_sel:DWORD dst_unused:UNUSED_PAD src0_sel:WORD_1 src1_sel:DWORD
	v_sub_i16 v53, v53, v61 clamp
	v_lshlrev_b16_sdwa v5, v35, v5 dst_sel:DWORD dst_unused:UNUSED_PAD src0_sel:DWORD src1_sel:WORD_1
	v_and_b32_e32 v53, 0xffffff00, v53
	v_sub_i16 v5, v5, v55 clamp
	v_or_b32_sdwa v5, v5, v53 dst_sel:WORD_1 dst_unused:UNUSED_PAD src0_sel:BYTE_1 src1_sel:DWORD
	v_lshlrev_b16_e32 v53, 8, v63
	v_or_b32_sdwa v55, v50, v5 dst_sel:DWORD dst_unused:UNUSED_PAD src0_sel:WORD_0 src1_sel:DWORD
	v_xor_b32_e32 v5, v51, v66
	v_and_b32_e32 v50, 0xffffff00, v5
	v_sub_i16 v50, v50, v65 clamp
	v_lshlrev_b16_e32 v51, 8, v5
	v_and_b32_e32 v50, 0xffffff00, v50
	v_sub_i16 v51, v51, v53 clamp
	v_or_b32_sdwa v50, v51, v50 dst_sel:DWORD dst_unused:UNUSED_PAD src0_sel:BYTE_1 src1_sel:DWORD
	v_and_b32_sdwa v51, v5, s33 dst_sel:DWORD dst_unused:UNUSED_PAD src0_sel:WORD_1 src1_sel:DWORD
	v_sub_i16 v6, v51, v6 clamp
	v_lshlrev_b16_sdwa v5, v35, v5 dst_sel:DWORD dst_unused:UNUSED_PAD src0_sel:DWORD src1_sel:WORD_1
	v_lshlrev_b16_e32 v51, 8, v64
	v_and_b32_e32 v6, 0xffffff00, v6
	v_sub_i16 v5, v5, v51 clamp
	v_or_b32_sdwa v5, v5, v6 dst_sel:WORD_1 dst_unused:UNUSED_PAD src0_sel:BYTE_1 src1_sel:DWORD
	v_dot4c_i32_i8_e32 v49, v55, v7
	v_or_b32_sdwa v60, v50, v5 dst_sel:DWORD dst_unused:UNUSED_PAD src0_sel:WORD_0 src1_sel:DWORD
	v_and_b32_e32 v6, 1, v56
	v_bfe_u32 v7, v40, 19, 1
	v_dot4c_i32_i8_e32 v49, v60, v0
	v_lshlrev_b32_e32 v0, 4, v54
	v_lshlrev_b32_sdwa v5, v36, v40 dst_sel:DWORD dst_unused:UNUSED_PAD src0_sel:DWORD src1_sel:BYTE_2
	v_sub_u16_e32 v50, 0, v6
	v_bfe_u32 v6, v56, 1, 7
	v_cmp_ne_u16_e32 vcc, 0, v7
	v_and_b32_e32 v61, 0x300, v0
	v_bfe_i32 v6, v6, 0, 1
	v_lshrrev_b16_e32 v5, 7, v5
	v_cndmask_b32_e64 v7, 0, -1, vcc
	v_and_or_b32 v0, v52, s29, v61
	v_bfe_i32 v5, v5, 0, 1
	v_lshlrev_b16_e32 v51, 8, v6
	v_lshlrev_b16_e32 v52, 8, v7
	v_or_b32_sdwa v6, v50, v51 dst_sel:DWORD dst_unused:UNUSED_PAD src0_sel:BYTE_0 src1_sel:DWORD
	v_or_b32_sdwa v7, v5, v52 dst_sel:WORD_1 dst_unused:UNUSED_PAD src0_sel:BYTE_0 src1_sel:DWORD
	v_bfe_i32 v62, v40, 20, 1
	v_or_b32_sdwa v53, v6, v7 dst_sel:DWORD dst_unused:UNUSED_PAD src0_sel:WORD_0 src1_sel:DWORD
	v_lshlrev_b32_sdwa v6, v37, v40 dst_sel:DWORD dst_unused:UNUSED_PAD src0_sel:DWORD src1_sel:BYTE_2
	v_lshrrev_b16_e32 v6, 7, v6
	v_bfe_i32 v63, v6, 0, 1
	v_bfe_u32 v6, v56, 7, 1
	v_bfe_u32 v7, v56, 5, 3
	v_cmp_ne_u16_e32 vcc, 0, v6
	v_bfe_i32 v7, v7, 0, 1
	v_lshlrev_b16_e32 v64, 8, v7
	v_cndmask_b32_e64 v6, 0, -1, vcc
	v_lshlrev_b16_e32 v65, 8, v6
	v_lshlrev_b32_e32 v0, 3, v0
	v_or_b32_sdwa v7, v62, v64 dst_sel:DWORD dst_unused:UNUSED_PAD src0_sel:BYTE_0 src1_sel:DWORD
	v_or_b32_sdwa v6, v63, v65 dst_sel:WORD_1 dst_unused:UNUSED_PAD src0_sel:BYTE_0 src1_sel:DWORD
	v_lshlrev_b16_e32 v50, 8, v50
	v_or_b32_sdwa v66, v7, v6 dst_sel:DWORD dst_unused:UNUSED_PAD src0_sel:WORD_0 src1_sel:DWORD
	global_load_dwordx2 v[6:7], v0, s[20:21]
	v_lshlrev_b16_e32 v5, 8, v5
	s_waitcnt vmcnt(0)
	v_xor_b32_e32 v0, v6, v53
	v_and_b32_e32 v6, 0xffffff00, v0
	v_sub_i16 v6, v6, v51 clamp
	v_lshlrev_b16_e32 v51, 8, v0
	v_and_b32_e32 v6, 0xffffff00, v6
	v_sub_i16 v50, v51, v50 clamp
	v_or_b32_sdwa v6, v50, v6 dst_sel:DWORD dst_unused:UNUSED_PAD src0_sel:BYTE_1 src1_sel:DWORD
	v_and_b32_sdwa v50, v0, s33 dst_sel:DWORD dst_unused:UNUSED_PAD src0_sel:WORD_1 src1_sel:DWORD
	v_sub_i16 v50, v50, v52 clamp
	v_lshlrev_b16_sdwa v0, v35, v0 dst_sel:DWORD dst_unused:UNUSED_PAD src0_sel:DWORD src1_sel:WORD_1
	v_and_b32_e32 v50, 0xffffff00, v50
	v_sub_i16 v0, v0, v5 clamp
	v_or_b32_sdwa v0, v0, v50 dst_sel:WORD_1 dst_unused:UNUSED_PAD src0_sel:BYTE_1 src1_sel:DWORD
	v_xor_b32_e32 v5, v7, v66
	v_or_b32_sdwa v0, v6, v0 dst_sel:DWORD dst_unused:UNUSED_PAD src0_sel:WORD_0 src1_sel:DWORD
	v_and_b32_e32 v6, 0xffffff00, v5
	v_sub_i16 v6, v6, v64 clamp
	v_lshlrev_b16_e32 v7, 8, v5
	v_lshlrev_b16_e32 v50, 8, v62
	v_and_b32_e32 v6, 0xffffff00, v6
	v_sub_i16 v7, v7, v50 clamp
	v_or_b32_sdwa v6, v7, v6 dst_sel:DWORD dst_unused:UNUSED_PAD src0_sel:BYTE_1 src1_sel:DWORD
	v_and_b32_sdwa v7, v5, s33 dst_sel:DWORD dst_unused:UNUSED_PAD src0_sel:WORD_1 src1_sel:DWORD
	v_sub_i16 v7, v7, v65 clamp
	v_lshlrev_b16_sdwa v5, v35, v5 dst_sel:DWORD dst_unused:UNUSED_PAD src0_sel:DWORD src1_sel:WORD_1
	v_lshlrev_b16_e32 v50, 8, v63
	v_and_b32_e32 v7, 0xffffff00, v7
	v_sub_i16 v5, v5, v50 clamp
	v_or_b32_sdwa v5, v5, v7 dst_sel:WORD_1 dst_unused:UNUSED_PAD src0_sel:BYTE_1 src1_sel:DWORD
	v_lshrrev_b32_e32 v53, 29, v40
	v_or_b32_sdwa v5, v6, v5 dst_sel:DWORD dst_unused:UNUSED_PAD src0_sel:WORD_0 src1_sel:DWORD
	v_mov_b32_e32 v6, 0
	v_dot4c_i32_i8_e32 v6, v0, v1
	v_lshlrev_b32_e32 v1, 5, v57
	v_lshrrev_b16_e32 v1, 7, v1
	v_bfe_i32 v7, v1, 0, 1
	v_bfe_u32 v1, v40, 27, 1
	v_dot4c_i32_i8_e32 v6, v5, v2
	v_lshrrev_b32_e32 v5, 25, v40
	v_cmp_ne_u16_e32 vcc, 0, v1
	v_lshlrev_b16_e32 v2, 7, v56
	v_bfe_i32 v5, v5, 0, 1
	v_cndmask_b32_e64 v1, 0, -1, vcc
	v_ashrrev_i16_e32 v2, 15, v2
	v_lshlrev_b16_e32 v5, 8, v5
	v_lshlrev_b16_e32 v51, 8, v1
	v_or_b32_sdwa v50, v2, v5 dst_sel:DWORD dst_unused:UNUSED_PAD src0_sel:BYTE_0 src1_sel:DWORD
	v_or_b32_sdwa v1, v7, v51 dst_sel:WORD_1 dst_unused:UNUSED_PAD src0_sel:BYTE_0 src1_sel:DWORD
	v_lshlrev_b32_e32 v0, 2, v54
	v_or_b32_sdwa v50, v50, v1 dst_sel:DWORD dst_unused:UNUSED_PAD src0_sel:WORD_0 src1_sel:DWORD
	v_lshlrev_b32_e32 v1, 1, v57
	v_lshrrev_b16_e32 v1, 7, v1
	v_bfe_i32 v56, v1, 0, 1
	v_lshrrev_b32_e32 v1, 31, v40
	v_cmp_ne_u16_e32 vcc, 0, v1
	v_and_b32_e32 v54, 0x300, v0
	v_bfe_i32 v53, v53, 0, 1
	v_cndmask_b32_e64 v1, 0, -1, vcc
	v_or_b32_sdwa v0, v54, v41 dst_sel:DWORD dst_unused:UNUSED_PAD src0_sel:DWORD src1_sel:BYTE_3
	v_bfe_i32 v52, v57, 4, 1
	v_lshlrev_b16_e32 v53, 8, v53
	v_lshlrev_b16_e32 v62, 8, v1
	v_lshlrev_b32_e32 v0, 3, v0
	v_or_b32_sdwa v57, v52, v53 dst_sel:DWORD dst_unused:UNUSED_PAD src0_sel:BYTE_0 src1_sel:DWORD
	v_or_b32_sdwa v1, v56, v62 dst_sel:WORD_1 dst_unused:UNUSED_PAD src0_sel:BYTE_0 src1_sel:DWORD
	v_lshlrev_b16_e32 v2, 8, v2
	v_or_b32_sdwa v57, v57, v1 dst_sel:DWORD dst_unused:UNUSED_PAD src0_sel:WORD_0 src1_sel:DWORD
	global_load_dwordx2 v[0:1], v0, s[20:21]
	v_lshlrev_b16_e32 v7, 8, v7
	s_waitcnt vmcnt(0)
	v_xor_b32_e32 v0, v0, v50
	v_and_b32_e32 v50, 0xffffff00, v0
	v_sub_i16 v5, v50, v5 clamp
	v_lshlrev_b16_e32 v50, 8, v0
	v_and_b32_e32 v5, 0xffffff00, v5
	v_sub_i16 v2, v50, v2 clamp
	v_or_b32_sdwa v2, v2, v5 dst_sel:DWORD dst_unused:UNUSED_PAD src0_sel:BYTE_1 src1_sel:DWORD
	v_and_b32_sdwa v5, v0, s33 dst_sel:DWORD dst_unused:UNUSED_PAD src0_sel:WORD_1 src1_sel:DWORD
	v_sub_i16 v5, v5, v51 clamp
	v_lshlrev_b16_sdwa v0, v35, v0 dst_sel:DWORD dst_unused:UNUSED_PAD src0_sel:DWORD src1_sel:WORD_1
	v_and_b32_e32 v5, 0xffffff00, v5
	v_sub_i16 v0, v0, v7 clamp
	v_or_b32_sdwa v0, v0, v5 dst_sel:WORD_1 dst_unused:UNUSED_PAD src0_sel:BYTE_1 src1_sel:DWORD
	v_xor_b32_e32 v1, v1, v57
	v_or_b32_sdwa v0, v2, v0 dst_sel:DWORD dst_unused:UNUSED_PAD src0_sel:WORD_0 src1_sel:DWORD
	v_and_b32_e32 v2, 0xffffff00, v1
	v_sub_i16 v2, v2, v53 clamp
	v_lshlrev_b16_e32 v5, 8, v1
	v_lshlrev_b16_e32 v7, 8, v52
	v_and_b32_e32 v2, 0xffffff00, v2
	v_sub_i16 v5, v5, v7 clamp
	v_or_b32_sdwa v2, v5, v2 dst_sel:DWORD dst_unused:UNUSED_PAD src0_sel:BYTE_1 src1_sel:DWORD
	v_and_b32_sdwa v5, v1, s33 dst_sel:DWORD dst_unused:UNUSED_PAD src0_sel:WORD_1 src1_sel:DWORD
	v_sub_i16 v5, v5, v62 clamp
	v_lshlrev_b16_sdwa v1, v35, v1 dst_sel:DWORD dst_unused:UNUSED_PAD src0_sel:DWORD src1_sel:WORD_1
	v_lshlrev_b16_e32 v7, 8, v56
	v_and_b32_e32 v5, 0xffffff00, v5
	v_sub_i16 v1, v1, v7 clamp
	v_or_b32_sdwa v1, v1, v5 dst_sel:WORD_1 dst_unused:UNUSED_PAD src0_sel:BYTE_1 src1_sel:DWORD
	v_dot4c_i32_i8_e32 v6, v0, v3
	v_or_b32_sdwa v1, v2, v1 dst_sel:DWORD dst_unused:UNUSED_PAD src0_sel:WORD_0 src1_sel:DWORD
	v_dot4c_i32_i8_e32 v6, v1, v30
	global_load_ushort v0, v[10:11], off
	global_load_ubyte v1, v[8:9], off offset:74
	global_load_ubyte v2, v[22:23], off offset:74
	v_add_u32_e32 v7, v32, v31
	v_lshrrev_b32_e32 v30, 31, v7
	v_add_u32_e32 v7, v7, v30
	v_ashrrev_i32_e32 v7, 1, v7
	s_waitcnt vmcnt(1)
	v_lshrrev_b32_e32 v57, 4, v1
	s_waitcnt vmcnt(0)
	v_lshrrev_b32_e32 v56, 4, v2
	v_and_b32_e32 v63, 15, v1
	v_mul_lo_u32 v5, v6, v56
	v_add_u32_e32 v6, v6, v49
	v_mul_lo_u32 v1, v31, v63
	v_mul_lo_u32 v3, v32, v57
	v_lshrrev_b32_e32 v30, 31, v6
	v_and_b32_e32 v62, 15, v2
	v_add_u32_e32 v6, v6, v30
	v_add3_u32 v1, v3, v1, v7
	v_mul_lo_u32 v2, v49, v62
	v_ashrrev_i32_e32 v6, 1, v6
	v_ashrrev_i32_e32 v3, 31, v1
	v_add3_u32 v2, v5, v2, v6
	v_lshrrev_b32_e32 v3, 30, v3
	v_add_u32_e32 v1, v1, v3
	v_ashrrev_i32_e32 v3, 31, v2
	v_lshrrev_b32_e32 v3, 30, v3
	v_add_u32_e32 v2, v2, v3
	v_ashrrev_i32_e32 v1, 2, v1
	v_ashrrev_i32_e32 v2, 2, v2
	v_cvt_f32_f16_e32 v31, v0
	v_cvt_f32_i32_e32 v7, v2
	v_cvt_f32_i32_e32 v6, v1
	scratch_load_dwordx4 v[0:3], off, off
	v_cvt_f32_f16_e32 v30, v48
	v_pk_mul_f32 v[4:5], v[4:5], v[30:31] op_sel_hi:[0,1]
	s_waitcnt vmcnt(0)
	v_pk_fma_f32 v[0:1], v[4:5], v[6:7], v[0:1]
	v_add_u32_e32 v4, s9, v34
	v_mad_u64_u32 v[4:5], s[34:35], v4, 36, s[24:25]
	v_mad_u64_u32 v[52:53], s[34:35], v14, 36, v[4:5]
	global_load_dword v64, v[52:53], off offset:32
	global_load_dwordx4 v[4:7], v[52:53], off offset:16
	global_load_dwordx4 v[48:51], v[52:53], off
	v_mov_b32_e32 v53, 0
	s_waitcnt vmcnt(0)
	v_cvt_f32_f16_e32 v32, v48
	global_load_ushort v48, v[28:29], off offset:4
	global_load_ushort v52, v[28:29], off offset:36
	v_dot4c_i32_i8_e32 v53, v42, v49
	v_dot4c_i32_i8_e32 v53, v43, v50
	v_dot4c_i32_i8_e32 v53, v44, v51
	v_dot4c_i32_i8_e32 v53, v45, v4
	s_waitcnt vmcnt(1)
	v_and_b32_sdwa v42, s30, v48 dst_sel:DWORD dst_unused:UNUSED_PAD src0_sel:DWORD src1_sel:BYTE_0
	s_waitcnt vmcnt(0)
	v_and_b32_sdwa v43, s30, v52 dst_sel:DWORD dst_unused:UNUSED_PAD src0_sel:DWORD src1_sel:BYTE_0
	v_bfe_u32 v65, v43, 3, 1
	v_or_b32_e32 v42, v46, v42
	v_lshlrev_b32_e32 v44, 5, v43
	v_lshrrev_b32_e32 v46, 1, v43
	v_cmp_ne_u16_e32 vcc, 0, v65
	v_and_b32_e32 v45, 1, v52
	v_bfe_i32 v46, v46, 0, 1
	v_lshrrev_b16_e32 v44, 7, v44
	v_cndmask_b32_e64 v65, 0, -1, vcc
	v_sub_u16_e32 v45, 0, v45
	v_bfe_i32 v44, v44, 0, 1
	v_lshlrev_b16_e32 v46, 8, v46
	v_lshlrev_b16_e32 v65, 8, v65
	v_or_b32_sdwa v66, v45, v46 dst_sel:DWORD dst_unused:UNUSED_PAD src0_sel:BYTE_0 src1_sel:DWORD
	v_or_b32_sdwa v67, v44, v65 dst_sel:WORD_1 dst_unused:UNUSED_PAD src0_sel:BYTE_0 src1_sel:DWORD
	v_bfe_i32 v68, v43, 4, 1
	v_or_b32_sdwa v66, v66, v67 dst_sel:DWORD dst_unused:UNUSED_PAD src0_sel:WORD_0 src1_sel:DWORD
	v_lshlrev_b32_e32 v67, 1, v43
	v_lshrrev_b32_e32 v69, 5, v43
	v_lshrrev_b32_e32 v43, 7, v43
	v_cmp_ne_u16_e32 vcc, 0, v43
	v_bfe_i32 v69, v69, 0, 1
	v_lshrrev_b16_e32 v67, 7, v67
	v_cndmask_b32_e64 v43, 0, -1, vcc
	v_bfe_i32 v67, v67, 0, 1
	v_lshlrev_b16_e32 v69, 8, v69
	v_lshlrev_b16_e32 v71, 8, v43
	v_lshlrev_b32_e32 v42, 3, v42
	v_or_b32_sdwa v70, v68, v69 dst_sel:DWORD dst_unused:UNUSED_PAD src0_sel:BYTE_0 src1_sel:DWORD
	v_or_b32_sdwa v43, v67, v71 dst_sel:WORD_1 dst_unused:UNUSED_PAD src0_sel:BYTE_0 src1_sel:DWORD
	v_lshlrev_b16_e32 v45, 8, v45
	v_or_b32_sdwa v70, v70, v43 dst_sel:DWORD dst_unused:UNUSED_PAD src0_sel:WORD_0 src1_sel:DWORD
	global_load_dwordx2 v[42:43], v42, s[20:21]
	v_lshlrev_b16_e32 v44, 8, v44
	s_waitcnt vmcnt(0)
	v_xor_b32_e32 v42, v42, v66
	v_and_b32_e32 v66, 0xffffff00, v42
	v_sub_i16 v46, v66, v46 clamp
	v_lshlrev_b16_e32 v66, 8, v42
	v_and_b32_e32 v46, 0xffffff00, v46
	v_sub_i16 v45, v66, v45 clamp
	v_or_b32_sdwa v45, v45, v46 dst_sel:DWORD dst_unused:UNUSED_PAD src0_sel:BYTE_1 src1_sel:DWORD
	v_and_b32_sdwa v46, v42, s33 dst_sel:DWORD dst_unused:UNUSED_PAD src0_sel:WORD_1 src1_sel:DWORD
	v_sub_i16 v46, v46, v65 clamp
	v_lshlrev_b16_sdwa v42, v35, v42 dst_sel:DWORD dst_unused:UNUSED_PAD src0_sel:DWORD src1_sel:WORD_1
	v_and_b32_e32 v46, 0xffffff00, v46
	v_sub_i16 v42, v42, v44 clamp
	v_xor_b32_e32 v43, v43, v70
	v_or_b32_sdwa v42, v42, v46 dst_sel:WORD_1 dst_unused:UNUSED_PAD src0_sel:BYTE_1 src1_sel:DWORD
	v_and_b32_e32 v44, 0xffffff00, v43
	v_or_b32_sdwa v42, v45, v42 dst_sel:DWORD dst_unused:UNUSED_PAD src0_sel:WORD_0 src1_sel:DWORD
	v_sub_i16 v44, v44, v69 clamp
	v_lshlrev_b16_e32 v45, 8, v43
	v_lshlrev_b16_e32 v46, 8, v68
	v_and_b32_e32 v44, 0xffffff00, v44
	v_sub_i16 v45, v45, v46 clamp
	v_or_b32_sdwa v44, v45, v44 dst_sel:DWORD dst_unused:UNUSED_PAD src0_sel:BYTE_1 src1_sel:DWORD
	v_and_b32_sdwa v45, v43, s33 dst_sel:DWORD dst_unused:UNUSED_PAD src0_sel:WORD_1 src1_sel:DWORD
	v_sub_i16 v45, v45, v71 clamp
	v_lshlrev_b16_sdwa v43, v35, v43 dst_sel:DWORD dst_unused:UNUSED_PAD src0_sel:DWORD src1_sel:WORD_1
	v_lshlrev_b16_e32 v46, 8, v67
	v_and_b32_e32 v45, 0xffffff00, v45
	v_sub_i16 v43, v43, v46 clamp
	v_or_b32_sdwa v43, v43, v45 dst_sel:WORD_1 dst_unused:UNUSED_PAD src0_sel:BYTE_1 src1_sel:DWORD
	v_lshlrev_b16_e32 v46, 7, v52
	v_or_b32_sdwa v43, v44, v43 dst_sel:DWORD dst_unused:UNUSED_PAD src0_sel:WORD_0 src1_sel:DWORD
	v_mov_b32_e32 v44, 0
	v_dot4c_i32_i8_e32 v44, v42, v5
	v_dot4c_i32_i8_e32 v44, v43, v6
	v_lshrrev_b16_e32 v43, 8, v52
	v_or_b32_sdwa v42, v47, v48 dst_sel:DWORD dst_unused:UNUSED_PAD src0_sel:DWORD src1_sel:BYTE_1
	v_bfe_u32 v48, v43, 3, 1
	v_lshlrev_b32_e32 v45, 5, v43
	v_lshrrev_b32_e32 v47, 1, v43
	v_cmp_ne_u16_e32 vcc, 0, v48
	v_bfe_i32 v47, v47, 0, 1
	v_lshrrev_b16_e32 v45, 7, v45
	v_cndmask_b32_e64 v48, 0, -1, vcc
	v_ashrrev_i16_e32 v46, 15, v46
	v_bfe_i32 v45, v45, 0, 1
	v_lshlrev_b16_e32 v47, 8, v47
	v_lshlrev_b16_e32 v48, 8, v48
	v_or_b32_sdwa v52, v46, v47 dst_sel:DWORD dst_unused:UNUSED_PAD src0_sel:BYTE_0 src1_sel:DWORD
	v_or_b32_sdwa v65, v45, v48 dst_sel:WORD_1 dst_unused:UNUSED_PAD src0_sel:BYTE_0 src1_sel:DWORD
	v_bfe_i32 v66, v43, 4, 1
	v_or_b32_sdwa v52, v52, v65 dst_sel:DWORD dst_unused:UNUSED_PAD src0_sel:WORD_0 src1_sel:DWORD
	v_lshlrev_b32_e32 v65, 1, v43
	v_lshrrev_b32_e32 v67, 5, v43
	v_lshrrev_b32_e32 v43, 7, v43
	v_cmp_ne_u16_e32 vcc, 0, v43
	v_bfe_i32 v67, v67, 0, 1
	v_lshrrev_b16_e32 v65, 7, v65
	v_cndmask_b32_e64 v43, 0, -1, vcc
	v_bfe_i32 v65, v65, 0, 1
	v_lshlrev_b16_e32 v67, 8, v67
	v_lshlrev_b16_e32 v69, 8, v43
	v_lshlrev_b32_e32 v42, 3, v42
	v_or_b32_sdwa v68, v66, v67 dst_sel:DWORD dst_unused:UNUSED_PAD src0_sel:BYTE_0 src1_sel:DWORD
	v_or_b32_sdwa v43, v65, v69 dst_sel:WORD_1 dst_unused:UNUSED_PAD src0_sel:BYTE_0 src1_sel:DWORD
	v_lshlrev_b16_e32 v46, 8, v46
	v_or_b32_sdwa v68, v68, v43 dst_sel:DWORD dst_unused:UNUSED_PAD src0_sel:WORD_0 src1_sel:DWORD
	global_load_dwordx2 v[42:43], v42, s[20:21]
	v_lshlrev_b16_e32 v45, 8, v45
	s_waitcnt vmcnt(0)
	v_xor_b32_e32 v42, v42, v52
	v_and_b32_e32 v52, 0xffffff00, v42
	v_sub_i16 v47, v52, v47 clamp
	v_lshlrev_b16_e32 v52, 8, v42
	v_and_b32_e32 v47, 0xffffff00, v47
	v_sub_i16 v46, v52, v46 clamp
	v_or_b32_sdwa v46, v46, v47 dst_sel:DWORD dst_unused:UNUSED_PAD src0_sel:BYTE_1 src1_sel:DWORD
	v_and_b32_sdwa v47, v42, s33 dst_sel:DWORD dst_unused:UNUSED_PAD src0_sel:WORD_1 src1_sel:DWORD
	v_sub_i16 v47, v47, v48 clamp
	v_lshlrev_b16_sdwa v42, v35, v42 dst_sel:DWORD dst_unused:UNUSED_PAD src0_sel:DWORD src1_sel:WORD_1
	v_and_b32_e32 v47, 0xffffff00, v47
	v_sub_i16 v42, v42, v45 clamp
	v_xor_b32_e32 v43, v43, v68
	v_or_b32_sdwa v42, v42, v47 dst_sel:WORD_1 dst_unused:UNUSED_PAD src0_sel:BYTE_1 src1_sel:DWORD
	v_and_b32_e32 v45, 0xffffff00, v43
	v_or_b32_sdwa v42, v46, v42 dst_sel:DWORD dst_unused:UNUSED_PAD src0_sel:WORD_0 src1_sel:DWORD
	v_sub_i16 v45, v45, v67 clamp
	v_lshlrev_b16_e32 v46, 8, v43
	v_lshlrev_b16_e32 v47, 8, v66
	v_and_b32_e32 v45, 0xffffff00, v45
	v_sub_i16 v46, v46, v47 clamp
	v_or_b32_sdwa v45, v46, v45 dst_sel:DWORD dst_unused:UNUSED_PAD src0_sel:BYTE_1 src1_sel:DWORD
	v_and_b32_sdwa v46, v43, s33 dst_sel:DWORD dst_unused:UNUSED_PAD src0_sel:WORD_1 src1_sel:DWORD
	v_sub_i16 v46, v46, v69 clamp
	v_lshlrev_b16_sdwa v43, v35, v43 dst_sel:DWORD dst_unused:UNUSED_PAD src0_sel:DWORD src1_sel:WORD_1
	v_lshlrev_b16_e32 v47, 8, v65
	v_and_b32_e32 v46, 0xffffff00, v46
	v_sub_i16 v43, v43, v47 clamp
	v_or_b32_sdwa v43, v43, v46 dst_sel:WORD_1 dst_unused:UNUSED_PAD src0_sel:BYTE_1 src1_sel:DWORD
	v_dot4c_i32_i8_e32 v44, v42, v7
	v_or_b32_sdwa v43, v45, v43 dst_sel:DWORD dst_unused:UNUSED_PAD src0_sel:WORD_0 src1_sel:DWORD
	global_load_ushort v45, v[26:27], off offset:4
	global_load_ushort v46, v[26:27], off offset:36
	v_dot4c_i32_i8_e32 v44, v43, v64
	v_mov_b32_e32 v47, 0
	v_dot4c_i32_i8_e32 v47, v58, v49
	v_dot4c_i32_i8_e32 v47, v59, v50
	v_dot4c_i32_i8_e32 v47, v55, v51
	v_dot4c_i32_i8_e32 v47, v60, v4
	s_waitcnt vmcnt(1)
	v_and_b32_sdwa v4, s30, v45 dst_sel:DWORD dst_unused:UNUSED_PAD src0_sel:DWORD src1_sel:BYTE_0
	s_waitcnt vmcnt(0)
	v_and_b32_sdwa v42, s30, v46 dst_sel:DWORD dst_unused:UNUSED_PAD src0_sel:DWORD src1_sel:BYTE_0
	v_lshlrev_b32_e32 v43, 5, v42
	v_lshrrev_b16_e32 v43, 7, v43
	v_bfe_i32 v50, v43, 0, 1
	v_bfe_u32 v43, v42, 3, 1
	v_lshrrev_b32_e32 v49, 1, v42
	v_cmp_ne_u16_e32 vcc, 0, v43
	v_and_b32_e32 v48, 1, v46
	v_bfe_i32 v49, v49, 0, 1
	v_cndmask_b32_e64 v43, 0, -1, vcc
	v_sub_u16_e32 v48, 0, v48
	v_lshlrev_b16_e32 v49, 8, v49
	v_lshlrev_b16_e32 v52, 8, v43
	v_or_b32_sdwa v51, v48, v49 dst_sel:DWORD dst_unused:UNUSED_PAD src0_sel:BYTE_0 src1_sel:DWORD
	v_or_b32_sdwa v43, v50, v52 dst_sel:WORD_1 dst_unused:UNUSED_PAD src0_sel:BYTE_0 src1_sel:DWORD
	v_bfe_i32 v55, v42, 4, 1
	v_or_b32_sdwa v51, v51, v43 dst_sel:DWORD dst_unused:UNUSED_PAD src0_sel:WORD_0 src1_sel:DWORD
	v_lshlrev_b32_e32 v43, 1, v42
	v_lshrrev_b32_e32 v58, 5, v42
	v_lshrrev_b32_e32 v42, 7, v42
	v_cmp_ne_u16_e32 vcc, 0, v42
	v_bfe_i32 v58, v58, 0, 1
	v_lshrrev_b16_e32 v43, 7, v43
	v_cndmask_b32_e64 v42, 0, -1, vcc
	v_or_b32_e32 v4, v61, v4
	v_bfe_i32 v59, v43, 0, 1
	v_lshlrev_b16_e32 v58, 8, v58
	v_lshlrev_b16_e32 v60, 8, v42
	v_lshlrev_b32_e32 v4, 3, v4
	v_or_b32_sdwa v43, v55, v58 dst_sel:DWORD dst_unused:UNUSED_PAD src0_sel:BYTE_0 src1_sel:DWORD
	v_or_b32_sdwa v42, v59, v60 dst_sel:WORD_1 dst_unused:UNUSED_PAD src0_sel:BYTE_0 src1_sel:DWORD
	v_lshlrev_b16_e32 v48, 8, v48
	v_or_b32_sdwa v61, v43, v42 dst_sel:DWORD dst_unused:UNUSED_PAD src0_sel:WORD_0 src1_sel:DWORD
	global_load_dwordx2 v[42:43], v4, s[20:21]
	s_waitcnt vmcnt(0)
	v_xor_b32_e32 v4, v42, v51
	v_and_b32_e32 v42, 0xffffff00, v4
	v_sub_i16 v42, v42, v49 clamp
	v_lshlrev_b16_e32 v49, 8, v4
	v_and_b32_e32 v42, 0xffffff00, v42
	v_sub_i16 v48, v49, v48 clamp
	v_or_b32_sdwa v42, v48, v42 dst_sel:DWORD dst_unused:UNUSED_PAD src0_sel:BYTE_1 src1_sel:DWORD
	v_and_b32_sdwa v48, v4, s33 dst_sel:DWORD dst_unused:UNUSED_PAD src0_sel:WORD_1 src1_sel:DWORD
	v_sub_i16 v48, v48, v52 clamp
	v_lshlrev_b16_sdwa v4, v35, v4 dst_sel:DWORD dst_unused:UNUSED_PAD src0_sel:DWORD src1_sel:WORD_1
	v_lshlrev_b16_e32 v49, 8, v50
	v_and_b32_e32 v48, 0xffffff00, v48
	v_sub_i16 v4, v4, v49 clamp
	v_or_b32_sdwa v4, v4, v48 dst_sel:WORD_1 dst_unused:UNUSED_PAD src0_sel:BYTE_1 src1_sel:DWORD
	v_lshlrev_b16_e32 v49, 8, v55
	v_or_b32_sdwa v4, v42, v4 dst_sel:DWORD dst_unused:UNUSED_PAD src0_sel:WORD_0 src1_sel:DWORD
	v_xor_b32_e32 v42, v43, v61
	v_and_b32_e32 v43, 0xffffff00, v42
	v_sub_i16 v43, v43, v58 clamp
	v_lshlrev_b16_e32 v48, 8, v42
	v_and_b32_e32 v43, 0xffffff00, v43
	v_sub_i16 v48, v48, v49 clamp
	v_or_b32_sdwa v43, v48, v43 dst_sel:DWORD dst_unused:UNUSED_PAD src0_sel:BYTE_1 src1_sel:DWORD
	v_and_b32_sdwa v48, v42, s33 dst_sel:DWORD dst_unused:UNUSED_PAD src0_sel:WORD_1 src1_sel:DWORD
	v_sub_i16 v48, v48, v60 clamp
	v_lshlrev_b16_sdwa v42, v35, v42 dst_sel:DWORD dst_unused:UNUSED_PAD src0_sel:DWORD src1_sel:WORD_1
	v_lshlrev_b16_e32 v49, 8, v59
	v_and_b32_e32 v48, 0xffffff00, v48
	v_sub_i16 v42, v42, v49 clamp
	v_or_b32_sdwa v42, v42, v48 dst_sel:WORD_1 dst_unused:UNUSED_PAD src0_sel:BYTE_1 src1_sel:DWORD
	s_nop 0
	v_or_b32_sdwa v42, v43, v42 dst_sel:DWORD dst_unused:UNUSED_PAD src0_sel:WORD_0 src1_sel:DWORD
	v_mov_b32_e32 v43, 0
	v_dot4c_i32_i8_e32 v43, v4, v5
	v_lshrrev_b16_e32 v5, 8, v46
	v_dot4c_i32_i8_e32 v43, v42, v6
	v_lshlrev_b16_e32 v42, 7, v46
	v_bfe_u32 v46, v5, 3, 1
	v_or_b32_sdwa v4, v54, v45 dst_sel:DWORD dst_unused:UNUSED_PAD src0_sel:DWORD src1_sel:BYTE_1
	v_lshlrev_b32_e32 v6, 5, v5
	v_lshrrev_b32_e32 v45, 1, v5
	v_cmp_ne_u16_e32 vcc, 0, v46
	v_bfe_i32 v45, v45, 0, 1
	v_lshrrev_b16_e32 v6, 7, v6
	v_cndmask_b32_e64 v46, 0, -1, vcc
	v_ashrrev_i16_e32 v42, 15, v42
	v_bfe_i32 v6, v6, 0, 1
	v_lshlrev_b16_e32 v45, 8, v45
	v_lshlrev_b16_e32 v46, 8, v46
	v_or_b32_sdwa v48, v42, v45 dst_sel:DWORD dst_unused:UNUSED_PAD src0_sel:BYTE_0 src1_sel:DWORD
	v_or_b32_sdwa v49, v6, v46 dst_sel:WORD_1 dst_unused:UNUSED_PAD src0_sel:BYTE_0 src1_sel:DWORD
	v_bfe_i32 v50, v5, 4, 1
	v_or_b32_sdwa v48, v48, v49 dst_sel:DWORD dst_unused:UNUSED_PAD src0_sel:WORD_0 src1_sel:DWORD
	v_lshlrev_b32_e32 v49, 1, v5
	v_lshrrev_b32_e32 v51, 5, v5
	v_lshrrev_b32_e32 v5, 7, v5
	v_cmp_ne_u16_e32 vcc, 0, v5
	v_bfe_i32 v51, v51, 0, 1
	v_lshrrev_b16_e32 v49, 7, v49
	v_cndmask_b32_e64 v5, 0, -1, vcc
	v_bfe_i32 v49, v49, 0, 1
	v_lshlrev_b16_e32 v51, 8, v51
	v_lshlrev_b16_e32 v54, 8, v5
	v_lshlrev_b32_e32 v4, 3, v4
	v_or_b32_sdwa v52, v50, v51 dst_sel:DWORD dst_unused:UNUSED_PAD src0_sel:BYTE_0 src1_sel:DWORD
	v_or_b32_sdwa v5, v49, v54 dst_sel:WORD_1 dst_unused:UNUSED_PAD src0_sel:BYTE_0 src1_sel:DWORD
	v_lshlrev_b16_e32 v42, 8, v42
	v_or_b32_sdwa v52, v52, v5 dst_sel:DWORD dst_unused:UNUSED_PAD src0_sel:WORD_0 src1_sel:DWORD
	global_load_dwordx2 v[4:5], v4, s[20:21]
	v_lshlrev_b16_e32 v6, 8, v6
	s_waitcnt vmcnt(0)
	v_xor_b32_e32 v4, v4, v48
	v_and_b32_e32 v48, 0xffffff00, v4
	v_sub_i16 v45, v48, v45 clamp
	v_lshlrev_b16_e32 v48, 8, v4
	v_and_b32_e32 v45, 0xffffff00, v45
	v_sub_i16 v42, v48, v42 clamp
	v_or_b32_sdwa v42, v42, v45 dst_sel:DWORD dst_unused:UNUSED_PAD src0_sel:BYTE_1 src1_sel:DWORD
	v_and_b32_sdwa v45, v4, s33 dst_sel:DWORD dst_unused:UNUSED_PAD src0_sel:WORD_1 src1_sel:DWORD
	v_sub_i16 v45, v45, v46 clamp
	v_lshlrev_b16_sdwa v4, v35, v4 dst_sel:DWORD dst_unused:UNUSED_PAD src0_sel:DWORD src1_sel:WORD_1
	v_and_b32_e32 v45, 0xffffff00, v45
	v_sub_i16 v4, v4, v6 clamp
	v_xor_b32_e32 v5, v5, v52
	v_or_b32_sdwa v4, v4, v45 dst_sel:WORD_1 dst_unused:UNUSED_PAD src0_sel:BYTE_1 src1_sel:DWORD
	v_and_b32_e32 v6, 0xffffff00, v5
	v_or_b32_sdwa v4, v42, v4 dst_sel:DWORD dst_unused:UNUSED_PAD src0_sel:WORD_0 src1_sel:DWORD
	v_sub_i16 v6, v6, v51 clamp
	v_lshlrev_b16_e32 v42, 8, v5
	v_lshlrev_b16_e32 v45, 8, v50
	v_and_b32_e32 v6, 0xffffff00, v6
	v_sub_i16 v42, v42, v45 clamp
	v_or_b32_sdwa v6, v42, v6 dst_sel:DWORD dst_unused:UNUSED_PAD src0_sel:BYTE_1 src1_sel:DWORD
	v_and_b32_sdwa v42, v5, s33 dst_sel:DWORD dst_unused:UNUSED_PAD src0_sel:WORD_1 src1_sel:DWORD
	v_sub_i16 v42, v42, v54 clamp
	v_lshlrev_b16_sdwa v5, v35, v5 dst_sel:DWORD dst_unused:UNUSED_PAD src0_sel:DWORD src1_sel:WORD_1
	v_lshlrev_b16_e32 v45, 8, v49
	v_and_b32_e32 v42, 0xffffff00, v42
	v_sub_i16 v5, v5, v45 clamp
	v_or_b32_sdwa v5, v5, v42 dst_sel:WORD_1 dst_unused:UNUSED_PAD src0_sel:BYTE_1 src1_sel:DWORD
	v_dot4c_i32_i8_e32 v43, v4, v7
	v_or_b32_sdwa v5, v6, v5 dst_sel:DWORD dst_unused:UNUSED_PAD src0_sel:WORD_0 src1_sel:DWORD
	v_dot4c_i32_i8_e32 v43, v5, v64
	v_mul_lo_u32 v6, v44, v57
	v_mul_lo_u32 v4, v53, v63
	;; [unrolled: 1-line block ×4, first 2 shown]
	v_add_u32_e32 v42, v43, v47
	v_add_u32_e32 v43, v44, v53
	v_lshrrev_b32_e32 v44, 31, v43
	v_add_u32_e32 v43, v43, v44
	v_ashrrev_i32_e32 v43, 1, v43
	v_lshrrev_b32_e32 v44, 31, v42
	v_add3_u32 v4, v6, v4, v43
	v_add_u32_e32 v42, v42, v44
	v_ashrrev_i32_e32 v6, 31, v4
	v_ashrrev_i32_e32 v42, 1, v42
	v_lshrrev_b32_e32 v6, 30, v6
	v_add3_u32 v5, v7, v5, v42
	v_add_u32_e32 v4, v4, v6
	v_ashrrev_i32_e32 v6, 2, v4
	v_ashrrev_i32_e32 v4, 31, v5
	v_lshrrev_b32_e32 v4, 30, v4
	v_add_u32_e32 v4, v5, v4
	v_ashrrev_i32_e32 v7, 2, v4
	v_cvt_f32_i32_e32 v7, v7
	v_cvt_f32_i32_e32 v6, v6
	v_pk_mul_f32 v[4:5], v[32:33], v[30:31] op_sel_hi:[0,1]
	v_add_u32_e32 v33, 8, v33
	v_pk_fma_f32 v[2:3], v[4:5], v[6:7], v[2:3]
	scratch_store_dwordx4 off, v[0:3], off
	s_nop 1
	v_add_u32_e32 v0, s22, v34
	v_mad_u64_u32 v[0:1], s[34:35], v0, 36, s[24:25]
	v_mad_u64_u32 v[42:43], s[34:35], v14, 36, v[0:1]
	global_load_dword v30, v[42:43], off offset:32
	global_load_dwordx4 v[0:3], v[42:43], off offset:16
	global_load_dwordx4 v[4:7], v[42:43], off
	s_nop 0
	global_load_ushort v43, v[28:29], off offset:2
	global_load_ushort v32, v[28:29], off offset:4
	global_load_ubyte v50, v[8:9], off offset:66
	global_load_ushort v46, v[28:29], off offset:34
	global_load_ushort v51, v[28:29], off offset:36
	s_waitcnt vmcnt(4)
	v_lshrrev_b16_e32 v42, 8, v43
	v_and_b32_sdwa v43, s30, v43 dst_sel:DWORD dst_unused:UNUSED_PAD src0_sel:DWORD src1_sel:BYTE_0
	s_waitcnt vmcnt(2)
	v_lshlrev_b32_e32 v44, 8, v50
	v_and_or_b32 v43, v44, s31, v43
	s_waitcnt vmcnt(1)
	v_and_b32_sdwa v44, s30, v46 dst_sel:DWORD dst_unused:UNUSED_PAD src0_sel:DWORD src1_sel:BYTE_0
	v_lshlrev_b32_e32 v45, 5, v44
	v_lshrrev_b16_e32 v45, 7, v45
	v_bfe_i32 v49, v45, 0, 1
	v_bfe_u32 v45, v44, 3, 1
	v_lshrrev_b32_e32 v48, 1, v44
	v_cmp_ne_u16_e32 vcc, 0, v45
	v_and_b32_e32 v47, 1, v46
	v_bfe_i32 v48, v48, 0, 1
	v_cndmask_b32_e64 v45, 0, -1, vcc
	v_sub_u16_e32 v47, 0, v47
	v_lshlrev_b16_e32 v48, 8, v48
	v_lshlrev_b16_e32 v53, 8, v45
	v_or_b32_sdwa v52, v47, v48 dst_sel:DWORD dst_unused:UNUSED_PAD src0_sel:BYTE_0 src1_sel:DWORD
	v_or_b32_sdwa v45, v49, v53 dst_sel:WORD_1 dst_unused:UNUSED_PAD src0_sel:BYTE_0 src1_sel:DWORD
	v_bfe_i32 v54, v44, 4, 1
	v_or_b32_sdwa v52, v52, v45 dst_sel:DWORD dst_unused:UNUSED_PAD src0_sel:WORD_0 src1_sel:DWORD
	v_lshlrev_b32_e32 v45, 1, v44
	v_lshrrev_b32_e32 v55, 5, v44
	v_lshrrev_b32_e32 v44, 7, v44
	v_cmp_ne_u16_e32 vcc, 0, v44
	v_bfe_i32 v55, v55, 0, 1
	v_lshrrev_b16_e32 v45, 7, v45
	v_cndmask_b32_e64 v44, 0, -1, vcc
	v_bfe_i32 v56, v45, 0, 1
	v_lshlrev_b16_e32 v55, 8, v55
	v_lshlrev_b16_e32 v57, 8, v44
	v_lshlrev_b32_e32 v43, 3, v43
	v_or_b32_sdwa v45, v54, v55 dst_sel:DWORD dst_unused:UNUSED_PAD src0_sel:BYTE_0 src1_sel:DWORD
	v_or_b32_sdwa v44, v56, v57 dst_sel:WORD_1 dst_unused:UNUSED_PAD src0_sel:BYTE_0 src1_sel:DWORD
	v_lshlrev_b16_e32 v47, 8, v47
	v_or_b32_sdwa v58, v45, v44 dst_sel:DWORD dst_unused:UNUSED_PAD src0_sel:WORD_0 src1_sel:DWORD
	global_load_dwordx2 v[44:45], v43, s[20:21]
	v_lshrrev_b16_e32 v31, 8, v32
	v_and_b32_sdwa v32, s30, v32 dst_sel:DWORD dst_unused:UNUSED_PAD src0_sel:DWORD src1_sel:BYTE_0
	v_cvt_f32_f16_e32 v4, v4
	s_waitcnt vmcnt(0)
	v_xor_b32_e32 v43, v44, v52
	v_and_b32_e32 v44, 0xffffff00, v43
	v_sub_i16 v44, v44, v48 clamp
	v_lshlrev_b16_e32 v48, 8, v43
	v_and_b32_e32 v44, 0xffffff00, v44
	v_sub_i16 v47, v48, v47 clamp
	v_or_b32_sdwa v44, v47, v44 dst_sel:DWORD dst_unused:UNUSED_PAD src0_sel:BYTE_1 src1_sel:DWORD
	v_and_b32_sdwa v47, v43, s33 dst_sel:DWORD dst_unused:UNUSED_PAD src0_sel:WORD_1 src1_sel:DWORD
	v_sub_i16 v47, v47, v53 clamp
	v_lshlrev_b16_sdwa v43, v35, v43 dst_sel:DWORD dst_unused:UNUSED_PAD src0_sel:DWORD src1_sel:WORD_1
	v_lshlrev_b16_e32 v48, 8, v49
	v_and_b32_e32 v47, 0xffffff00, v47
	v_sub_i16 v43, v43, v48 clamp
	v_or_b32_sdwa v43, v43, v47 dst_sel:WORD_1 dst_unused:UNUSED_PAD src0_sel:BYTE_1 src1_sel:DWORD
	v_lshlrev_b16_e32 v48, 8, v54
	v_or_b32_sdwa v43, v44, v43 dst_sel:DWORD dst_unused:UNUSED_PAD src0_sel:WORD_0 src1_sel:DWORD
	v_xor_b32_e32 v44, v45, v58
	v_and_b32_e32 v45, 0xffffff00, v44
	v_sub_i16 v45, v45, v55 clamp
	v_lshlrev_b16_e32 v47, 8, v44
	v_and_b32_e32 v45, 0xffffff00, v45
	v_sub_i16 v47, v47, v48 clamp
	v_or_b32_sdwa v45, v47, v45 dst_sel:DWORD dst_unused:UNUSED_PAD src0_sel:BYTE_1 src1_sel:DWORD
	v_and_b32_sdwa v47, v44, s33 dst_sel:DWORD dst_unused:UNUSED_PAD src0_sel:WORD_1 src1_sel:DWORD
	v_sub_i16 v47, v47, v57 clamp
	v_lshlrev_b16_sdwa v44, v35, v44 dst_sel:DWORD dst_unused:UNUSED_PAD src0_sel:DWORD src1_sel:WORD_1
	v_lshlrev_b16_e32 v48, 8, v56
	v_and_b32_e32 v47, 0xffffff00, v47
	v_sub_i16 v44, v44, v48 clamp
	v_or_b32_sdwa v44, v44, v47 dst_sel:WORD_1 dst_unused:UNUSED_PAD src0_sel:BYTE_1 src1_sel:DWORD
	v_lshlrev_b32_e32 v47, 6, v50
	v_and_or_b32 v42, v47, s31, v42
	v_lshrrev_b16_e32 v47, 8, v46
	v_lshlrev_b16_e32 v46, 7, v46
	v_bfe_u32 v52, v47, 3, 1
	v_lshlrev_b32_e32 v48, 5, v47
	v_ashrrev_i16_e32 v49, 15, v46
	v_lshrrev_b32_e32 v46, 1, v47
	v_cmp_ne_u16_e32 vcc, 0, v52
	v_bfe_i32 v46, v46, 0, 1
	v_lshrrev_b16_e32 v48, 7, v48
	v_cndmask_b32_e64 v52, 0, -1, vcc
	v_bfe_i32 v48, v48, 0, 1
	v_lshlrev_b16_e32 v53, 8, v46
	v_lshlrev_b16_e32 v52, 8, v52
	v_or_b32_sdwa v46, v49, v53 dst_sel:DWORD dst_unused:UNUSED_PAD src0_sel:BYTE_0 src1_sel:DWORD
	v_or_b32_sdwa v54, v48, v52 dst_sel:WORD_1 dst_unused:UNUSED_PAD src0_sel:BYTE_0 src1_sel:DWORD
	v_lshrrev_b32_e32 v56, 5, v47
	v_or_b32_sdwa v54, v46, v54 dst_sel:DWORD dst_unused:UNUSED_PAD src0_sel:WORD_0 src1_sel:DWORD
	v_lshlrev_b32_e32 v46, 1, v47
	v_lshrrev_b16_e32 v46, 7, v46
	v_bfe_i32 v57, v46, 0, 1
	v_lshrrev_b32_e32 v46, 7, v47
	v_cmp_ne_u16_e32 vcc, 0, v46
	v_bfe_i32 v56, v56, 0, 1
	v_bfe_i32 v55, v47, 4, 1
	v_cndmask_b32_e64 v46, 0, -1, vcc
	v_lshlrev_b16_e32 v56, 8, v56
	v_lshlrev_b16_e32 v58, 8, v46
	v_lshlrev_b32_e32 v42, 3, v42
	v_or_b32_sdwa v47, v55, v56 dst_sel:DWORD dst_unused:UNUSED_PAD src0_sel:BYTE_0 src1_sel:DWORD
	v_or_b32_sdwa v46, v57, v58 dst_sel:WORD_1 dst_unused:UNUSED_PAD src0_sel:BYTE_0 src1_sel:DWORD
	v_lshlrev_b16_e32 v49, 8, v49
	v_or_b32_sdwa v59, v47, v46 dst_sel:DWORD dst_unused:UNUSED_PAD src0_sel:WORD_0 src1_sel:DWORD
	global_load_dwordx2 v[46:47], v42, s[20:21]
	v_lshlrev_b16_e32 v48, 8, v48
	v_or_b32_sdwa v44, v45, v44 dst_sel:DWORD dst_unused:UNUSED_PAD src0_sel:WORD_0 src1_sel:DWORD
	v_mov_b32_e32 v45, 0
	v_dot4c_i32_i8_e32 v45, v43, v5
	v_dot4c_i32_i8_e32 v45, v44, v6
	s_waitcnt vmcnt(0)
	v_xor_b32_e32 v42, v46, v54
	v_and_b32_e32 v46, 0xffffff00, v42
	v_sub_i16 v46, v46, v53 clamp
	v_lshlrev_b16_e32 v53, 8, v42
	v_and_b32_e32 v46, 0xffffff00, v46
	v_sub_i16 v49, v53, v49 clamp
	v_or_b32_sdwa v46, v49, v46 dst_sel:DWORD dst_unused:UNUSED_PAD src0_sel:BYTE_1 src1_sel:DWORD
	v_and_b32_sdwa v49, v42, s33 dst_sel:DWORD dst_unused:UNUSED_PAD src0_sel:WORD_1 src1_sel:DWORD
	v_sub_i16 v49, v49, v52 clamp
	v_lshlrev_b16_sdwa v42, v35, v42 dst_sel:DWORD dst_unused:UNUSED_PAD src0_sel:DWORD src1_sel:WORD_1
	v_and_b32_e32 v49, 0xffffff00, v49
	v_sub_i16 v42, v42, v48 clamp
	v_or_b32_sdwa v42, v42, v49 dst_sel:WORD_1 dst_unused:UNUSED_PAD src0_sel:BYTE_1 src1_sel:DWORD
	v_lshlrev_b16_e32 v49, 8, v55
	v_or_b32_sdwa v42, v46, v42 dst_sel:DWORD dst_unused:UNUSED_PAD src0_sel:WORD_0 src1_sel:DWORD
	v_xor_b32_e32 v46, v47, v59
	v_and_b32_e32 v47, 0xffffff00, v46
	v_sub_i16 v47, v47, v56 clamp
	v_lshlrev_b16_e32 v48, 8, v46
	v_and_b32_e32 v47, 0xffffff00, v47
	v_sub_i16 v48, v48, v49 clamp
	v_or_b32_sdwa v47, v48, v47 dst_sel:DWORD dst_unused:UNUSED_PAD src0_sel:BYTE_1 src1_sel:DWORD
	v_and_b32_sdwa v48, v46, s33 dst_sel:DWORD dst_unused:UNUSED_PAD src0_sel:WORD_1 src1_sel:DWORD
	v_sub_i16 v48, v48, v58 clamp
	v_lshlrev_b16_sdwa v46, v35, v46 dst_sel:DWORD dst_unused:UNUSED_PAD src0_sel:DWORD src1_sel:WORD_1
	v_lshlrev_b16_e32 v49, 8, v57
	v_and_b32_e32 v48, 0xffffff00, v48
	v_sub_i16 v46, v46, v49 clamp
	v_or_b32_sdwa v46, v46, v48 dst_sel:WORD_1 dst_unused:UNUSED_PAD src0_sel:BYTE_1 src1_sel:DWORD
	v_and_b32_e32 v49, 1, v51
	v_or_b32_sdwa v46, v47, v46 dst_sel:DWORD dst_unused:UNUSED_PAD src0_sel:WORD_0 src1_sel:DWORD
	v_lshlrev_b32_e32 v47, 4, v50
	v_and_or_b32 v32, v47, s31, v32
	v_and_b32_sdwa v47, s30, v51 dst_sel:DWORD dst_unused:UNUSED_PAD src0_sel:DWORD src1_sel:BYTE_0
	v_lshlrev_b32_e32 v48, 5, v47
	v_lshrrev_b16_e32 v48, 7, v48
	v_bfe_i32 v53, v48, 0, 1
	v_bfe_u32 v48, v47, 3, 1
	v_sub_u16_e32 v52, 0, v49
	v_lshrrev_b32_e32 v49, 1, v47
	v_cmp_ne_u16_e32 vcc, 0, v48
	v_bfe_i32 v49, v49, 0, 1
	v_lshlrev_b16_e32 v54, 8, v49
	v_cndmask_b32_e64 v48, 0, -1, vcc
	v_lshlrev_b16_e32 v55, 8, v48
	v_or_b32_sdwa v49, v52, v54 dst_sel:DWORD dst_unused:UNUSED_PAD src0_sel:BYTE_0 src1_sel:DWORD
	v_or_b32_sdwa v48, v53, v55 dst_sel:WORD_1 dst_unused:UNUSED_PAD src0_sel:BYTE_0 src1_sel:DWORD
	v_bfe_i32 v57, v47, 4, 1
	v_or_b32_sdwa v56, v49, v48 dst_sel:DWORD dst_unused:UNUSED_PAD src0_sel:WORD_0 src1_sel:DWORD
	v_lshlrev_b32_e32 v48, 1, v47
	v_lshrrev_b32_e32 v49, 5, v47
	v_lshrrev_b32_e32 v47, 7, v47
	v_cmp_ne_u16_e32 vcc, 0, v47
	v_bfe_i32 v49, v49, 0, 1
	v_lshrrev_b16_e32 v48, 7, v48
	v_cndmask_b32_e64 v47, 0, -1, vcc
	v_bfe_i32 v58, v48, 0, 1
	v_lshlrev_b16_e32 v59, 8, v49
	v_lshlrev_b16_e32 v47, 8, v47
	v_lshlrev_b32_e32 v32, 3, v32
	v_or_b32_sdwa v48, v57, v59 dst_sel:DWORD dst_unused:UNUSED_PAD src0_sel:BYTE_0 src1_sel:DWORD
	v_or_b32_sdwa v49, v58, v47 dst_sel:WORD_1 dst_unused:UNUSED_PAD src0_sel:BYTE_0 src1_sel:DWORD
	v_lshlrev_b16_e32 v52, 8, v52
	v_or_b32_sdwa v60, v48, v49 dst_sel:DWORD dst_unused:UNUSED_PAD src0_sel:WORD_0 src1_sel:DWORD
	global_load_dwordx2 v[48:49], v32, s[20:21]
	v_lshlrev_b16_e32 v53, 8, v53
	v_dot4c_i32_i8_e32 v45, v42, v7
	v_dot4c_i32_i8_e32 v45, v46, v0
	s_waitcnt vmcnt(0)
	v_xor_b32_e32 v32, v48, v56
	v_and_b32_e32 v48, 0xffffff00, v32
	v_sub_i16 v48, v48, v54 clamp
	v_lshlrev_b16_e32 v54, 8, v32
	v_and_b32_e32 v48, 0xffffff00, v48
	v_sub_i16 v52, v54, v52 clamp
	v_or_b32_sdwa v48, v52, v48 dst_sel:DWORD dst_unused:UNUSED_PAD src0_sel:BYTE_1 src1_sel:DWORD
	v_and_b32_sdwa v52, v32, s33 dst_sel:DWORD dst_unused:UNUSED_PAD src0_sel:WORD_1 src1_sel:DWORD
	v_sub_i16 v52, v52, v55 clamp
	v_lshlrev_b16_sdwa v32, v35, v32 dst_sel:DWORD dst_unused:UNUSED_PAD src0_sel:DWORD src1_sel:WORD_1
	v_and_b32_e32 v52, 0xffffff00, v52
	v_sub_i16 v32, v32, v53 clamp
	v_or_b32_sdwa v32, v32, v52 dst_sel:WORD_1 dst_unused:UNUSED_PAD src0_sel:BYTE_1 src1_sel:DWORD
	v_lshlrev_b16_e32 v53, 8, v57
	v_or_b32_sdwa v32, v48, v32 dst_sel:DWORD dst_unused:UNUSED_PAD src0_sel:WORD_0 src1_sel:DWORD
	v_xor_b32_e32 v48, v49, v60
	v_and_b32_e32 v49, 0xffffff00, v48
	v_sub_i16 v49, v49, v59 clamp
	v_lshlrev_b16_e32 v52, 8, v48
	v_and_b32_e32 v49, 0xffffff00, v49
	v_sub_i16 v52, v52, v53 clamp
	v_or_b32_sdwa v49, v52, v49 dst_sel:DWORD dst_unused:UNUSED_PAD src0_sel:BYTE_1 src1_sel:DWORD
	v_and_b32_sdwa v52, v48, s33 dst_sel:DWORD dst_unused:UNUSED_PAD src0_sel:WORD_1 src1_sel:DWORD
	v_sub_i16 v47, v52, v47 clamp
	v_lshlrev_b16_sdwa v48, v35, v48 dst_sel:DWORD dst_unused:UNUSED_PAD src0_sel:DWORD src1_sel:WORD_1
	v_lshlrev_b16_e32 v52, 8, v58
	v_and_b32_e32 v47, 0xffffff00, v47
	v_sub_i16 v48, v48, v52 clamp
	v_or_b32_sdwa v47, v48, v47 dst_sel:WORD_1 dst_unused:UNUSED_PAD src0_sel:BYTE_1 src1_sel:DWORD
	v_mov_b32_e32 v48, 0
	v_or_b32_sdwa v47, v49, v47 dst_sel:DWORD dst_unused:UNUSED_PAD src0_sel:WORD_0 src1_sel:DWORD
	v_lshlrev_b32_e32 v49, 2, v50
	v_and_or_b32 v31, v49, s31, v31
	v_lshrrev_b16_e32 v49, 8, v51
	v_lshlrev_b32_e32 v50, 5, v49
	v_lshrrev_b16_e32 v50, 7, v50
	v_lshlrev_b16_e32 v51, 7, v51
	v_bfe_i32 v53, v50, 0, 1
	v_bfe_u32 v50, v49, 3, 1
	v_ashrrev_i16_e32 v52, 15, v51
	v_lshrrev_b32_e32 v51, 1, v49
	v_cmp_ne_u16_e32 vcc, 0, v50
	v_bfe_i32 v51, v51, 0, 1
	v_lshlrev_b16_e32 v54, 8, v51
	v_cndmask_b32_e64 v50, 0, -1, vcc
	v_lshlrev_b16_e32 v55, 8, v50
	v_or_b32_sdwa v51, v52, v54 dst_sel:DWORD dst_unused:UNUSED_PAD src0_sel:BYTE_0 src1_sel:DWORD
	v_or_b32_sdwa v50, v53, v55 dst_sel:WORD_1 dst_unused:UNUSED_PAD src0_sel:BYTE_0 src1_sel:DWORD
	v_bfe_i32 v57, v49, 4, 1
	v_or_b32_sdwa v56, v51, v50 dst_sel:DWORD dst_unused:UNUSED_PAD src0_sel:WORD_0 src1_sel:DWORD
	v_lshlrev_b32_e32 v50, 1, v49
	v_lshrrev_b32_e32 v51, 5, v49
	v_lshrrev_b32_e32 v49, 7, v49
	v_cmp_ne_u16_e32 vcc, 0, v49
	v_bfe_i32 v51, v51, 0, 1
	v_lshrrev_b16_e32 v50, 7, v50
	v_cndmask_b32_e64 v49, 0, -1, vcc
	v_bfe_i32 v58, v50, 0, 1
	v_lshlrev_b16_e32 v59, 8, v51
	v_lshlrev_b16_e32 v49, 8, v49
	v_lshlrev_b32_e32 v31, 3, v31
	v_or_b32_sdwa v50, v57, v59 dst_sel:DWORD dst_unused:UNUSED_PAD src0_sel:BYTE_0 src1_sel:DWORD
	v_or_b32_sdwa v51, v58, v49 dst_sel:WORD_1 dst_unused:UNUSED_PAD src0_sel:BYTE_0 src1_sel:DWORD
	v_lshlrev_b16_e32 v52, 8, v52
	v_or_b32_sdwa v60, v50, v51 dst_sel:DWORD dst_unused:UNUSED_PAD src0_sel:WORD_0 src1_sel:DWORD
	global_load_dwordx2 v[50:51], v31, s[20:21]
	v_lshlrev_b16_e32 v53, 8, v53
	v_dot4c_i32_i8_e32 v48, v32, v1
	v_dot4c_i32_i8_e32 v48, v47, v2
	s_waitcnt vmcnt(0)
	v_xor_b32_e32 v31, v50, v56
	v_and_b32_e32 v50, 0xffffff00, v31
	v_sub_i16 v50, v50, v54 clamp
	v_lshlrev_b16_e32 v54, 8, v31
	v_and_b32_e32 v50, 0xffffff00, v50
	v_sub_i16 v52, v54, v52 clamp
	v_or_b32_sdwa v50, v52, v50 dst_sel:DWORD dst_unused:UNUSED_PAD src0_sel:BYTE_1 src1_sel:DWORD
	v_and_b32_sdwa v52, v31, s33 dst_sel:DWORD dst_unused:UNUSED_PAD src0_sel:WORD_1 src1_sel:DWORD
	v_sub_i16 v52, v52, v55 clamp
	v_lshlrev_b16_sdwa v31, v35, v31 dst_sel:DWORD dst_unused:UNUSED_PAD src0_sel:DWORD src1_sel:WORD_1
	v_and_b32_e32 v52, 0xffffff00, v52
	v_sub_i16 v31, v31, v53 clamp
	v_or_b32_sdwa v31, v31, v52 dst_sel:WORD_1 dst_unused:UNUSED_PAD src0_sel:BYTE_1 src1_sel:DWORD
	v_lshlrev_b16_e32 v53, 8, v57
	v_or_b32_sdwa v31, v50, v31 dst_sel:DWORD dst_unused:UNUSED_PAD src0_sel:WORD_0 src1_sel:DWORD
	v_xor_b32_e32 v50, v51, v60
	v_and_b32_e32 v51, 0xffffff00, v50
	v_sub_i16 v51, v51, v59 clamp
	v_lshlrev_b16_e32 v52, 8, v50
	v_and_b32_e32 v51, 0xffffff00, v51
	v_sub_i16 v52, v52, v53 clamp
	v_or_b32_sdwa v51, v52, v51 dst_sel:DWORD dst_unused:UNUSED_PAD src0_sel:BYTE_1 src1_sel:DWORD
	v_and_b32_sdwa v52, v50, s33 dst_sel:DWORD dst_unused:UNUSED_PAD src0_sel:WORD_1 src1_sel:DWORD
	v_sub_i16 v49, v52, v49 clamp
	v_lshlrev_b16_sdwa v50, v35, v50 dst_sel:DWORD dst_unused:UNUSED_PAD src0_sel:DWORD src1_sel:WORD_1
	v_lshlrev_b16_e32 v52, 8, v58
	v_and_b32_e32 v49, 0xffffff00, v49
	v_sub_i16 v50, v50, v52 clamp
	v_or_b32_sdwa v49, v50, v49 dst_sel:WORD_1 dst_unused:UNUSED_PAD src0_sel:BYTE_1 src1_sel:DWORD
	global_load_ushort v50, v[24:25], off
	global_load_ushort v54, v[26:27], off offset:2
	global_load_ushort v52, v[26:27], off offset:4
	global_load_ubyte v56, v[22:23], off offset:66
	global_load_ushort v57, v[26:27], off offset:34
	global_load_ushort v58, v[26:27], off offset:36
	v_or_b32_sdwa v49, v51, v49 dst_sel:DWORD dst_unused:UNUSED_PAD src0_sel:WORD_0 src1_sel:DWORD
	v_dot4c_i32_i8_e32 v48, v31, v3
	v_dot4c_i32_i8_e32 v48, v49, v30
	s_waitcnt vmcnt(4)
	v_lshrrev_b16_e32 v53, 8, v54
	v_and_b32_sdwa v54, s30, v54 dst_sel:DWORD dst_unused:UNUSED_PAD src0_sel:DWORD src1_sel:BYTE_0
	s_waitcnt vmcnt(2)
	v_lshlrev_b32_e32 v55, 8, v56
	v_and_or_b32 v54, v55, s31, v54
	s_waitcnt vmcnt(1)
	v_and_b32_sdwa v55, s30, v57 dst_sel:DWORD dst_unused:UNUSED_PAD src0_sel:DWORD src1_sel:BYTE_0
	v_bfe_u32 v62, v55, 3, 1
	v_lshlrev_b32_e32 v59, 5, v55
	v_lshrrev_b32_e32 v61, 1, v55
	v_cmp_ne_u16_e32 vcc, 0, v62
	v_and_b32_e32 v60, 1, v57
	v_bfe_i32 v61, v61, 0, 1
	v_lshrrev_b16_e32 v59, 7, v59
	v_cndmask_b32_e64 v62, 0, -1, vcc
	v_sub_u16_e32 v60, 0, v60
	v_bfe_i32 v59, v59, 0, 1
	v_lshlrev_b16_e32 v61, 8, v61
	v_lshlrev_b16_e32 v62, 8, v62
	v_or_b32_sdwa v63, v60, v61 dst_sel:DWORD dst_unused:UNUSED_PAD src0_sel:BYTE_0 src1_sel:DWORD
	v_or_b32_sdwa v64, v59, v62 dst_sel:WORD_1 dst_unused:UNUSED_PAD src0_sel:BYTE_0 src1_sel:DWORD
	v_bfe_i32 v65, v55, 4, 1
	v_or_b32_sdwa v63, v63, v64 dst_sel:DWORD dst_unused:UNUSED_PAD src0_sel:WORD_0 src1_sel:DWORD
	v_lshlrev_b32_e32 v64, 1, v55
	v_lshrrev_b32_e32 v66, 5, v55
	v_lshrrev_b32_e32 v55, 7, v55
	v_cmp_ne_u16_e32 vcc, 0, v55
	v_bfe_i32 v66, v66, 0, 1
	v_lshrrev_b16_e32 v64, 7, v64
	v_cndmask_b32_e64 v55, 0, -1, vcc
	v_bfe_i32 v64, v64, 0, 1
	v_lshlrev_b16_e32 v66, 8, v66
	v_lshlrev_b16_e32 v68, 8, v55
	v_lshlrev_b32_e32 v54, 3, v54
	v_or_b32_sdwa v67, v65, v66 dst_sel:DWORD dst_unused:UNUSED_PAD src0_sel:BYTE_0 src1_sel:DWORD
	v_or_b32_sdwa v55, v64, v68 dst_sel:WORD_1 dst_unused:UNUSED_PAD src0_sel:BYTE_0 src1_sel:DWORD
	v_lshlrev_b16_e32 v60, 8, v60
	v_or_b32_sdwa v67, v67, v55 dst_sel:DWORD dst_unused:UNUSED_PAD src0_sel:WORD_0 src1_sel:DWORD
	global_load_dwordx2 v[54:55], v54, s[20:21]
	v_lshlrev_b16_e32 v59, 8, v59
	v_lshrrev_b16_e32 v51, 8, v52
	s_waitcnt vmcnt(0)
	v_xor_b32_e32 v54, v54, v63
	v_and_b32_e32 v63, 0xffffff00, v54
	v_sub_i16 v61, v63, v61 clamp
	v_lshlrev_b16_e32 v63, 8, v54
	v_and_b32_e32 v61, 0xffffff00, v61
	v_sub_i16 v60, v63, v60 clamp
	v_or_b32_sdwa v60, v60, v61 dst_sel:DWORD dst_unused:UNUSED_PAD src0_sel:BYTE_1 src1_sel:DWORD
	v_and_b32_sdwa v61, v54, s33 dst_sel:DWORD dst_unused:UNUSED_PAD src0_sel:WORD_1 src1_sel:DWORD
	v_sub_i16 v61, v61, v62 clamp
	v_lshlrev_b16_sdwa v54, v35, v54 dst_sel:DWORD dst_unused:UNUSED_PAD src0_sel:DWORD src1_sel:WORD_1
	v_and_b32_e32 v61, 0xffffff00, v61
	v_sub_i16 v54, v54, v59 clamp
	v_or_b32_sdwa v54, v54, v61 dst_sel:WORD_1 dst_unused:UNUSED_PAD src0_sel:BYTE_1 src1_sel:DWORD
	v_lshlrev_b16_e32 v61, 8, v65
	v_or_b32_sdwa v59, v60, v54 dst_sel:DWORD dst_unused:UNUSED_PAD src0_sel:WORD_0 src1_sel:DWORD
	v_xor_b32_e32 v54, v55, v67
	v_and_b32_e32 v55, 0xffffff00, v54
	v_sub_i16 v55, v55, v66 clamp
	v_lshlrev_b16_e32 v60, 8, v54
	v_and_b32_e32 v55, 0xffffff00, v55
	v_sub_i16 v60, v60, v61 clamp
	v_or_b32_sdwa v55, v60, v55 dst_sel:DWORD dst_unused:UNUSED_PAD src0_sel:BYTE_1 src1_sel:DWORD
	v_and_b32_sdwa v60, v54, s33 dst_sel:DWORD dst_unused:UNUSED_PAD src0_sel:WORD_1 src1_sel:DWORD
	v_sub_i16 v60, v60, v68 clamp
	v_lshlrev_b16_sdwa v54, v35, v54 dst_sel:DWORD dst_unused:UNUSED_PAD src0_sel:DWORD src1_sel:WORD_1
	v_lshlrev_b16_e32 v61, 8, v64
	v_and_b32_e32 v60, 0xffffff00, v60
	v_sub_i16 v54, v54, v61 clamp
	v_or_b32_sdwa v54, v54, v60 dst_sel:WORD_1 dst_unused:UNUSED_PAD src0_sel:BYTE_1 src1_sel:DWORD
	v_mov_b32_e32 v61, 0
	v_or_b32_sdwa v60, v55, v54 dst_sel:DWORD dst_unused:UNUSED_PAD src0_sel:WORD_0 src1_sel:DWORD
	v_dot4c_i32_i8_e32 v61, v59, v5
	v_dot4c_i32_i8_e32 v61, v60, v6
	v_lshrrev_b16_e32 v6, 8, v57
	v_lshlrev_b32_e32 v5, 6, v56
	v_lshlrev_b16_e32 v54, 7, v57
	v_bfe_u32 v55, v6, 3, 1
	v_and_or_b32 v5, v5, s31, v53
	v_lshlrev_b32_e32 v53, 5, v6
	v_ashrrev_i16_e32 v57, 15, v54
	v_lshrrev_b32_e32 v54, 1, v6
	v_cmp_ne_u16_e32 vcc, 0, v55
	v_bfe_i32 v54, v54, 0, 1
	v_lshrrev_b16_e32 v53, 7, v53
	v_cndmask_b32_e64 v55, 0, -1, vcc
	v_bfe_i32 v53, v53, 0, 1
	v_lshlrev_b16_e32 v62, 8, v54
	v_lshlrev_b16_e32 v63, 8, v55
	v_or_b32_sdwa v54, v57, v62 dst_sel:DWORD dst_unused:UNUSED_PAD src0_sel:BYTE_0 src1_sel:DWORD
	v_or_b32_sdwa v55, v53, v63 dst_sel:WORD_1 dst_unused:UNUSED_PAD src0_sel:BYTE_0 src1_sel:DWORD
	v_bfe_i32 v65, v6, 4, 1
	v_or_b32_sdwa v64, v54, v55 dst_sel:DWORD dst_unused:UNUSED_PAD src0_sel:WORD_0 src1_sel:DWORD
	v_lshlrev_b32_e32 v54, 1, v6
	v_lshrrev_b32_e32 v55, 5, v6
	v_lshrrev_b32_e32 v6, 7, v6
	v_cmp_ne_u16_e32 vcc, 0, v6
	v_bfe_i32 v55, v55, 0, 1
	v_lshrrev_b16_e32 v54, 7, v54
	v_cndmask_b32_e64 v6, 0, -1, vcc
	v_bfe_i32 v66, v54, 0, 1
	v_lshlrev_b16_e32 v67, 8, v55
	v_lshlrev_b16_e32 v6, 8, v6
	v_lshlrev_b32_e32 v5, 3, v5
	v_or_b32_sdwa v54, v65, v67 dst_sel:DWORD dst_unused:UNUSED_PAD src0_sel:BYTE_0 src1_sel:DWORD
	v_or_b32_sdwa v55, v66, v6 dst_sel:WORD_1 dst_unused:UNUSED_PAD src0_sel:BYTE_0 src1_sel:DWORD
	v_lshlrev_b16_e32 v57, 8, v57
	v_or_b32_sdwa v68, v54, v55 dst_sel:DWORD dst_unused:UNUSED_PAD src0_sel:WORD_0 src1_sel:DWORD
	global_load_dwordx2 v[54:55], v5, s[20:21]
	v_lshlrev_b16_e32 v53, 8, v53
	s_waitcnt vmcnt(0)
	v_xor_b32_e32 v5, v54, v64
	v_and_b32_e32 v54, 0xffffff00, v5
	v_sub_i16 v54, v54, v62 clamp
	v_lshlrev_b16_e32 v62, 8, v5
	v_and_b32_e32 v54, 0xffffff00, v54
	v_sub_i16 v57, v62, v57 clamp
	v_or_b32_sdwa v54, v57, v54 dst_sel:DWORD dst_unused:UNUSED_PAD src0_sel:BYTE_1 src1_sel:DWORD
	v_and_b32_sdwa v57, v5, s33 dst_sel:DWORD dst_unused:UNUSED_PAD src0_sel:WORD_1 src1_sel:DWORD
	v_sub_i16 v57, v57, v63 clamp
	v_lshlrev_b16_sdwa v5, v35, v5 dst_sel:DWORD dst_unused:UNUSED_PAD src0_sel:DWORD src1_sel:WORD_1
	v_and_b32_e32 v57, 0xffffff00, v57
	v_sub_i16 v5, v5, v53 clamp
	v_or_b32_sdwa v5, v5, v57 dst_sel:WORD_1 dst_unused:UNUSED_PAD src0_sel:BYTE_1 src1_sel:DWORD
	s_nop 0
	v_or_b32_sdwa v62, v54, v5 dst_sel:DWORD dst_unused:UNUSED_PAD src0_sel:WORD_0 src1_sel:DWORD
	v_xor_b32_e32 v5, v55, v68
	v_and_b32_e32 v53, 0xffffff00, v5
	v_sub_i16 v53, v53, v67 clamp
	v_lshlrev_b16_e32 v54, 8, v5
	v_lshlrev_b16_e32 v55, 8, v65
	v_and_b32_e32 v53, 0xffffff00, v53
	v_sub_i16 v54, v54, v55 clamp
	v_or_b32_sdwa v53, v54, v53 dst_sel:DWORD dst_unused:UNUSED_PAD src0_sel:BYTE_1 src1_sel:DWORD
	v_and_b32_sdwa v54, v5, s33 dst_sel:DWORD dst_unused:UNUSED_PAD src0_sel:WORD_1 src1_sel:DWORD
	v_sub_i16 v6, v54, v6 clamp
	v_lshlrev_b16_sdwa v5, v35, v5 dst_sel:DWORD dst_unused:UNUSED_PAD src0_sel:DWORD src1_sel:WORD_1
	v_lshlrev_b16_e32 v54, 8, v66
	v_and_b32_e32 v6, 0xffffff00, v6
	v_sub_i16 v5, v5, v54 clamp
	v_or_b32_sdwa v5, v5, v6 dst_sel:WORD_1 dst_unused:UNUSED_PAD src0_sel:BYTE_1 src1_sel:DWORD
	v_dot4c_i32_i8_e32 v61, v62, v7
	v_or_b32_sdwa v63, v53, v5 dst_sel:DWORD dst_unused:UNUSED_PAD src0_sel:WORD_0 src1_sel:DWORD
	v_dot4c_i32_i8_e32 v61, v63, v0
	v_and_b32_sdwa v0, s30, v52 dst_sel:DWORD dst_unused:UNUSED_PAD src0_sel:DWORD src1_sel:BYTE_0
	v_lshlrev_b32_e32 v5, 4, v56
	v_and_or_b32 v0, v5, s31, v0
	v_and_b32_sdwa v5, s30, v58 dst_sel:DWORD dst_unused:UNUSED_PAD src0_sel:DWORD src1_sel:BYTE_0
	v_lshlrev_b32_e32 v6, 5, v5
	v_lshrrev_b16_e32 v6, 7, v6
	v_and_b32_e32 v7, 1, v58
	v_bfe_i32 v53, v6, 0, 1
	v_bfe_u32 v6, v5, 3, 1
	v_sub_u16_e32 v52, 0, v7
	v_lshrrev_b32_e32 v7, 1, v5
	v_cmp_ne_u16_e32 vcc, 0, v6
	v_bfe_i32 v7, v7, 0, 1
	v_lshlrev_b16_e32 v54, 8, v7
	v_cndmask_b32_e64 v6, 0, -1, vcc
	v_lshlrev_b16_e32 v55, 8, v6
	v_or_b32_sdwa v7, v52, v54 dst_sel:DWORD dst_unused:UNUSED_PAD src0_sel:BYTE_0 src1_sel:DWORD
	v_or_b32_sdwa v6, v53, v55 dst_sel:WORD_1 dst_unused:UNUSED_PAD src0_sel:BYTE_0 src1_sel:DWORD
	v_bfe_i32 v64, v5, 4, 1
	v_or_b32_sdwa v57, v7, v6 dst_sel:DWORD dst_unused:UNUSED_PAD src0_sel:WORD_0 src1_sel:DWORD
	v_lshlrev_b32_e32 v6, 1, v5
	v_lshrrev_b32_e32 v7, 5, v5
	v_lshrrev_b32_e32 v5, 7, v5
	v_cmp_ne_u16_e32 vcc, 0, v5
	v_bfe_i32 v7, v7, 0, 1
	v_lshrrev_b16_e32 v6, 7, v6
	v_cndmask_b32_e64 v5, 0, -1, vcc
	v_bfe_i32 v65, v6, 0, 1
	v_lshlrev_b16_e32 v66, 8, v7
	v_lshlrev_b16_e32 v5, 8, v5
	v_lshlrev_b32_e32 v0, 3, v0
	v_or_b32_sdwa v6, v64, v66 dst_sel:DWORD dst_unused:UNUSED_PAD src0_sel:BYTE_0 src1_sel:DWORD
	v_or_b32_sdwa v7, v65, v5 dst_sel:WORD_1 dst_unused:UNUSED_PAD src0_sel:BYTE_0 src1_sel:DWORD
	v_lshlrev_b16_e32 v52, 8, v52
	v_or_b32_sdwa v67, v6, v7 dst_sel:DWORD dst_unused:UNUSED_PAD src0_sel:WORD_0 src1_sel:DWORD
	global_load_dwordx2 v[6:7], v0, s[20:21]
	v_lshlrev_b16_e32 v53, 8, v53
	s_waitcnt vmcnt(0)
	v_xor_b32_e32 v0, v6, v57
	v_and_b32_e32 v6, 0xffffff00, v0
	v_sub_i16 v6, v6, v54 clamp
	v_lshlrev_b16_e32 v54, 8, v0
	v_and_b32_e32 v6, 0xffffff00, v6
	v_sub_i16 v52, v54, v52 clamp
	v_or_b32_sdwa v6, v52, v6 dst_sel:DWORD dst_unused:UNUSED_PAD src0_sel:BYTE_1 src1_sel:DWORD
	v_and_b32_sdwa v52, v0, s33 dst_sel:DWORD dst_unused:UNUSED_PAD src0_sel:WORD_1 src1_sel:DWORD
	v_sub_i16 v52, v52, v55 clamp
	v_lshlrev_b16_sdwa v0, v35, v0 dst_sel:DWORD dst_unused:UNUSED_PAD src0_sel:DWORD src1_sel:WORD_1
	v_and_b32_e32 v52, 0xffffff00, v52
	v_sub_i16 v0, v0, v53 clamp
	v_or_b32_sdwa v0, v0, v52 dst_sel:WORD_1 dst_unused:UNUSED_PAD src0_sel:BYTE_1 src1_sel:DWORD
	v_lshlrev_b16_e32 v52, 8, v64
	v_or_b32_sdwa v68, v6, v0 dst_sel:DWORD dst_unused:UNUSED_PAD src0_sel:WORD_0 src1_sel:DWORD
	v_xor_b32_e32 v0, v7, v67
	v_and_b32_e32 v6, 0xffffff00, v0
	v_sub_i16 v6, v6, v66 clamp
	v_lshlrev_b16_e32 v7, 8, v0
	v_and_b32_e32 v6, 0xffffff00, v6
	v_sub_i16 v7, v7, v52 clamp
	v_or_b32_sdwa v6, v7, v6 dst_sel:DWORD dst_unused:UNUSED_PAD src0_sel:BYTE_1 src1_sel:DWORD
	v_and_b32_sdwa v7, v0, s33 dst_sel:DWORD dst_unused:UNUSED_PAD src0_sel:WORD_1 src1_sel:DWORD
	v_sub_i16 v5, v7, v5 clamp
	v_lshlrev_b16_sdwa v0, v35, v0 dst_sel:DWORD dst_unused:UNUSED_PAD src0_sel:DWORD src1_sel:WORD_1
	v_lshlrev_b16_e32 v7, 8, v65
	v_and_b32_e32 v5, 0xffffff00, v5
	v_sub_i16 v0, v0, v7 clamp
	v_or_b32_sdwa v0, v0, v5 dst_sel:WORD_1 dst_unused:UNUSED_PAD src0_sel:BYTE_1 src1_sel:DWORD
	v_mov_b32_e32 v5, 0
	v_or_b32_sdwa v64, v6, v0 dst_sel:DWORD dst_unused:UNUSED_PAD src0_sel:WORD_0 src1_sel:DWORD
	v_dot4c_i32_i8_e32 v5, v68, v1
	v_lshlrev_b32_e32 v0, 2, v56
	v_lshrrev_b16_e32 v1, 8, v58
	v_and_or_b32 v0, v0, s31, v51
	v_bfe_u32 v51, v1, 3, 1
	v_dot4c_i32_i8_e32 v5, v64, v2
	v_lshlrev_b32_e32 v2, 5, v1
	v_lshrrev_b32_e32 v7, 1, v1
	v_cmp_ne_u16_e32 vcc, 0, v51
	v_lshlrev_b16_e32 v6, 7, v58
	v_bfe_i32 v7, v7, 0, 1
	v_lshrrev_b16_e32 v2, 7, v2
	v_cndmask_b32_e64 v51, 0, -1, vcc
	v_ashrrev_i16_e32 v6, 15, v6
	v_bfe_i32 v2, v2, 0, 1
	v_lshlrev_b16_e32 v7, 8, v7
	v_lshlrev_b16_e32 v51, 8, v51
	v_or_b32_sdwa v52, v6, v7 dst_sel:DWORD dst_unused:UNUSED_PAD src0_sel:BYTE_0 src1_sel:DWORD
	v_or_b32_sdwa v53, v2, v51 dst_sel:WORD_1 dst_unused:UNUSED_PAD src0_sel:BYTE_0 src1_sel:DWORD
	v_bfe_i32 v54, v1, 4, 1
	v_or_b32_sdwa v52, v52, v53 dst_sel:DWORD dst_unused:UNUSED_PAD src0_sel:WORD_0 src1_sel:DWORD
	v_lshlrev_b32_e32 v53, 1, v1
	v_lshrrev_b32_e32 v55, 5, v1
	v_lshrrev_b32_e32 v1, 7, v1
	v_cmp_ne_u16_e32 vcc, 0, v1
	v_bfe_i32 v55, v55, 0, 1
	v_lshrrev_b16_e32 v53, 7, v53
	v_cndmask_b32_e64 v1, 0, -1, vcc
	v_bfe_i32 v53, v53, 0, 1
	v_lshlrev_b16_e32 v55, 8, v55
	v_lshlrev_b16_e32 v57, 8, v1
	v_lshlrev_b32_e32 v0, 3, v0
	v_or_b32_sdwa v56, v54, v55 dst_sel:DWORD dst_unused:UNUSED_PAD src0_sel:BYTE_0 src1_sel:DWORD
	v_or_b32_sdwa v1, v53, v57 dst_sel:WORD_1 dst_unused:UNUSED_PAD src0_sel:BYTE_0 src1_sel:DWORD
	v_lshlrev_b16_e32 v6, 8, v6
	v_or_b32_sdwa v56, v56, v1 dst_sel:DWORD dst_unused:UNUSED_PAD src0_sel:WORD_0 src1_sel:DWORD
	global_load_dwordx2 v[0:1], v0, s[20:21]
	v_lshlrev_b16_e32 v2, 8, v2
	s_waitcnt vmcnt(0)
	v_xor_b32_e32 v0, v0, v52
	v_and_b32_e32 v52, 0xffffff00, v0
	v_sub_i16 v7, v52, v7 clamp
	v_lshlrev_b16_e32 v52, 8, v0
	v_and_b32_e32 v7, 0xffffff00, v7
	v_sub_i16 v6, v52, v6 clamp
	v_or_b32_sdwa v6, v6, v7 dst_sel:DWORD dst_unused:UNUSED_PAD src0_sel:BYTE_1 src1_sel:DWORD
	v_and_b32_sdwa v7, v0, s33 dst_sel:DWORD dst_unused:UNUSED_PAD src0_sel:WORD_1 src1_sel:DWORD
	v_sub_i16 v7, v7, v51 clamp
	v_lshlrev_b16_sdwa v0, v35, v0 dst_sel:DWORD dst_unused:UNUSED_PAD src0_sel:DWORD src1_sel:WORD_1
	v_and_b32_e32 v7, 0xffffff00, v7
	v_sub_i16 v0, v0, v2 clamp
	v_or_b32_sdwa v0, v0, v7 dst_sel:WORD_1 dst_unused:UNUSED_PAD src0_sel:BYTE_1 src1_sel:DWORD
	v_add_u32_e32 v7, v48, v45
	v_or_b32_sdwa v58, v6, v0 dst_sel:DWORD dst_unused:UNUSED_PAD src0_sel:WORD_0 src1_sel:DWORD
	v_xor_b32_e32 v0, v1, v56
	v_and_b32_e32 v1, 0xffffff00, v0
	v_sub_i16 v1, v1, v55 clamp
	v_lshlrev_b16_e32 v2, 8, v0
	v_lshlrev_b16_e32 v6, 8, v54
	v_and_b32_e32 v1, 0xffffff00, v1
	v_sub_i16 v2, v2, v6 clamp
	v_or_b32_sdwa v1, v2, v1 dst_sel:DWORD dst_unused:UNUSED_PAD src0_sel:BYTE_1 src1_sel:DWORD
	v_and_b32_sdwa v2, v0, s33 dst_sel:DWORD dst_unused:UNUSED_PAD src0_sel:WORD_1 src1_sel:DWORD
	v_sub_i16 v2, v2, v57 clamp
	v_lshlrev_b16_sdwa v0, v35, v0 dst_sel:DWORD dst_unused:UNUSED_PAD src0_sel:DWORD src1_sel:WORD_1
	v_lshlrev_b16_e32 v6, 8, v53
	v_and_b32_e32 v2, 0xffffff00, v2
	v_sub_i16 v0, v0, v6 clamp
	v_or_b32_sdwa v0, v0, v2 dst_sel:WORD_1 dst_unused:UNUSED_PAD src0_sel:BYTE_1 src1_sel:DWORD
	v_dot4c_i32_i8_e32 v5, v58, v3
	v_or_b32_sdwa v65, v1, v0 dst_sel:DWORD dst_unused:UNUSED_PAD src0_sel:WORD_0 src1_sel:DWORD
	global_load_ushort v0, v[10:11], off
	global_load_ubyte v1, v[8:9], off offset:74
	global_load_ubyte v2, v[22:23], off offset:74
	v_dot4c_i32_i8_e32 v5, v65, v30
	v_lshrrev_b32_e32 v30, 31, v7
	v_add_u32_e32 v7, v7, v30
	v_ashrrev_i32_e32 v7, 1, v7
	v_cvt_f32_f16_e32 v54, v50
	s_waitcnt vmcnt(2)
	v_cvt_f32_f16_e32 v55, v0
	s_waitcnt vmcnt(1)
	v_lshrrev_b32_e32 v67, 4, v1
	s_waitcnt vmcnt(0)
	v_lshrrev_b32_e32 v66, 4, v2
	v_and_b32_e32 v70, 15, v1
	v_mul_lo_u32 v6, v5, v66
	v_add_u32_e32 v5, v5, v61
	v_mul_lo_u32 v1, v45, v70
	v_mul_lo_u32 v3, v48, v67
	v_lshrrev_b32_e32 v30, 31, v5
	v_and_b32_e32 v69, 15, v2
	v_add_u32_e32 v5, v5, v30
	v_add3_u32 v1, v3, v1, v7
	v_mul_lo_u32 v2, v61, v69
	v_ashrrev_i32_e32 v5, 1, v5
	v_ashrrev_i32_e32 v3, 31, v1
	v_add3_u32 v2, v6, v2, v5
	v_lshrrev_b32_e32 v3, 30, v3
	v_add_u32_e32 v1, v1, v3
	v_ashrrev_i32_e32 v3, 31, v2
	v_lshrrev_b32_e32 v3, 30, v3
	v_add_u32_e32 v2, v2, v3
	v_ashrrev_i32_e32 v1, 2, v1
	v_ashrrev_i32_e32 v2, 2, v2
	v_cvt_f32_i32_e32 v7, v2
	v_cvt_f32_i32_e32 v6, v1
	scratch_load_dwordx4 v[0:3], off, off offset:16
	v_pk_mul_f32 v[4:5], v[4:5], v[54:55] op_sel_hi:[0,1]
	v_mov_b32_e32 v48, 0
	s_waitcnt vmcnt(0)
	v_pk_fma_f32 v[0:1], v[4:5], v[6:7], v[0:1]
	v_add_u32_e32 v4, s23, v34
	v_mad_u64_u32 v[4:5], s[34:35], v4, 36, s[24:25]
	v_mad_u64_u32 v[56:57], s[34:35], v14, 36, v[4:5]
	global_load_dword v45, v[56:57], off offset:32
	global_load_dwordx4 v[4:7], v[56:57], off offset:16
	global_load_dwordx4 v[50:53], v[56:57], off
	s_waitcnt vmcnt(0)
	v_dot4c_i32_i8_e32 v48, v43, v51
	v_dot4c_i32_i8_e32 v48, v44, v52
	v_dot4c_i32_i8_e32 v48, v42, v53
	v_mov_b32_e32 v42, 0
	v_dot4c_i32_i8_e32 v42, v32, v5
	v_dot4c_i32_i8_e32 v42, v47, v6
	;; [unrolled: 1-line block ×3, first 2 shown]
	v_mov_b32_e32 v31, 0
	v_dot4c_i32_i8_e32 v31, v59, v51
	v_dot4c_i32_i8_e32 v31, v60, v52
	v_dot4c_i32_i8_e32 v31, v62, v53
	v_dot4c_i32_i8_e32 v48, v46, v4
	v_dot4c_i32_i8_e32 v31, v63, v4
	v_mov_b32_e32 v4, 0
	v_dot4c_i32_i8_e32 v4, v68, v5
	v_dot4c_i32_i8_e32 v4, v64, v6
	;; [unrolled: 1-line block ×5, first 2 shown]
	v_mul_lo_u32 v6, v31, v69
	v_mul_lo_u32 v5, v48, v70
	;; [unrolled: 1-line block ×4, first 2 shown]
	v_add_u32_e32 v4, v4, v31
	v_add_u32_e32 v31, v42, v48
	v_lshrrev_b32_e32 v42, 31, v31
	v_add_u32_e32 v31, v31, v42
	v_lshrrev_b32_e32 v42, 31, v4
	v_ashrrev_i32_e32 v31, 1, v31
	v_add_u32_e32 v4, v4, v42
	v_ashrrev_i32_e32 v4, 1, v4
	v_add3_u32 v5, v7, v5, v31
	v_add3_u32 v4, v32, v6, v4
	v_ashrrev_i32_e32 v6, 31, v5
	v_lshrrev_b32_e32 v6, 30, v6
	v_add_u32_e32 v5, v5, v6
	v_ashrrev_i32_e32 v6, 2, v5
	v_ashrrev_i32_e32 v5, 31, v4
	v_lshrrev_b32_e32 v5, 30, v5
	v_add_u32_e32 v4, v4, v5
	v_cvt_f32_f16_e32 v30, v50
	v_ashrrev_i32_e32 v7, 2, v4
	v_cvt_f32_i32_e32 v7, v7
	v_cvt_f32_i32_e32 v6, v6
	v_pk_mul_f32 v[4:5], v[30:31], v[54:55] op_sel_hi:[0,1]
	v_pk_fma_f32 v[2:3], v[4:5], v[6:7], v[2:3]
	scratch_store_dwordx4 off, v[0:3], off offset:16
	s_nop 1
	v_add_u32_e32 v0, s27, v34
	v_mad_u64_u32 v[0:1], s[34:35], v0, 36, s[24:25]
	v_mad_u64_u32 v[42:43], s[34:35], v14, 36, v[0:1]
	global_load_dword v30, v[42:43], off offset:32
	global_load_dwordx4 v[0:3], v[42:43], off offset:16
	global_load_dwordx4 v[4:7], v[42:43], off
	global_load_ushort v31, v[28:29], off offset:2
	global_load_ushort v46, v[28:29], off offset:4
	global_load_ubyte v49, v[8:9], off offset:66
	global_load_ushort v45, v[28:29], off offset:34
	global_load_ushort v50, v[28:29], off offset:36
	s_waitcnt vmcnt(4)
	v_lshrrev_b16_e32 v44, 8, v31
	v_and_b32_sdwa v31, s30, v31 dst_sel:DWORD dst_unused:UNUSED_PAD src0_sel:DWORD src1_sel:BYTE_0
	s_waitcnt vmcnt(2)
	v_lshlrev_b32_e32 v32, 8, v49
	v_and_or_b32 v31, v32, s31, v31
	s_waitcnt vmcnt(1)
	v_and_b32_sdwa v32, s30, v45 dst_sel:DWORD dst_unused:UNUSED_PAD src0_sel:DWORD src1_sel:BYTE_0
	v_lshlrev_b32_e32 v42, 5, v32
	v_lshrrev_b16_e32 v42, 7, v42
	v_and_b32_e32 v43, 1, v45
	v_bfe_i32 v51, v42, 0, 1
	v_bfe_u32 v42, v32, 3, 1
	v_sub_u16_e32 v47, 0, v43
	v_lshrrev_b32_e32 v43, 1, v32
	v_cmp_ne_u16_e32 vcc, 0, v42
	v_bfe_i32 v43, v43, 0, 1
	v_lshlrev_b16_e32 v52, 8, v43
	v_cndmask_b32_e64 v42, 0, -1, vcc
	v_lshlrev_b16_e32 v53, 8, v42
	v_or_b32_sdwa v43, v47, v52 dst_sel:DWORD dst_unused:UNUSED_PAD src0_sel:BYTE_0 src1_sel:DWORD
	v_or_b32_sdwa v42, v51, v53 dst_sel:WORD_1 dst_unused:UNUSED_PAD src0_sel:BYTE_0 src1_sel:DWORD
	v_bfe_i32 v55, v32, 4, 1
	v_or_b32_sdwa v54, v43, v42 dst_sel:DWORD dst_unused:UNUSED_PAD src0_sel:WORD_0 src1_sel:DWORD
	v_lshlrev_b32_e32 v42, 1, v32
	v_lshrrev_b32_e32 v43, 5, v32
	v_lshrrev_b32_e32 v32, 7, v32
	v_cmp_ne_u16_e32 vcc, 0, v32
	v_bfe_i32 v43, v43, 0, 1
	v_lshrrev_b16_e32 v42, 7, v42
	v_cndmask_b32_e64 v32, 0, -1, vcc
	v_bfe_i32 v56, v42, 0, 1
	v_lshlrev_b16_e32 v57, 8, v43
	v_lshlrev_b16_e32 v32, 8, v32
	v_lshlrev_b32_e32 v31, 3, v31
	v_or_b32_sdwa v42, v55, v57 dst_sel:DWORD dst_unused:UNUSED_PAD src0_sel:BYTE_0 src1_sel:DWORD
	v_or_b32_sdwa v43, v56, v32 dst_sel:WORD_1 dst_unused:UNUSED_PAD src0_sel:BYTE_0 src1_sel:DWORD
	v_lshlrev_b16_e32 v47, 8, v47
	v_or_b32_sdwa v58, v42, v43 dst_sel:DWORD dst_unused:UNUSED_PAD src0_sel:WORD_0 src1_sel:DWORD
	global_load_dwordx2 v[42:43], v31, s[20:21]
	v_lshlrev_b16_e32 v51, 8, v51
	v_lshrrev_b16_e32 v48, 8, v46
	v_cvt_f32_f16_e32 v4, v4
	s_waitcnt vmcnt(0)
	v_xor_b32_e32 v31, v42, v54
	v_and_b32_e32 v42, 0xffffff00, v31
	v_sub_i16 v42, v42, v52 clamp
	v_lshlrev_b16_e32 v52, 8, v31
	v_and_b32_e32 v42, 0xffffff00, v42
	v_sub_i16 v47, v52, v47 clamp
	v_or_b32_sdwa v42, v47, v42 dst_sel:DWORD dst_unused:UNUSED_PAD src0_sel:BYTE_1 src1_sel:DWORD
	v_and_b32_sdwa v47, v31, s33 dst_sel:DWORD dst_unused:UNUSED_PAD src0_sel:WORD_1 src1_sel:DWORD
	v_sub_i16 v47, v47, v53 clamp
	v_lshlrev_b16_sdwa v31, v35, v31 dst_sel:DWORD dst_unused:UNUSED_PAD src0_sel:DWORD src1_sel:WORD_1
	v_and_b32_e32 v47, 0xffffff00, v47
	v_sub_i16 v31, v31, v51 clamp
	v_or_b32_sdwa v31, v31, v47 dst_sel:WORD_1 dst_unused:UNUSED_PAD src0_sel:BYTE_1 src1_sel:DWORD
	v_lshlrev_b16_e32 v51, 8, v55
	v_or_b32_sdwa v31, v42, v31 dst_sel:DWORD dst_unused:UNUSED_PAD src0_sel:WORD_0 src1_sel:DWORD
	v_xor_b32_e32 v42, v43, v58
	v_and_b32_e32 v43, 0xffffff00, v42
	v_sub_i16 v43, v43, v57 clamp
	v_lshlrev_b16_e32 v47, 8, v42
	v_and_b32_e32 v43, 0xffffff00, v43
	v_sub_i16 v47, v47, v51 clamp
	v_or_b32_sdwa v43, v47, v43 dst_sel:DWORD dst_unused:UNUSED_PAD src0_sel:BYTE_1 src1_sel:DWORD
	v_and_b32_sdwa v47, v42, s33 dst_sel:DWORD dst_unused:UNUSED_PAD src0_sel:WORD_1 src1_sel:DWORD
	v_sub_i16 v32, v47, v32 clamp
	v_lshlrev_b16_sdwa v42, v35, v42 dst_sel:DWORD dst_unused:UNUSED_PAD src0_sel:DWORD src1_sel:WORD_1
	v_lshlrev_b16_e32 v47, 8, v56
	v_and_b32_e32 v32, 0xffffff00, v32
	v_sub_i16 v42, v42, v47 clamp
	v_or_b32_sdwa v32, v42, v32 dst_sel:WORD_1 dst_unused:UNUSED_PAD src0_sel:BYTE_1 src1_sel:DWORD
	v_mov_b32_e32 v42, 0
	v_or_b32_sdwa v32, v43, v32 dst_sel:DWORD dst_unused:UNUSED_PAD src0_sel:WORD_0 src1_sel:DWORD
	v_lshlrev_b32_e32 v43, 6, v49
	v_and_or_b32 v43, v43, s31, v44
	v_lshrrev_b16_e32 v44, 8, v45
	v_lshlrev_b16_e32 v45, 7, v45
	v_bfe_u32 v52, v44, 3, 1
	v_lshlrev_b32_e32 v47, 5, v44
	v_ashrrev_i16_e32 v51, 15, v45
	v_lshrrev_b32_e32 v45, 1, v44
	v_cmp_ne_u16_e32 vcc, 0, v52
	v_bfe_i32 v45, v45, 0, 1
	v_lshrrev_b16_e32 v47, 7, v47
	v_cndmask_b32_e64 v52, 0, -1, vcc
	v_bfe_i32 v47, v47, 0, 1
	v_lshlrev_b16_e32 v53, 8, v45
	v_lshlrev_b16_e32 v52, 8, v52
	v_or_b32_sdwa v45, v51, v53 dst_sel:DWORD dst_unused:UNUSED_PAD src0_sel:BYTE_0 src1_sel:DWORD
	v_or_b32_sdwa v54, v47, v52 dst_sel:WORD_1 dst_unused:UNUSED_PAD src0_sel:BYTE_0 src1_sel:DWORD
	v_bfe_i32 v55, v44, 4, 1
	v_or_b32_sdwa v54, v45, v54 dst_sel:DWORD dst_unused:UNUSED_PAD src0_sel:WORD_0 src1_sel:DWORD
	v_lshlrev_b32_e32 v45, 1, v44
	v_lshrrev_b32_e32 v56, 5, v44
	v_lshrrev_b32_e32 v44, 7, v44
	v_cmp_ne_u16_e32 vcc, 0, v44
	v_bfe_i32 v56, v56, 0, 1
	v_lshrrev_b16_e32 v45, 7, v45
	v_cndmask_b32_e64 v44, 0, -1, vcc
	v_bfe_i32 v57, v45, 0, 1
	v_lshlrev_b16_e32 v56, 8, v56
	v_lshlrev_b16_e32 v58, 8, v44
	v_lshlrev_b32_e32 v43, 3, v43
	v_or_b32_sdwa v45, v55, v56 dst_sel:DWORD dst_unused:UNUSED_PAD src0_sel:BYTE_0 src1_sel:DWORD
	v_or_b32_sdwa v44, v57, v58 dst_sel:WORD_1 dst_unused:UNUSED_PAD src0_sel:BYTE_0 src1_sel:DWORD
	v_lshlrev_b16_e32 v51, 8, v51
	v_or_b32_sdwa v59, v45, v44 dst_sel:DWORD dst_unused:UNUSED_PAD src0_sel:WORD_0 src1_sel:DWORD
	global_load_dwordx2 v[44:45], v43, s[20:21]
	v_lshlrev_b16_e32 v47, 8, v47
	v_dot4c_i32_i8_e32 v42, v31, v5
	v_dot4c_i32_i8_e32 v42, v32, v6
	s_waitcnt vmcnt(0)
	v_xor_b32_e32 v43, v44, v54
	v_and_b32_e32 v44, 0xffffff00, v43
	v_sub_i16 v44, v44, v53 clamp
	v_lshlrev_b16_e32 v53, 8, v43
	v_and_b32_e32 v44, 0xffffff00, v44
	v_sub_i16 v51, v53, v51 clamp
	v_or_b32_sdwa v44, v51, v44 dst_sel:DWORD dst_unused:UNUSED_PAD src0_sel:BYTE_1 src1_sel:DWORD
	v_and_b32_sdwa v51, v43, s33 dst_sel:DWORD dst_unused:UNUSED_PAD src0_sel:WORD_1 src1_sel:DWORD
	v_sub_i16 v51, v51, v52 clamp
	v_lshlrev_b16_sdwa v43, v35, v43 dst_sel:DWORD dst_unused:UNUSED_PAD src0_sel:DWORD src1_sel:WORD_1
	v_and_b32_e32 v51, 0xffffff00, v51
	v_sub_i16 v43, v43, v47 clamp
	v_or_b32_sdwa v43, v43, v51 dst_sel:WORD_1 dst_unused:UNUSED_PAD src0_sel:BYTE_1 src1_sel:DWORD
	v_lshlrev_b16_e32 v51, 8, v55
	v_or_b32_sdwa v43, v44, v43 dst_sel:DWORD dst_unused:UNUSED_PAD src0_sel:WORD_0 src1_sel:DWORD
	v_xor_b32_e32 v44, v45, v59
	v_and_b32_e32 v45, 0xffffff00, v44
	v_sub_i16 v45, v45, v56 clamp
	v_lshlrev_b16_e32 v47, 8, v44
	v_and_b32_e32 v45, 0xffffff00, v45
	v_sub_i16 v47, v47, v51 clamp
	v_or_b32_sdwa v45, v47, v45 dst_sel:DWORD dst_unused:UNUSED_PAD src0_sel:BYTE_1 src1_sel:DWORD
	v_and_b32_sdwa v47, v44, s33 dst_sel:DWORD dst_unused:UNUSED_PAD src0_sel:WORD_1 src1_sel:DWORD
	v_sub_i16 v47, v47, v58 clamp
	v_lshlrev_b16_sdwa v44, v35, v44 dst_sel:DWORD dst_unused:UNUSED_PAD src0_sel:DWORD src1_sel:WORD_1
	v_lshlrev_b16_e32 v51, 8, v57
	v_and_b32_e32 v47, 0xffffff00, v47
	v_sub_i16 v44, v44, v51 clamp
	v_or_b32_sdwa v44, v44, v47 dst_sel:WORD_1 dst_unused:UNUSED_PAD src0_sel:BYTE_1 src1_sel:DWORD
	v_and_b32_e32 v51, 1, v50
	v_or_b32_sdwa v44, v45, v44 dst_sel:DWORD dst_unused:UNUSED_PAD src0_sel:WORD_0 src1_sel:DWORD
	v_and_b32_sdwa v45, s30, v46 dst_sel:DWORD dst_unused:UNUSED_PAD src0_sel:DWORD src1_sel:BYTE_0
	v_lshlrev_b32_e32 v46, 4, v49
	v_and_or_b32 v45, v46, s31, v45
	v_and_b32_sdwa v46, s30, v50 dst_sel:DWORD dst_unused:UNUSED_PAD src0_sel:DWORD src1_sel:BYTE_0
	v_lshlrev_b32_e32 v47, 5, v46
	v_lshrrev_b16_e32 v47, 7, v47
	v_bfe_i32 v53, v47, 0, 1
	v_bfe_u32 v47, v46, 3, 1
	v_lshrrev_b32_e32 v52, 1, v46
	v_cmp_ne_u16_e32 vcc, 0, v47
	v_bfe_i32 v52, v52, 0, 1
	v_sub_u16_e32 v51, 0, v51
	v_cndmask_b32_e64 v47, 0, -1, vcc
	v_lshlrev_b16_e32 v52, 8, v52
	v_lshlrev_b16_e32 v55, 8, v47
	v_or_b32_sdwa v54, v51, v52 dst_sel:DWORD dst_unused:UNUSED_PAD src0_sel:BYTE_0 src1_sel:DWORD
	v_or_b32_sdwa v47, v53, v55 dst_sel:WORD_1 dst_unused:UNUSED_PAD src0_sel:BYTE_0 src1_sel:DWORD
	v_bfe_i32 v56, v46, 4, 1
	v_or_b32_sdwa v54, v54, v47 dst_sel:DWORD dst_unused:UNUSED_PAD src0_sel:WORD_0 src1_sel:DWORD
	v_lshlrev_b32_e32 v47, 1, v46
	v_lshrrev_b32_e32 v57, 5, v46
	v_lshrrev_b32_e32 v46, 7, v46
	v_cmp_ne_u16_e32 vcc, 0, v46
	v_bfe_i32 v57, v57, 0, 1
	v_lshrrev_b16_e32 v47, 7, v47
	v_cndmask_b32_e64 v46, 0, -1, vcc
	v_bfe_i32 v58, v47, 0, 1
	v_lshlrev_b16_e32 v57, 8, v57
	v_lshlrev_b16_e32 v59, 8, v46
	v_lshlrev_b32_e32 v45, 3, v45
	v_or_b32_sdwa v47, v56, v57 dst_sel:DWORD dst_unused:UNUSED_PAD src0_sel:BYTE_0 src1_sel:DWORD
	v_or_b32_sdwa v46, v58, v59 dst_sel:WORD_1 dst_unused:UNUSED_PAD src0_sel:BYTE_0 src1_sel:DWORD
	v_lshlrev_b16_e32 v51, 8, v51
	v_or_b32_sdwa v60, v47, v46 dst_sel:DWORD dst_unused:UNUSED_PAD src0_sel:WORD_0 src1_sel:DWORD
	global_load_dwordx2 v[46:47], v45, s[20:21]
	v_lshlrev_b32_e32 v49, 2, v49
	v_and_or_b32 v48, v49, s31, v48
	v_lshrrev_b16_e32 v49, 8, v50
	v_lshlrev_b16_e32 v50, 7, v50
	v_ashrrev_i16_e32 v50, 15, v50
	v_lshlrev_b32_e32 v48, 3, v48
	v_dot4c_i32_i8_e32 v42, v43, v7
	v_dot4c_i32_i8_e32 v42, v44, v0
	s_waitcnt vmcnt(0)
	v_xor_b32_e32 v45, v46, v54
	v_and_b32_e32 v46, 0xffffff00, v45
	v_sub_i16 v46, v46, v52 clamp
	v_lshlrev_b16_e32 v52, 8, v45
	v_and_b32_e32 v46, 0xffffff00, v46
	v_sub_i16 v51, v52, v51 clamp
	v_or_b32_sdwa v46, v51, v46 dst_sel:DWORD dst_unused:UNUSED_PAD src0_sel:BYTE_1 src1_sel:DWORD
	v_and_b32_sdwa v51, v45, s33 dst_sel:DWORD dst_unused:UNUSED_PAD src0_sel:WORD_1 src1_sel:DWORD
	v_sub_i16 v51, v51, v55 clamp
	v_lshlrev_b16_sdwa v45, v35, v45 dst_sel:DWORD dst_unused:UNUSED_PAD src0_sel:DWORD src1_sel:WORD_1
	v_lshlrev_b16_e32 v52, 8, v53
	v_and_b32_e32 v51, 0xffffff00, v51
	v_sub_i16 v45, v45, v52 clamp
	v_or_b32_sdwa v45, v45, v51 dst_sel:WORD_1 dst_unused:UNUSED_PAD src0_sel:BYTE_1 src1_sel:DWORD
	v_lshlrev_b16_e32 v52, 8, v56
	v_or_b32_sdwa v45, v46, v45 dst_sel:DWORD dst_unused:UNUSED_PAD src0_sel:WORD_0 src1_sel:DWORD
	v_xor_b32_e32 v46, v47, v60
	v_and_b32_e32 v47, 0xffffff00, v46
	v_sub_i16 v47, v47, v57 clamp
	v_lshlrev_b16_e32 v51, 8, v46
	v_and_b32_e32 v47, 0xffffff00, v47
	v_sub_i16 v51, v51, v52 clamp
	v_or_b32_sdwa v47, v51, v47 dst_sel:DWORD dst_unused:UNUSED_PAD src0_sel:BYTE_1 src1_sel:DWORD
	v_and_b32_sdwa v51, v46, s33 dst_sel:DWORD dst_unused:UNUSED_PAD src0_sel:WORD_1 src1_sel:DWORD
	v_sub_i16 v51, v51, v59 clamp
	v_lshlrev_b16_sdwa v46, v35, v46 dst_sel:DWORD dst_unused:UNUSED_PAD src0_sel:DWORD src1_sel:WORD_1
	v_lshlrev_b16_e32 v52, 8, v58
	v_and_b32_e32 v51, 0xffffff00, v51
	v_sub_i16 v46, v46, v52 clamp
	v_bfe_u32 v53, v49, 3, 1
	v_or_b32_sdwa v46, v46, v51 dst_sel:WORD_1 dst_unused:UNUSED_PAD src0_sel:BYTE_1 src1_sel:DWORD
	v_lshlrev_b32_e32 v51, 5, v49
	v_lshrrev_b32_e32 v52, 1, v49
	v_cmp_ne_u16_e32 vcc, 0, v53
	v_bfe_i32 v52, v52, 0, 1
	v_lshrrev_b16_e32 v51, 7, v51
	v_cndmask_b32_e64 v53, 0, -1, vcc
	v_bfe_i32 v51, v51, 0, 1
	v_lshlrev_b16_e32 v52, 8, v52
	v_lshlrev_b16_e32 v53, 8, v53
	v_or_b32_sdwa v54, v50, v52 dst_sel:DWORD dst_unused:UNUSED_PAD src0_sel:BYTE_0 src1_sel:DWORD
	v_or_b32_sdwa v55, v51, v53 dst_sel:WORD_1 dst_unused:UNUSED_PAD src0_sel:BYTE_0 src1_sel:DWORD
	v_bfe_i32 v56, v49, 4, 1
	v_or_b32_sdwa v54, v54, v55 dst_sel:DWORD dst_unused:UNUSED_PAD src0_sel:WORD_0 src1_sel:DWORD
	v_lshlrev_b32_e32 v55, 1, v49
	v_lshrrev_b32_e32 v57, 5, v49
	v_lshrrev_b32_e32 v49, 7, v49
	v_cmp_ne_u16_e32 vcc, 0, v49
	v_bfe_i32 v57, v57, 0, 1
	v_lshrrev_b16_e32 v55, 7, v55
	v_cndmask_b32_e64 v49, 0, -1, vcc
	v_bfe_i32 v55, v55, 0, 1
	v_lshlrev_b16_e32 v57, 8, v57
	v_lshlrev_b16_e32 v59, 8, v49
	v_or_b32_sdwa v58, v56, v57 dst_sel:DWORD dst_unused:UNUSED_PAD src0_sel:BYTE_0 src1_sel:DWORD
	v_or_b32_sdwa v49, v55, v59 dst_sel:WORD_1 dst_unused:UNUSED_PAD src0_sel:BYTE_0 src1_sel:DWORD
	v_lshlrev_b16_e32 v50, 8, v50
	v_or_b32_sdwa v58, v58, v49 dst_sel:DWORD dst_unused:UNUSED_PAD src0_sel:WORD_0 src1_sel:DWORD
	global_load_dwordx2 v[48:49], v48, s[20:21]
	v_lshlrev_b16_e32 v51, 8, v51
	v_or_b32_sdwa v46, v47, v46 dst_sel:DWORD dst_unused:UNUSED_PAD src0_sel:WORD_0 src1_sel:DWORD
	v_mov_b32_e32 v47, 0
	v_dot4c_i32_i8_e32 v47, v45, v1
	v_dot4c_i32_i8_e32 v47, v46, v2
	s_waitcnt vmcnt(0)
	v_xor_b32_e32 v48, v48, v54
	v_and_b32_e32 v54, 0xffffff00, v48
	v_sub_i16 v52, v54, v52 clamp
	v_lshlrev_b16_e32 v54, 8, v48
	v_and_b32_e32 v52, 0xffffff00, v52
	v_sub_i16 v50, v54, v50 clamp
	v_or_b32_sdwa v50, v50, v52 dst_sel:DWORD dst_unused:UNUSED_PAD src0_sel:BYTE_1 src1_sel:DWORD
	v_and_b32_sdwa v52, v48, s33 dst_sel:DWORD dst_unused:UNUSED_PAD src0_sel:WORD_1 src1_sel:DWORD
	v_sub_i16 v52, v52, v53 clamp
	v_lshlrev_b16_sdwa v48, v35, v48 dst_sel:DWORD dst_unused:UNUSED_PAD src0_sel:DWORD src1_sel:WORD_1
	v_and_b32_e32 v52, 0xffffff00, v52
	v_sub_i16 v48, v48, v51 clamp
	v_or_b32_sdwa v48, v48, v52 dst_sel:WORD_1 dst_unused:UNUSED_PAD src0_sel:BYTE_1 src1_sel:DWORD
	v_xor_b32_e32 v49, v49, v58
	v_or_b32_sdwa v48, v50, v48 dst_sel:DWORD dst_unused:UNUSED_PAD src0_sel:WORD_0 src1_sel:DWORD
	v_and_b32_e32 v50, 0xffffff00, v49
	v_sub_i16 v50, v50, v57 clamp
	v_lshlrev_b16_e32 v51, 8, v49
	v_lshlrev_b16_e32 v52, 8, v56
	v_and_b32_e32 v50, 0xffffff00, v50
	v_sub_i16 v51, v51, v52 clamp
	v_or_b32_sdwa v50, v51, v50 dst_sel:DWORD dst_unused:UNUSED_PAD src0_sel:BYTE_1 src1_sel:DWORD
	v_and_b32_sdwa v51, v49, s33 dst_sel:DWORD dst_unused:UNUSED_PAD src0_sel:WORD_1 src1_sel:DWORD
	v_sub_i16 v51, v51, v59 clamp
	v_lshlrev_b16_sdwa v49, v35, v49 dst_sel:DWORD dst_unused:UNUSED_PAD src0_sel:DWORD src1_sel:WORD_1
	v_lshlrev_b16_e32 v52, 8, v55
	v_and_b32_e32 v51, 0xffffff00, v51
	v_sub_i16 v49, v49, v52 clamp
	v_or_b32_sdwa v49, v49, v51 dst_sel:WORD_1 dst_unused:UNUSED_PAD src0_sel:BYTE_1 src1_sel:DWORD
	v_dot4c_i32_i8_e32 v47, v48, v3
	v_or_b32_sdwa v49, v50, v49 dst_sel:DWORD dst_unused:UNUSED_PAD src0_sel:WORD_0 src1_sel:DWORD
	global_load_ushort v50, v[24:25], off
	global_load_ushort v51, v[26:27], off offset:2
	global_load_ushort v54, v[26:27], off offset:4
	global_load_ubyte v57, v[22:23], off offset:66
	global_load_ushort v58, v[26:27], off offset:34
	global_load_ushort v59, v[26:27], off offset:36
	v_dot4c_i32_i8_e32 v47, v49, v30
	s_waitcnt vmcnt(4)
	v_lshrrev_b16_e32 v55, 8, v51
	v_and_b32_sdwa v51, s30, v51 dst_sel:DWORD dst_unused:UNUSED_PAD src0_sel:DWORD src1_sel:BYTE_0
	s_waitcnt vmcnt(2)
	v_lshlrev_b32_e32 v52, 8, v57
	v_and_or_b32 v51, v52, s31, v51
	s_waitcnt vmcnt(1)
	v_and_b32_sdwa v52, s30, v58 dst_sel:DWORD dst_unused:UNUSED_PAD src0_sel:DWORD src1_sel:BYTE_0
	v_lshlrev_b32_e32 v53, 5, v52
	v_lshrrev_b16_e32 v53, 7, v53
	v_bfe_i32 v62, v53, 0, 1
	v_bfe_u32 v53, v52, 3, 1
	v_lshrrev_b32_e32 v61, 1, v52
	v_cmp_ne_u16_e32 vcc, 0, v53
	v_and_b32_e32 v60, 1, v58
	v_bfe_i32 v61, v61, 0, 1
	v_cndmask_b32_e64 v53, 0, -1, vcc
	v_sub_u16_e32 v60, 0, v60
	v_lshlrev_b16_e32 v61, 8, v61
	v_lshlrev_b16_e32 v64, 8, v53
	v_or_b32_sdwa v63, v60, v61 dst_sel:DWORD dst_unused:UNUSED_PAD src0_sel:BYTE_0 src1_sel:DWORD
	v_or_b32_sdwa v53, v62, v64 dst_sel:WORD_1 dst_unused:UNUSED_PAD src0_sel:BYTE_0 src1_sel:DWORD
	v_bfe_i32 v65, v52, 4, 1
	v_or_b32_sdwa v63, v63, v53 dst_sel:DWORD dst_unused:UNUSED_PAD src0_sel:WORD_0 src1_sel:DWORD
	v_lshlrev_b32_e32 v53, 1, v52
	v_lshrrev_b32_e32 v66, 5, v52
	v_lshrrev_b32_e32 v52, 7, v52
	v_cmp_ne_u16_e32 vcc, 0, v52
	v_bfe_i32 v66, v66, 0, 1
	v_lshrrev_b16_e32 v53, 7, v53
	v_cndmask_b32_e64 v52, 0, -1, vcc
	v_bfe_i32 v67, v53, 0, 1
	v_lshlrev_b16_e32 v66, 8, v66
	v_lshlrev_b16_e32 v68, 8, v52
	v_lshlrev_b32_e32 v51, 3, v51
	v_or_b32_sdwa v53, v65, v66 dst_sel:DWORD dst_unused:UNUSED_PAD src0_sel:BYTE_0 src1_sel:DWORD
	v_or_b32_sdwa v52, v67, v68 dst_sel:WORD_1 dst_unused:UNUSED_PAD src0_sel:BYTE_0 src1_sel:DWORD
	v_lshlrev_b16_e32 v60, 8, v60
	v_or_b32_sdwa v69, v53, v52 dst_sel:DWORD dst_unused:UNUSED_PAD src0_sel:WORD_0 src1_sel:DWORD
	global_load_dwordx2 v[52:53], v51, s[20:21]
	v_lshrrev_b16_e32 v56, 8, v54
	s_waitcnt vmcnt(0)
	v_xor_b32_e32 v51, v52, v63
	v_and_b32_e32 v52, 0xffffff00, v51
	v_sub_i16 v52, v52, v61 clamp
	v_lshlrev_b16_e32 v61, 8, v51
	v_and_b32_e32 v52, 0xffffff00, v52
	v_sub_i16 v60, v61, v60 clamp
	v_or_b32_sdwa v52, v60, v52 dst_sel:DWORD dst_unused:UNUSED_PAD src0_sel:BYTE_1 src1_sel:DWORD
	v_and_b32_sdwa v60, v51, s33 dst_sel:DWORD dst_unused:UNUSED_PAD src0_sel:WORD_1 src1_sel:DWORD
	v_sub_i16 v60, v60, v64 clamp
	v_lshlrev_b16_sdwa v51, v35, v51 dst_sel:DWORD dst_unused:UNUSED_PAD src0_sel:DWORD src1_sel:WORD_1
	v_lshlrev_b16_e32 v61, 8, v62
	v_and_b32_e32 v60, 0xffffff00, v60
	v_sub_i16 v51, v51, v61 clamp
	v_or_b32_sdwa v51, v51, v60 dst_sel:WORD_1 dst_unused:UNUSED_PAD src0_sel:BYTE_1 src1_sel:DWORD
	v_lshlrev_b16_e32 v61, 8, v65
	v_or_b32_sdwa v60, v52, v51 dst_sel:DWORD dst_unused:UNUSED_PAD src0_sel:WORD_0 src1_sel:DWORD
	v_xor_b32_e32 v51, v53, v69
	v_and_b32_e32 v52, 0xffffff00, v51
	v_sub_i16 v52, v52, v66 clamp
	v_lshlrev_b16_e32 v53, 8, v51
	v_and_b32_e32 v52, 0xffffff00, v52
	v_sub_i16 v53, v53, v61 clamp
	v_or_b32_sdwa v52, v53, v52 dst_sel:DWORD dst_unused:UNUSED_PAD src0_sel:BYTE_1 src1_sel:DWORD
	v_and_b32_sdwa v53, v51, s33 dst_sel:DWORD dst_unused:UNUSED_PAD src0_sel:WORD_1 src1_sel:DWORD
	v_sub_i16 v53, v53, v68 clamp
	v_lshlrev_b16_sdwa v51, v35, v51 dst_sel:DWORD dst_unused:UNUSED_PAD src0_sel:DWORD src1_sel:WORD_1
	v_lshlrev_b16_e32 v61, 8, v67
	v_and_b32_e32 v53, 0xffffff00, v53
	v_sub_i16 v51, v51, v61 clamp
	v_or_b32_sdwa v51, v51, v53 dst_sel:WORD_1 dst_unused:UNUSED_PAD src0_sel:BYTE_1 src1_sel:DWORD
	v_lshlrev_b16_e32 v53, 7, v58
	v_or_b32_sdwa v61, v52, v51 dst_sel:DWORD dst_unused:UNUSED_PAD src0_sel:WORD_0 src1_sel:DWORD
	v_mov_b32_e32 v51, 0
	v_dot4c_i32_i8_e32 v51, v60, v5
	v_dot4c_i32_i8_e32 v51, v61, v6
	v_lshrrev_b16_e32 v6, 8, v58
	v_lshlrev_b32_e32 v52, 5, v6
	v_lshrrev_b16_e32 v52, 7, v52
	v_lshlrev_b32_e32 v5, 6, v57
	v_bfe_i32 v58, v52, 0, 1
	v_bfe_u32 v52, v6, 3, 1
	v_and_or_b32 v5, v5, s31, v55
	v_ashrrev_i16_e32 v55, 15, v53
	v_lshrrev_b32_e32 v53, 1, v6
	v_cmp_ne_u16_e32 vcc, 0, v52
	v_bfe_i32 v53, v53, 0, 1
	v_lshlrev_b16_e32 v62, 8, v53
	v_cndmask_b32_e64 v52, 0, -1, vcc
	v_lshlrev_b16_e32 v63, 8, v52
	v_or_b32_sdwa v53, v55, v62 dst_sel:DWORD dst_unused:UNUSED_PAD src0_sel:BYTE_0 src1_sel:DWORD
	v_or_b32_sdwa v52, v58, v63 dst_sel:WORD_1 dst_unused:UNUSED_PAD src0_sel:BYTE_0 src1_sel:DWORD
	v_bfe_i32 v65, v6, 4, 1
	v_or_b32_sdwa v64, v53, v52 dst_sel:DWORD dst_unused:UNUSED_PAD src0_sel:WORD_0 src1_sel:DWORD
	v_lshlrev_b32_e32 v52, 1, v6
	v_lshrrev_b32_e32 v53, 5, v6
	v_lshrrev_b32_e32 v6, 7, v6
	v_cmp_ne_u16_e32 vcc, 0, v6
	v_bfe_i32 v53, v53, 0, 1
	v_lshrrev_b16_e32 v52, 7, v52
	v_cndmask_b32_e64 v6, 0, -1, vcc
	v_bfe_i32 v66, v52, 0, 1
	v_lshlrev_b16_e32 v67, 8, v53
	v_lshlrev_b16_e32 v6, 8, v6
	v_lshlrev_b32_e32 v5, 3, v5
	v_or_b32_sdwa v52, v65, v67 dst_sel:DWORD dst_unused:UNUSED_PAD src0_sel:BYTE_0 src1_sel:DWORD
	v_or_b32_sdwa v53, v66, v6 dst_sel:WORD_1 dst_unused:UNUSED_PAD src0_sel:BYTE_0 src1_sel:DWORD
	v_lshlrev_b16_e32 v55, 8, v55
	v_or_b32_sdwa v68, v52, v53 dst_sel:DWORD dst_unused:UNUSED_PAD src0_sel:WORD_0 src1_sel:DWORD
	global_load_dwordx2 v[52:53], v5, s[20:21]
	v_lshlrev_b16_e32 v58, 8, v58
	s_waitcnt vmcnt(0)
	v_xor_b32_e32 v5, v52, v64
	v_and_b32_e32 v52, 0xffffff00, v5
	v_sub_i16 v52, v52, v62 clamp
	v_lshlrev_b16_e32 v62, 8, v5
	v_and_b32_e32 v52, 0xffffff00, v52
	v_sub_i16 v55, v62, v55 clamp
	v_or_b32_sdwa v52, v55, v52 dst_sel:DWORD dst_unused:UNUSED_PAD src0_sel:BYTE_1 src1_sel:DWORD
	v_and_b32_sdwa v55, v5, s33 dst_sel:DWORD dst_unused:UNUSED_PAD src0_sel:WORD_1 src1_sel:DWORD
	v_sub_i16 v55, v55, v63 clamp
	v_lshlrev_b16_sdwa v5, v35, v5 dst_sel:DWORD dst_unused:UNUSED_PAD src0_sel:DWORD src1_sel:WORD_1
	v_and_b32_e32 v55, 0xffffff00, v55
	v_sub_i16 v5, v5, v58 clamp
	v_or_b32_sdwa v5, v5, v55 dst_sel:WORD_1 dst_unused:UNUSED_PAD src0_sel:BYTE_1 src1_sel:DWORD
	v_lshlrev_b16_e32 v55, 8, v65
	v_or_b32_sdwa v58, v52, v5 dst_sel:DWORD dst_unused:UNUSED_PAD src0_sel:WORD_0 src1_sel:DWORD
	v_xor_b32_e32 v5, v53, v68
	v_and_b32_e32 v52, 0xffffff00, v5
	v_sub_i16 v52, v52, v67 clamp
	v_lshlrev_b16_e32 v53, 8, v5
	v_and_b32_e32 v52, 0xffffff00, v52
	v_sub_i16 v53, v53, v55 clamp
	v_or_b32_sdwa v52, v53, v52 dst_sel:DWORD dst_unused:UNUSED_PAD src0_sel:BYTE_1 src1_sel:DWORD
	v_and_b32_sdwa v53, v5, s33 dst_sel:DWORD dst_unused:UNUSED_PAD src0_sel:WORD_1 src1_sel:DWORD
	v_sub_i16 v6, v53, v6 clamp
	v_lshlrev_b16_sdwa v5, v35, v5 dst_sel:DWORD dst_unused:UNUSED_PAD src0_sel:DWORD src1_sel:WORD_1
	v_lshlrev_b16_e32 v53, 8, v66
	v_and_b32_e32 v6, 0xffffff00, v6
	v_sub_i16 v5, v5, v53 clamp
	v_or_b32_sdwa v5, v5, v6 dst_sel:WORD_1 dst_unused:UNUSED_PAD src0_sel:BYTE_1 src1_sel:DWORD
	v_dot4c_i32_i8_e32 v51, v58, v7
	v_or_b32_sdwa v62, v52, v5 dst_sel:DWORD dst_unused:UNUSED_PAD src0_sel:WORD_0 src1_sel:DWORD
	v_dot4c_i32_i8_e32 v51, v62, v0
	v_and_b32_sdwa v0, s30, v54 dst_sel:DWORD dst_unused:UNUSED_PAD src0_sel:DWORD src1_sel:BYTE_0
	v_lshlrev_b32_e32 v5, 4, v57
	v_and_or_b32 v0, v5, s31, v0
	v_and_b32_sdwa v5, s30, v59 dst_sel:DWORD dst_unused:UNUSED_PAD src0_sel:DWORD src1_sel:BYTE_0
	v_lshlrev_b32_e32 v6, 5, v5
	v_lshrrev_b16_e32 v6, 7, v6
	v_and_b32_e32 v7, 1, v59
	v_bfe_i32 v53, v6, 0, 1
	v_bfe_u32 v6, v5, 3, 1
	v_sub_u16_e32 v52, 0, v7
	v_lshrrev_b32_e32 v7, 1, v5
	v_cmp_ne_u16_e32 vcc, 0, v6
	v_bfe_i32 v7, v7, 0, 1
	v_lshlrev_b16_e32 v54, 8, v7
	v_cndmask_b32_e64 v6, 0, -1, vcc
	v_lshlrev_b16_e32 v55, 8, v6
	v_or_b32_sdwa v7, v52, v54 dst_sel:DWORD dst_unused:UNUSED_PAD src0_sel:BYTE_0 src1_sel:DWORD
	v_or_b32_sdwa v6, v53, v55 dst_sel:WORD_1 dst_unused:UNUSED_PAD src0_sel:BYTE_0 src1_sel:DWORD
	v_bfe_i32 v64, v5, 4, 1
	v_or_b32_sdwa v63, v7, v6 dst_sel:DWORD dst_unused:UNUSED_PAD src0_sel:WORD_0 src1_sel:DWORD
	v_lshlrev_b32_e32 v6, 1, v5
	v_lshrrev_b32_e32 v7, 5, v5
	v_lshrrev_b32_e32 v5, 7, v5
	v_cmp_ne_u16_e32 vcc, 0, v5
	v_bfe_i32 v7, v7, 0, 1
	v_lshrrev_b16_e32 v6, 7, v6
	v_cndmask_b32_e64 v5, 0, -1, vcc
	v_bfe_i32 v65, v6, 0, 1
	v_lshlrev_b16_e32 v66, 8, v7
	v_lshlrev_b16_e32 v5, 8, v5
	v_lshlrev_b32_e32 v0, 3, v0
	v_or_b32_sdwa v6, v64, v66 dst_sel:DWORD dst_unused:UNUSED_PAD src0_sel:BYTE_0 src1_sel:DWORD
	v_or_b32_sdwa v7, v65, v5 dst_sel:WORD_1 dst_unused:UNUSED_PAD src0_sel:BYTE_0 src1_sel:DWORD
	v_lshlrev_b16_e32 v52, 8, v52
	v_or_b32_sdwa v67, v6, v7 dst_sel:DWORD dst_unused:UNUSED_PAD src0_sel:WORD_0 src1_sel:DWORD
	global_load_dwordx2 v[6:7], v0, s[20:21]
	v_lshlrev_b16_e32 v53, 8, v53
	s_waitcnt vmcnt(0)
	v_xor_b32_e32 v0, v6, v63
	v_and_b32_e32 v6, 0xffffff00, v0
	v_sub_i16 v6, v6, v54 clamp
	v_lshlrev_b16_e32 v54, 8, v0
	v_and_b32_e32 v6, 0xffffff00, v6
	v_sub_i16 v52, v54, v52 clamp
	v_or_b32_sdwa v6, v52, v6 dst_sel:DWORD dst_unused:UNUSED_PAD src0_sel:BYTE_1 src1_sel:DWORD
	v_and_b32_sdwa v52, v0, s33 dst_sel:DWORD dst_unused:UNUSED_PAD src0_sel:WORD_1 src1_sel:DWORD
	v_sub_i16 v52, v52, v55 clamp
	v_lshlrev_b16_sdwa v0, v35, v0 dst_sel:DWORD dst_unused:UNUSED_PAD src0_sel:DWORD src1_sel:WORD_1
	v_and_b32_e32 v52, 0xffffff00, v52
	v_sub_i16 v0, v0, v53 clamp
	v_or_b32_sdwa v0, v0, v52 dst_sel:WORD_1 dst_unused:UNUSED_PAD src0_sel:BYTE_1 src1_sel:DWORD
	v_lshlrev_b16_e32 v52, 8, v64
	v_or_b32_sdwa v63, v6, v0 dst_sel:DWORD dst_unused:UNUSED_PAD src0_sel:WORD_0 src1_sel:DWORD
	v_xor_b32_e32 v0, v7, v67
	v_and_b32_e32 v6, 0xffffff00, v0
	v_sub_i16 v6, v6, v66 clamp
	v_lshlrev_b16_e32 v7, 8, v0
	v_and_b32_e32 v6, 0xffffff00, v6
	v_sub_i16 v7, v7, v52 clamp
	v_or_b32_sdwa v6, v7, v6 dst_sel:DWORD dst_unused:UNUSED_PAD src0_sel:BYTE_1 src1_sel:DWORD
	v_and_b32_sdwa v7, v0, s33 dst_sel:DWORD dst_unused:UNUSED_PAD src0_sel:WORD_1 src1_sel:DWORD
	v_sub_i16 v5, v7, v5 clamp
	v_lshlrev_b16_sdwa v0, v35, v0 dst_sel:DWORD dst_unused:UNUSED_PAD src0_sel:DWORD src1_sel:WORD_1
	v_lshlrev_b16_e32 v7, 8, v65
	v_and_b32_e32 v5, 0xffffff00, v5
	v_sub_i16 v0, v0, v7 clamp
	v_or_b32_sdwa v0, v0, v5 dst_sel:WORD_1 dst_unused:UNUSED_PAD src0_sel:BYTE_1 src1_sel:DWORD
	v_mov_b32_e32 v5, 0
	v_dot4c_i32_i8_e32 v5, v63, v1
	v_lshrrev_b16_e32 v1, 8, v59
	v_or_b32_sdwa v64, v6, v0 dst_sel:DWORD dst_unused:UNUSED_PAD src0_sel:WORD_0 src1_sel:DWORD
	v_bfe_u32 v52, v1, 3, 1
	v_dot4c_i32_i8_e32 v5, v64, v2
	v_lshlrev_b32_e32 v2, 5, v1
	v_lshrrev_b32_e32 v7, 1, v1
	v_cmp_ne_u16_e32 vcc, 0, v52
	v_lshlrev_b16_e32 v6, 7, v59
	v_bfe_i32 v7, v7, 0, 1
	v_lshrrev_b16_e32 v2, 7, v2
	v_cndmask_b32_e64 v52, 0, -1, vcc
	v_ashrrev_i16_e32 v6, 15, v6
	v_bfe_i32 v2, v2, 0, 1
	v_lshlrev_b16_e32 v7, 8, v7
	v_lshlrev_b16_e32 v52, 8, v52
	v_lshlrev_b32_e32 v0, 2, v57
	v_or_b32_sdwa v53, v6, v7 dst_sel:DWORD dst_unused:UNUSED_PAD src0_sel:BYTE_0 src1_sel:DWORD
	v_or_b32_sdwa v54, v2, v52 dst_sel:WORD_1 dst_unused:UNUSED_PAD src0_sel:BYTE_0 src1_sel:DWORD
	v_and_or_b32 v0, v0, s31, v56
	v_or_b32_sdwa v53, v53, v54 dst_sel:DWORD dst_unused:UNUSED_PAD src0_sel:WORD_0 src1_sel:DWORD
	v_lshlrev_b32_e32 v54, 1, v1
	v_bfe_i32 v55, v1, 4, 1
	v_lshrrev_b32_e32 v56, 5, v1
	v_lshrrev_b32_e32 v1, 7, v1
	v_cmp_ne_u16_e32 vcc, 0, v1
	v_bfe_i32 v56, v56, 0, 1
	v_lshrrev_b16_e32 v54, 7, v54
	v_cndmask_b32_e64 v1, 0, -1, vcc
	v_bfe_i32 v54, v54, 0, 1
	v_lshlrev_b16_e32 v56, 8, v56
	v_lshlrev_b16_e32 v59, 8, v1
	v_lshlrev_b32_e32 v0, 3, v0
	v_or_b32_sdwa v57, v55, v56 dst_sel:DWORD dst_unused:UNUSED_PAD src0_sel:BYTE_0 src1_sel:DWORD
	v_or_b32_sdwa v1, v54, v59 dst_sel:WORD_1 dst_unused:UNUSED_PAD src0_sel:BYTE_0 src1_sel:DWORD
	v_lshlrev_b16_e32 v6, 8, v6
	v_or_b32_sdwa v57, v57, v1 dst_sel:DWORD dst_unused:UNUSED_PAD src0_sel:WORD_0 src1_sel:DWORD
	global_load_dwordx2 v[0:1], v0, s[20:21]
	v_lshlrev_b16_e32 v2, 8, v2
	s_waitcnt vmcnt(0)
	v_xor_b32_e32 v0, v0, v53
	v_and_b32_e32 v53, 0xffffff00, v0
	v_sub_i16 v7, v53, v7 clamp
	v_lshlrev_b16_e32 v53, 8, v0
	v_and_b32_e32 v7, 0xffffff00, v7
	v_sub_i16 v6, v53, v6 clamp
	v_or_b32_sdwa v6, v6, v7 dst_sel:DWORD dst_unused:UNUSED_PAD src0_sel:BYTE_1 src1_sel:DWORD
	v_and_b32_sdwa v7, v0, s33 dst_sel:DWORD dst_unused:UNUSED_PAD src0_sel:WORD_1 src1_sel:DWORD
	v_sub_i16 v7, v7, v52 clamp
	v_lshlrev_b16_sdwa v0, v35, v0 dst_sel:DWORD dst_unused:UNUSED_PAD src0_sel:DWORD src1_sel:WORD_1
	v_and_b32_e32 v7, 0xffffff00, v7
	v_sub_i16 v0, v0, v2 clamp
	v_or_b32_sdwa v0, v0, v7 dst_sel:WORD_1 dst_unused:UNUSED_PAD src0_sel:BYTE_1 src1_sel:DWORD
	v_add_u32_e32 v7, v47, v42
	v_or_b32_sdwa v65, v6, v0 dst_sel:DWORD dst_unused:UNUSED_PAD src0_sel:WORD_0 src1_sel:DWORD
	v_xor_b32_e32 v0, v1, v57
	v_and_b32_e32 v1, 0xffffff00, v0
	v_sub_i16 v1, v1, v56 clamp
	v_lshlrev_b16_e32 v2, 8, v0
	v_lshlrev_b16_e32 v6, 8, v55
	v_and_b32_e32 v1, 0xffffff00, v1
	v_sub_i16 v2, v2, v6 clamp
	v_or_b32_sdwa v1, v2, v1 dst_sel:DWORD dst_unused:UNUSED_PAD src0_sel:BYTE_1 src1_sel:DWORD
	v_and_b32_sdwa v2, v0, s33 dst_sel:DWORD dst_unused:UNUSED_PAD src0_sel:WORD_1 src1_sel:DWORD
	v_sub_i16 v2, v2, v59 clamp
	v_lshlrev_b16_sdwa v0, v35, v0 dst_sel:DWORD dst_unused:UNUSED_PAD src0_sel:DWORD src1_sel:WORD_1
	v_lshlrev_b16_e32 v6, 8, v54
	v_and_b32_e32 v2, 0xffffff00, v2
	v_sub_i16 v0, v0, v6 clamp
	v_or_b32_sdwa v0, v0, v2 dst_sel:WORD_1 dst_unused:UNUSED_PAD src0_sel:BYTE_1 src1_sel:DWORD
	v_dot4c_i32_i8_e32 v5, v65, v3
	v_or_b32_sdwa v59, v1, v0 dst_sel:DWORD dst_unused:UNUSED_PAD src0_sel:WORD_0 src1_sel:DWORD
	global_load_ushort v0, v[10:11], off
	global_load_ubyte v1, v[8:9], off offset:74
	global_load_ubyte v2, v[22:23], off offset:74
	v_dot4c_i32_i8_e32 v5, v59, v30
	v_lshrrev_b32_e32 v30, 31, v7
	v_add_u32_e32 v7, v7, v30
	v_ashrrev_i32_e32 v7, 1, v7
	v_cvt_f32_f16_e32 v54, v50
	s_waitcnt vmcnt(2)
	v_cvt_f32_f16_e32 v55, v0
	s_waitcnt vmcnt(1)
	v_lshrrev_b32_e32 v67, 4, v1
	s_waitcnt vmcnt(0)
	v_lshrrev_b32_e32 v66, 4, v2
	v_and_b32_e32 v69, 15, v1
	v_mul_lo_u32 v6, v5, v66
	v_add_u32_e32 v5, v5, v51
	v_mul_lo_u32 v1, v42, v69
	v_mul_lo_u32 v3, v47, v67
	v_lshrrev_b32_e32 v30, 31, v5
	v_and_b32_e32 v68, 15, v2
	v_add_u32_e32 v5, v5, v30
	v_add3_u32 v1, v3, v1, v7
	v_mul_lo_u32 v2, v51, v68
	v_ashrrev_i32_e32 v5, 1, v5
	v_ashrrev_i32_e32 v3, 31, v1
	v_add3_u32 v2, v6, v2, v5
	v_lshrrev_b32_e32 v3, 30, v3
	v_add_u32_e32 v1, v1, v3
	v_ashrrev_i32_e32 v3, 31, v2
	v_lshrrev_b32_e32 v3, 30, v3
	v_add_u32_e32 v2, v2, v3
	v_ashrrev_i32_e32 v1, 2, v1
	v_ashrrev_i32_e32 v2, 2, v2
	v_cvt_f32_i32_e32 v7, v2
	v_cvt_f32_i32_e32 v6, v1
	scratch_load_dwordx4 v[0:3], off, off offset:32
	v_pk_mul_f32 v[4:5], v[4:5], v[54:55] op_sel_hi:[0,1]
	v_mov_b32_e32 v47, 0
	s_waitcnt vmcnt(0)
	v_pk_fma_f32 v[0:1], v[4:5], v[6:7], v[0:1]
	v_add_u32_e32 v4, s26, v34
	v_mad_u64_u32 v[4:5], s[34:35], v4, 36, s[24:25]
	v_mad_u64_u32 v[56:57], s[34:35], v14, 36, v[4:5]
	global_load_dword v42, v[56:57], off offset:32
	global_load_dwordx4 v[4:7], v[56:57], off offset:16
	global_load_dwordx4 v[50:53], v[56:57], off
	s_waitcnt vmcnt(0)
	v_dot4c_i32_i8_e32 v47, v31, v51
	v_dot4c_i32_i8_e32 v47, v32, v52
	v_mov_b32_e32 v32, 0
	v_dot4c_i32_i8_e32 v32, v60, v51
	v_dot4c_i32_i8_e32 v32, v61, v52
	;; [unrolled: 1-line block ×3, first 2 shown]
	v_mov_b32_e32 v31, 0
	v_dot4c_i32_i8_e32 v32, v58, v53
	v_dot4c_i32_i8_e32 v47, v44, v4
	;; [unrolled: 1-line block ×4, first 2 shown]
	v_mov_b32_e32 v4, 0
	v_dot4c_i32_i8_e32 v31, v46, v6
	v_dot4c_i32_i8_e32 v4, v63, v5
	;; [unrolled: 1-line block ×7, first 2 shown]
	v_mul_lo_u32 v6, v32, v68
	v_mul_lo_u32 v7, v31, v67
	v_add_u32_e32 v31, v31, v47
	v_mul_lo_u32 v42, v4, v66
	v_add_u32_e32 v4, v4, v32
	v_lshrrev_b32_e32 v32, 31, v31
	v_add_u32_e32 v31, v31, v32
	v_lshrrev_b32_e32 v32, 31, v4
	v_mul_lo_u32 v5, v47, v69
	v_ashrrev_i32_e32 v31, 1, v31
	v_add_u32_e32 v4, v4, v32
	v_ashrrev_i32_e32 v4, 1, v4
	v_add3_u32 v5, v7, v5, v31
	v_add3_u32 v4, v42, v6, v4
	v_ashrrev_i32_e32 v6, 31, v5
	v_lshrrev_b32_e32 v6, 30, v6
	v_add_u32_e32 v5, v5, v6
	v_ashrrev_i32_e32 v6, 2, v5
	v_ashrrev_i32_e32 v5, 31, v4
	v_lshrrev_b32_e32 v5, 30, v5
	v_add_u32_e32 v4, v4, v5
	v_cvt_f32_f16_e32 v30, v50
	v_ashrrev_i32_e32 v7, 2, v4
	v_cvt_f32_i32_e32 v7, v7
	v_cvt_f32_i32_e32 v6, v6
	v_pk_mul_f32 v[4:5], v[30:31], v[54:55] op_sel_hi:[0,1]
	v_pk_fma_f32 v[2:3], v[4:5], v[6:7], v[2:3]
	scratch_store_dwordx4 off, v[0:3], off offset:32
	s_nop 1
	v_add_u32_e32 v0, s19, v34
	v_mad_u64_u32 v[0:1], s[34:35], v0, 36, s[24:25]
	v_mad_u64_u32 v[30:31], s[34:35], v14, 36, v[0:1]
	global_load_dword v44, v[30:31], off offset:32
	global_load_dwordx4 v[0:3], v[30:31], off offset:16
	global_load_dwordx4 v[4:7], v[30:31], off
	s_nop 0
	global_load_ushort v30, v[28:29], off offset:2
	global_load_ushort v32, v[28:29], off offset:4
	global_load_ubyte v43, v[8:9], off offset:66
	global_load_ushort v31, v[28:29], off offset:34
	global_load_ushort v45, v[28:29], off offset:36
	s_waitcnt vmcnt(2)
	v_lshlrev_b32_e32 v29, 8, v43
	v_and_b32_e32 v49, 0x300, v29
	s_waitcnt vmcnt(1)
	v_and_b32_sdwa v29, s30, v31 dst_sel:DWORD dst_unused:UNUSED_PAD src0_sel:DWORD src1_sel:BYTE_0
	v_bfe_u32 v50, v29, 3, 1
	v_lshlrev_b32_e32 v46, 5, v29
	v_lshrrev_b32_e32 v48, 1, v29
	v_cmp_ne_u16_e32 vcc, 0, v50
	v_and_b32_e32 v47, 1, v31
	v_bfe_i32 v48, v48, 0, 1
	v_lshrrev_b16_e32 v46, 7, v46
	v_cndmask_b32_e64 v50, 0, -1, vcc
	v_sub_u16_e32 v47, 0, v47
	v_bfe_i32 v46, v46, 0, 1
	v_lshlrev_b16_e32 v48, 8, v48
	v_lshlrev_b16_e32 v50, 8, v50
	v_or_b32_sdwa v51, v47, v48 dst_sel:DWORD dst_unused:UNUSED_PAD src0_sel:BYTE_0 src1_sel:DWORD
	v_or_b32_sdwa v52, v46, v50 dst_sel:WORD_1 dst_unused:UNUSED_PAD src0_sel:BYTE_0 src1_sel:DWORD
	v_bfe_i32 v53, v29, 4, 1
	v_or_b32_sdwa v51, v51, v52 dst_sel:DWORD dst_unused:UNUSED_PAD src0_sel:WORD_0 src1_sel:DWORD
	v_lshlrev_b32_e32 v52, 1, v29
	v_lshrrev_b32_e32 v54, 5, v29
	v_lshrrev_b32_e32 v29, 7, v29
	v_cmp_ne_u16_e32 vcc, 0, v29
	v_and_b32_sdwa v28, s30, v30 dst_sel:DWORD dst_unused:UNUSED_PAD src0_sel:DWORD src1_sel:BYTE_0
	v_bfe_i32 v54, v54, 0, 1
	v_lshrrev_b16_e32 v52, 7, v52
	v_cndmask_b32_e64 v29, 0, -1, vcc
	v_or_b32_e32 v28, v49, v28
	v_bfe_i32 v52, v52, 0, 1
	v_lshlrev_b16_e32 v54, 8, v54
	v_lshlrev_b16_e32 v56, 8, v29
	v_lshlrev_b32_e32 v28, 3, v28
	v_or_b32_sdwa v55, v53, v54 dst_sel:DWORD dst_unused:UNUSED_PAD src0_sel:BYTE_0 src1_sel:DWORD
	v_or_b32_sdwa v29, v52, v56 dst_sel:WORD_1 dst_unused:UNUSED_PAD src0_sel:BYTE_0 src1_sel:DWORD
	v_lshlrev_b16_e32 v47, 8, v47
	v_or_b32_sdwa v55, v55, v29 dst_sel:DWORD dst_unused:UNUSED_PAD src0_sel:WORD_0 src1_sel:DWORD
	global_load_dwordx2 v[28:29], v28, s[20:21]
	v_lshlrev_b16_e32 v46, 8, v46
	v_lshrrev_b16_e32 v42, 8, v32
	v_cvt_f32_f16_e32 v4, v4
	v_and_or_b32 v49, v38, s29, v49
	s_waitcnt vmcnt(0)
	v_xor_b32_e32 v28, v28, v51
	v_and_b32_e32 v51, 0xffffff00, v28
	v_sub_i16 v48, v51, v48 clamp
	v_lshlrev_b16_e32 v51, 8, v28
	v_and_b32_e32 v48, 0xffffff00, v48
	v_sub_i16 v47, v51, v47 clamp
	v_or_b32_sdwa v47, v47, v48 dst_sel:DWORD dst_unused:UNUSED_PAD src0_sel:BYTE_1 src1_sel:DWORD
	v_and_b32_sdwa v48, v28, s33 dst_sel:DWORD dst_unused:UNUSED_PAD src0_sel:WORD_1 src1_sel:DWORD
	v_sub_i16 v48, v48, v50 clamp
	v_lshlrev_b16_sdwa v28, v35, v28 dst_sel:DWORD dst_unused:UNUSED_PAD src0_sel:DWORD src1_sel:WORD_1
	v_and_b32_e32 v48, 0xffffff00, v48
	v_sub_i16 v28, v28, v46 clamp
	v_xor_b32_e32 v29, v29, v55
	v_or_b32_sdwa v28, v28, v48 dst_sel:WORD_1 dst_unused:UNUSED_PAD src0_sel:BYTE_1 src1_sel:DWORD
	v_and_b32_e32 v46, 0xffffff00, v29
	v_or_b32_sdwa v28, v47, v28 dst_sel:DWORD dst_unused:UNUSED_PAD src0_sel:WORD_0 src1_sel:DWORD
	v_sub_i16 v46, v46, v54 clamp
	v_lshlrev_b16_e32 v47, 8, v29
	v_lshlrev_b16_e32 v48, 8, v53
	v_and_b32_e32 v46, 0xffffff00, v46
	v_sub_i16 v47, v47, v48 clamp
	v_or_b32_sdwa v46, v47, v46 dst_sel:DWORD dst_unused:UNUSED_PAD src0_sel:BYTE_1 src1_sel:DWORD
	v_and_b32_sdwa v47, v29, s33 dst_sel:DWORD dst_unused:UNUSED_PAD src0_sel:WORD_1 src1_sel:DWORD
	v_sub_i16 v47, v47, v56 clamp
	v_lshlrev_b16_sdwa v29, v35, v29 dst_sel:DWORD dst_unused:UNUSED_PAD src0_sel:DWORD src1_sel:WORD_1
	v_lshlrev_b16_e32 v48, 8, v52
	v_and_b32_e32 v47, 0xffffff00, v47
	v_sub_i16 v29, v29, v48 clamp
	v_mov_b32_e32 v48, 0
	v_or_b32_sdwa v29, v29, v47 dst_sel:WORD_1 dst_unused:UNUSED_PAD src0_sel:BYTE_1 src1_sel:DWORD
	v_dot4c_i32_i8_e32 v48, v28, v5
	v_lshlrev_b32_e32 v28, 6, v43
	v_or_b32_sdwa v29, v46, v29 dst_sel:DWORD dst_unused:UNUSED_PAD src0_sel:WORD_0 src1_sel:DWORD
	v_and_b32_e32 v28, 0x300, v28
	v_dot4c_i32_i8_e32 v48, v29, v6
	v_or_b32_sdwa v29, v28, v30 dst_sel:DWORD dst_unused:UNUSED_PAD src0_sel:DWORD src1_sel:BYTE_1
	v_lshrrev_b16_e32 v30, 8, v31
	v_lshlrev_b16_e32 v31, 7, v31
	v_bfe_u32 v50, v30, 3, 1
	v_lshlrev_b32_e32 v46, 5, v30
	v_ashrrev_i16_e32 v47, 15, v31
	v_lshrrev_b32_e32 v31, 1, v30
	v_cmp_ne_u16_e32 vcc, 0, v50
	v_bfe_i32 v31, v31, 0, 1
	v_lshrrev_b16_e32 v46, 7, v46
	v_cndmask_b32_e64 v50, 0, -1, vcc
	v_bfe_i32 v46, v46, 0, 1
	v_lshlrev_b16_e32 v51, 8, v31
	v_lshlrev_b16_e32 v50, 8, v50
	v_or_b32_sdwa v31, v47, v51 dst_sel:DWORD dst_unused:UNUSED_PAD src0_sel:BYTE_0 src1_sel:DWORD
	v_or_b32_sdwa v52, v46, v50 dst_sel:WORD_1 dst_unused:UNUSED_PAD src0_sel:BYTE_0 src1_sel:DWORD
	v_bfe_i32 v53, v30, 4, 1
	v_or_b32_sdwa v52, v31, v52 dst_sel:DWORD dst_unused:UNUSED_PAD src0_sel:WORD_0 src1_sel:DWORD
	v_lshlrev_b32_e32 v31, 1, v30
	v_lshrrev_b32_e32 v54, 5, v30
	v_lshrrev_b32_e32 v30, 7, v30
	v_cmp_ne_u16_e32 vcc, 0, v30
	v_bfe_i32 v54, v54, 0, 1
	v_lshrrev_b16_e32 v31, 7, v31
	v_cndmask_b32_e64 v30, 0, -1, vcc
	v_bfe_i32 v55, v31, 0, 1
	v_lshlrev_b16_e32 v54, 8, v54
	v_lshlrev_b16_e32 v56, 8, v30
	v_lshlrev_b32_e32 v29, 3, v29
	v_or_b32_sdwa v31, v53, v54 dst_sel:DWORD dst_unused:UNUSED_PAD src0_sel:BYTE_0 src1_sel:DWORD
	v_or_b32_sdwa v30, v55, v56 dst_sel:WORD_1 dst_unused:UNUSED_PAD src0_sel:BYTE_0 src1_sel:DWORD
	v_lshlrev_b16_e32 v47, 8, v47
	v_or_b32_sdwa v57, v31, v30 dst_sel:DWORD dst_unused:UNUSED_PAD src0_sel:WORD_0 src1_sel:DWORD
	global_load_dwordx2 v[30:31], v29, s[20:21]
	v_lshlrev_b16_e32 v46, 8, v46
	v_or_b32_sdwa v28, v28, v38 dst_sel:DWORD dst_unused:UNUSED_PAD src0_sel:DWORD src1_sel:BYTE_1
	v_lshrrev_b16_e32 v38, 8, v39
	v_lshlrev_b32_e32 v28, 3, v28
	s_waitcnt vmcnt(0)
	v_xor_b32_e32 v29, v30, v52
	v_and_b32_e32 v30, 0xffffff00, v29
	v_sub_i16 v30, v30, v51 clamp
	v_lshlrev_b16_e32 v51, 8, v29
	v_and_b32_e32 v30, 0xffffff00, v30
	v_sub_i16 v47, v51, v47 clamp
	v_or_b32_sdwa v30, v47, v30 dst_sel:DWORD dst_unused:UNUSED_PAD src0_sel:BYTE_1 src1_sel:DWORD
	v_and_b32_sdwa v47, v29, s33 dst_sel:DWORD dst_unused:UNUSED_PAD src0_sel:WORD_1 src1_sel:DWORD
	v_sub_i16 v47, v47, v50 clamp
	v_lshlrev_b16_sdwa v29, v35, v29 dst_sel:DWORD dst_unused:UNUSED_PAD src0_sel:DWORD src1_sel:WORD_1
	v_and_b32_e32 v47, 0xffffff00, v47
	v_sub_i16 v29, v29, v46 clamp
	v_or_b32_sdwa v29, v29, v47 dst_sel:WORD_1 dst_unused:UNUSED_PAD src0_sel:BYTE_1 src1_sel:DWORD
	v_lshlrev_b16_e32 v47, 8, v53
	v_or_b32_sdwa v29, v30, v29 dst_sel:DWORD dst_unused:UNUSED_PAD src0_sel:WORD_0 src1_sel:DWORD
	v_xor_b32_e32 v30, v31, v57
	v_and_b32_e32 v31, 0xffffff00, v30
	v_sub_i16 v31, v31, v54 clamp
	v_lshlrev_b16_e32 v46, 8, v30
	v_and_b32_e32 v31, 0xffffff00, v31
	v_sub_i16 v46, v46, v47 clamp
	v_or_b32_sdwa v31, v46, v31 dst_sel:DWORD dst_unused:UNUSED_PAD src0_sel:BYTE_1 src1_sel:DWORD
	v_and_b32_sdwa v46, v30, s33 dst_sel:DWORD dst_unused:UNUSED_PAD src0_sel:WORD_1 src1_sel:DWORD
	v_sub_i16 v46, v46, v56 clamp
	v_lshlrev_b16_sdwa v30, v35, v30 dst_sel:DWORD dst_unused:UNUSED_PAD src0_sel:DWORD src1_sel:WORD_1
	v_lshlrev_b16_e32 v47, 8, v55
	v_and_b32_e32 v46, 0xffffff00, v46
	v_sub_i16 v30, v30, v47 clamp
	v_or_b32_sdwa v30, v30, v46 dst_sel:WORD_1 dst_unused:UNUSED_PAD src0_sel:BYTE_1 src1_sel:DWORD
	v_dot4c_i32_i8_e32 v48, v29, v7
	v_or_b32_sdwa v30, v31, v30 dst_sel:DWORD dst_unused:UNUSED_PAD src0_sel:WORD_0 src1_sel:DWORD
	v_dot4c_i32_i8_e32 v48, v30, v0
	v_and_b32_sdwa v29, s30, v32 dst_sel:DWORD dst_unused:UNUSED_PAD src0_sel:DWORD src1_sel:BYTE_0
	v_lshlrev_b32_e32 v30, 4, v43
	v_and_or_b32 v29, v30, s31, v29
	v_and_b32_sdwa v30, s30, v45 dst_sel:DWORD dst_unused:UNUSED_PAD src0_sel:DWORD src1_sel:BYTE_0
	v_lshlrev_b32_e32 v31, 5, v30
	v_lshrrev_b16_e32 v31, 7, v31
	v_bfe_i32 v47, v31, 0, 1
	v_bfe_u32 v31, v30, 3, 1
	v_lshrrev_b32_e32 v46, 1, v30
	v_cmp_ne_u16_e32 vcc, 0, v31
	v_and_b32_e32 v32, 1, v45
	v_bfe_i32 v46, v46, 0, 1
	v_cndmask_b32_e64 v31, 0, -1, vcc
	v_sub_u16_e32 v32, 0, v32
	v_lshlrev_b16_e32 v46, 8, v46
	v_lshlrev_b16_e32 v51, 8, v31
	v_or_b32_sdwa v50, v32, v46 dst_sel:DWORD dst_unused:UNUSED_PAD src0_sel:BYTE_0 src1_sel:DWORD
	v_or_b32_sdwa v31, v47, v51 dst_sel:WORD_1 dst_unused:UNUSED_PAD src0_sel:BYTE_0 src1_sel:DWORD
	v_bfe_i32 v52, v30, 4, 1
	v_or_b32_sdwa v50, v50, v31 dst_sel:DWORD dst_unused:UNUSED_PAD src0_sel:WORD_0 src1_sel:DWORD
	v_lshlrev_b32_e32 v31, 1, v30
	v_lshrrev_b32_e32 v53, 5, v30
	v_lshrrev_b32_e32 v30, 7, v30
	v_cmp_ne_u16_e32 vcc, 0, v30
	v_bfe_i32 v53, v53, 0, 1
	v_lshrrev_b16_e32 v31, 7, v31
	v_cndmask_b32_e64 v30, 0, -1, vcc
	v_bfe_i32 v54, v31, 0, 1
	v_lshlrev_b16_e32 v53, 8, v53
	v_lshlrev_b16_e32 v55, 8, v30
	v_lshlrev_b32_e32 v29, 3, v29
	v_or_b32_sdwa v31, v52, v53 dst_sel:DWORD dst_unused:UNUSED_PAD src0_sel:BYTE_0 src1_sel:DWORD
	v_or_b32_sdwa v30, v54, v55 dst_sel:WORD_1 dst_unused:UNUSED_PAD src0_sel:BYTE_0 src1_sel:DWORD
	v_lshlrev_b16_e32 v32, 8, v32
	v_or_b32_sdwa v56, v31, v30 dst_sel:DWORD dst_unused:UNUSED_PAD src0_sel:WORD_0 src1_sel:DWORD
	global_load_dwordx2 v[30:31], v29, s[20:21]
	s_waitcnt vmcnt(0)
	v_xor_b32_e32 v29, v30, v50
	v_and_b32_e32 v30, 0xffffff00, v29
	v_sub_i16 v30, v30, v46 clamp
	v_lshlrev_b16_e32 v46, 8, v29
	v_and_b32_e32 v30, 0xffffff00, v30
	v_sub_i16 v32, v46, v32 clamp
	v_or_b32_sdwa v30, v32, v30 dst_sel:DWORD dst_unused:UNUSED_PAD src0_sel:BYTE_1 src1_sel:DWORD
	v_and_b32_sdwa v32, v29, s33 dst_sel:DWORD dst_unused:UNUSED_PAD src0_sel:WORD_1 src1_sel:DWORD
	v_sub_i16 v32, v32, v51 clamp
	v_lshlrev_b16_sdwa v29, v35, v29 dst_sel:DWORD dst_unused:UNUSED_PAD src0_sel:DWORD src1_sel:WORD_1
	v_lshlrev_b16_e32 v46, 8, v47
	v_and_b32_e32 v32, 0xffffff00, v32
	v_sub_i16 v29, v29, v46 clamp
	v_or_b32_sdwa v29, v29, v32 dst_sel:WORD_1 dst_unused:UNUSED_PAD src0_sel:BYTE_1 src1_sel:DWORD
	v_lshlrev_b16_e32 v46, 8, v52
	v_or_b32_sdwa v29, v30, v29 dst_sel:DWORD dst_unused:UNUSED_PAD src0_sel:WORD_0 src1_sel:DWORD
	v_xor_b32_e32 v30, v31, v56
	v_and_b32_e32 v31, 0xffffff00, v30
	v_sub_i16 v31, v31, v53 clamp
	v_lshlrev_b16_e32 v32, 8, v30
	v_and_b32_e32 v31, 0xffffff00, v31
	v_sub_i16 v32, v32, v46 clamp
	v_or_b32_sdwa v31, v32, v31 dst_sel:DWORD dst_unused:UNUSED_PAD src0_sel:BYTE_1 src1_sel:DWORD
	v_and_b32_sdwa v32, v30, s33 dst_sel:DWORD dst_unused:UNUSED_PAD src0_sel:WORD_1 src1_sel:DWORD
	v_sub_i16 v32, v32, v55 clamp
	v_lshlrev_b16_sdwa v30, v35, v30 dst_sel:DWORD dst_unused:UNUSED_PAD src0_sel:DWORD src1_sel:WORD_1
	v_lshlrev_b16_e32 v46, 8, v54
	v_and_b32_e32 v32, 0xffffff00, v32
	v_sub_i16 v30, v30, v46 clamp
	v_or_b32_sdwa v30, v30, v32 dst_sel:WORD_1 dst_unused:UNUSED_PAD src0_sel:BYTE_1 src1_sel:DWORD
	v_lshrrev_b16_e32 v32, 8, v45
	v_or_b32_sdwa v30, v31, v30 dst_sel:DWORD dst_unused:UNUSED_PAD src0_sel:WORD_0 src1_sel:DWORD
	v_lshlrev_b32_e32 v31, 2, v43
	v_and_or_b32 v31, v31, s31, v42
	v_lshlrev_b32_e32 v42, 5, v32
	v_lshrrev_b16_e32 v42, 7, v42
	v_lshlrev_b16_e32 v43, 7, v45
	v_bfe_i32 v46, v42, 0, 1
	v_bfe_u32 v42, v32, 3, 1
	v_ashrrev_i16_e32 v45, 15, v43
	v_lshrrev_b32_e32 v43, 1, v32
	v_cmp_ne_u16_e32 vcc, 0, v42
	v_bfe_i32 v43, v43, 0, 1
	v_lshlrev_b16_e32 v47, 8, v43
	v_cndmask_b32_e64 v42, 0, -1, vcc
	v_lshlrev_b16_e32 v51, 8, v42
	v_or_b32_sdwa v43, v45, v47 dst_sel:DWORD dst_unused:UNUSED_PAD src0_sel:BYTE_0 src1_sel:DWORD
	v_or_b32_sdwa v42, v46, v51 dst_sel:WORD_1 dst_unused:UNUSED_PAD src0_sel:BYTE_0 src1_sel:DWORD
	v_bfe_i32 v53, v32, 4, 1
	v_or_b32_sdwa v52, v43, v42 dst_sel:DWORD dst_unused:UNUSED_PAD src0_sel:WORD_0 src1_sel:DWORD
	v_lshlrev_b32_e32 v42, 1, v32
	v_lshrrev_b32_e32 v43, 5, v32
	v_lshrrev_b32_e32 v32, 7, v32
	v_cmp_ne_u16_e32 vcc, 0, v32
	v_bfe_i32 v43, v43, 0, 1
	v_lshrrev_b16_e32 v42, 7, v42
	v_cndmask_b32_e64 v32, 0, -1, vcc
	v_bfe_i32 v54, v42, 0, 1
	v_lshlrev_b16_e32 v55, 8, v43
	v_lshlrev_b16_e32 v32, 8, v32
	v_lshlrev_b32_e32 v31, 3, v31
	v_or_b32_sdwa v42, v53, v55 dst_sel:DWORD dst_unused:UNUSED_PAD src0_sel:BYTE_0 src1_sel:DWORD
	v_or_b32_sdwa v43, v54, v32 dst_sel:WORD_1 dst_unused:UNUSED_PAD src0_sel:BYTE_0 src1_sel:DWORD
	v_lshlrev_b16_e32 v45, 8, v45
	v_or_b32_sdwa v56, v42, v43 dst_sel:DWORD dst_unused:UNUSED_PAD src0_sel:WORD_0 src1_sel:DWORD
	global_load_dwordx2 v[42:43], v31, s[20:21]
	v_lshlrev_b16_e32 v46, 8, v46
	v_mov_b32_e32 v50, 0
	v_dot4c_i32_i8_e32 v50, v29, v1
	v_dot4c_i32_i8_e32 v50, v30, v2
	s_waitcnt vmcnt(0)
	v_xor_b32_e32 v31, v42, v52
	v_and_b32_e32 v42, 0xffffff00, v31
	v_sub_i16 v42, v42, v47 clamp
	v_lshlrev_b16_e32 v47, 8, v31
	v_and_b32_e32 v42, 0xffffff00, v42
	v_sub_i16 v45, v47, v45 clamp
	v_or_b32_sdwa v42, v45, v42 dst_sel:DWORD dst_unused:UNUSED_PAD src0_sel:BYTE_1 src1_sel:DWORD
	v_and_b32_sdwa v45, v31, s33 dst_sel:DWORD dst_unused:UNUSED_PAD src0_sel:WORD_1 src1_sel:DWORD
	v_sub_i16 v45, v45, v51 clamp
	v_lshlrev_b16_sdwa v31, v35, v31 dst_sel:DWORD dst_unused:UNUSED_PAD src0_sel:DWORD src1_sel:WORD_1
	v_and_b32_e32 v45, 0xffffff00, v45
	v_sub_i16 v31, v31, v46 clamp
	v_or_b32_sdwa v31, v31, v45 dst_sel:WORD_1 dst_unused:UNUSED_PAD src0_sel:BYTE_1 src1_sel:DWORD
	v_lshlrev_b16_e32 v46, 8, v53
	v_or_b32_sdwa v31, v42, v31 dst_sel:DWORD dst_unused:UNUSED_PAD src0_sel:WORD_0 src1_sel:DWORD
	v_xor_b32_e32 v42, v43, v56
	v_and_b32_e32 v43, 0xffffff00, v42
	v_sub_i16 v43, v43, v55 clamp
	v_lshlrev_b16_e32 v45, 8, v42
	v_and_b32_e32 v43, 0xffffff00, v43
	v_sub_i16 v45, v45, v46 clamp
	v_or_b32_sdwa v43, v45, v43 dst_sel:DWORD dst_unused:UNUSED_PAD src0_sel:BYTE_1 src1_sel:DWORD
	v_and_b32_sdwa v45, v42, s33 dst_sel:DWORD dst_unused:UNUSED_PAD src0_sel:WORD_1 src1_sel:DWORD
	v_sub_i16 v32, v45, v32 clamp
	v_lshlrev_b16_sdwa v42, v35, v42 dst_sel:DWORD dst_unused:UNUSED_PAD src0_sel:DWORD src1_sel:WORD_1
	v_lshlrev_b16_e32 v45, 8, v54
	v_sub_i16 v42, v42, v45 clamp
	global_load_ushort v51, v[24:25], off
	global_load_ushort v45, v[26:27], off offset:2
	global_load_ushort v46, v[26:27], off offset:4
	global_load_ubyte v53, v[22:23], off offset:66
	global_load_ushort v54, v[26:27], off offset:34
	global_load_ushort v55, v[26:27], off offset:36
	v_and_b32_e32 v32, 0xffffff00, v32
	v_or_b32_sdwa v32, v42, v32 dst_sel:WORD_1 dst_unused:UNUSED_PAD src0_sel:BYTE_1 src1_sel:DWORD
	v_dot4c_i32_i8_e32 v50, v31, v3
	v_or_b32_sdwa v32, v43, v32 dst_sel:DWORD dst_unused:UNUSED_PAD src0_sel:WORD_0 src1_sel:DWORD
	v_dot4c_i32_i8_e32 v50, v32, v44
	s_waitcnt vmcnt(2)
	v_lshlrev_b32_e32 v25, 8, v53
	v_and_b32_e32 v43, 0x300, v25
	s_waitcnt vmcnt(1)
	v_and_b32_sdwa v25, s30, v54 dst_sel:DWORD dst_unused:UNUSED_PAD src0_sel:DWORD src1_sel:BYTE_0
	v_bfe_u32 v52, v25, 3, 1
	v_lshlrev_b32_e32 v26, 5, v25
	v_lshrrev_b32_e32 v42, 1, v25
	v_cmp_ne_u16_e32 vcc, 0, v52
	v_and_b32_e32 v27, 1, v54
	v_bfe_i32 v42, v42, 0, 1
	v_lshrrev_b16_e32 v26, 7, v26
	v_cndmask_b32_e64 v52, 0, -1, vcc
	v_sub_u16_e32 v27, 0, v27
	v_bfe_i32 v26, v26, 0, 1
	v_lshlrev_b16_e32 v42, 8, v42
	v_lshlrev_b16_e32 v52, 8, v52
	v_or_b32_sdwa v56, v27, v42 dst_sel:DWORD dst_unused:UNUSED_PAD src0_sel:BYTE_0 src1_sel:DWORD
	v_or_b32_sdwa v57, v26, v52 dst_sel:WORD_1 dst_unused:UNUSED_PAD src0_sel:BYTE_0 src1_sel:DWORD
	v_bfe_i32 v58, v25, 4, 1
	v_or_b32_sdwa v56, v56, v57 dst_sel:DWORD dst_unused:UNUSED_PAD src0_sel:WORD_0 src1_sel:DWORD
	v_lshlrev_b32_e32 v57, 1, v25
	v_lshrrev_b32_e32 v59, 5, v25
	v_lshrrev_b32_e32 v25, 7, v25
	v_cmp_ne_u16_e32 vcc, 0, v25
	v_and_b32_sdwa v24, s30, v45 dst_sel:DWORD dst_unused:UNUSED_PAD src0_sel:DWORD src1_sel:BYTE_0
	v_bfe_i32 v59, v59, 0, 1
	v_lshrrev_b16_e32 v57, 7, v57
	v_cndmask_b32_e64 v25, 0, -1, vcc
	v_or_b32_e32 v24, v43, v24
	v_bfe_i32 v57, v57, 0, 1
	v_lshlrev_b16_e32 v59, 8, v59
	v_lshlrev_b16_e32 v61, 8, v25
	v_lshlrev_b32_e32 v24, 3, v24
	v_or_b32_sdwa v60, v58, v59 dst_sel:DWORD dst_unused:UNUSED_PAD src0_sel:BYTE_0 src1_sel:DWORD
	v_or_b32_sdwa v25, v57, v61 dst_sel:WORD_1 dst_unused:UNUSED_PAD src0_sel:BYTE_0 src1_sel:DWORD
	v_lshlrev_b16_e32 v27, 8, v27
	v_or_b32_sdwa v60, v60, v25 dst_sel:DWORD dst_unused:UNUSED_PAD src0_sel:WORD_0 src1_sel:DWORD
	global_load_dwordx2 v[24:25], v24, s[20:21]
	v_lshlrev_b16_e32 v26, 8, v26
	v_lshrrev_b16_e32 v47, 8, v46
	s_waitcnt vmcnt(0)
	v_xor_b32_e32 v24, v24, v56
	v_and_b32_e32 v56, 0xffffff00, v24
	v_sub_i16 v42, v56, v42 clamp
	v_lshlrev_b16_e32 v56, 8, v24
	v_and_b32_e32 v42, 0xffffff00, v42
	v_sub_i16 v27, v56, v27 clamp
	v_or_b32_sdwa v27, v27, v42 dst_sel:DWORD dst_unused:UNUSED_PAD src0_sel:BYTE_1 src1_sel:DWORD
	v_and_b32_sdwa v42, v24, s33 dst_sel:DWORD dst_unused:UNUSED_PAD src0_sel:WORD_1 src1_sel:DWORD
	v_sub_i16 v42, v42, v52 clamp
	v_lshlrev_b16_sdwa v24, v35, v24 dst_sel:DWORD dst_unused:UNUSED_PAD src0_sel:DWORD src1_sel:WORD_1
	v_and_b32_e32 v42, 0xffffff00, v42
	v_sub_i16 v24, v24, v26 clamp
	v_xor_b32_e32 v25, v25, v60
	v_or_b32_sdwa v24, v24, v42 dst_sel:WORD_1 dst_unused:UNUSED_PAD src0_sel:BYTE_1 src1_sel:DWORD
	v_and_b32_e32 v26, 0xffffff00, v25
	v_or_b32_sdwa v24, v27, v24 dst_sel:DWORD dst_unused:UNUSED_PAD src0_sel:WORD_0 src1_sel:DWORD
	v_sub_i16 v26, v26, v59 clamp
	v_lshlrev_b16_e32 v27, 8, v25
	v_lshlrev_b16_e32 v42, 8, v58
	v_and_b32_e32 v26, 0xffffff00, v26
	v_sub_i16 v27, v27, v42 clamp
	v_or_b32_sdwa v26, v27, v26 dst_sel:DWORD dst_unused:UNUSED_PAD src0_sel:BYTE_1 src1_sel:DWORD
	v_and_b32_sdwa v27, v25, s33 dst_sel:DWORD dst_unused:UNUSED_PAD src0_sel:WORD_1 src1_sel:DWORD
	v_sub_i16 v27, v27, v61 clamp
	v_lshlrev_b16_sdwa v25, v35, v25 dst_sel:DWORD dst_unused:UNUSED_PAD src0_sel:DWORD src1_sel:WORD_1
	v_lshlrev_b16_e32 v42, 8, v57
	v_and_b32_e32 v27, 0xffffff00, v27
	v_sub_i16 v25, v25, v42 clamp
	v_or_b32_sdwa v25, v25, v27 dst_sel:WORD_1 dst_unused:UNUSED_PAD src0_sel:BYTE_1 src1_sel:DWORD
	v_mov_b32_e32 v52, 0
	v_or_b32_sdwa v25, v26, v25 dst_sel:DWORD dst_unused:UNUSED_PAD src0_sel:WORD_0 src1_sel:DWORD
	v_dot4c_i32_i8_e32 v52, v24, v5
	v_dot4c_i32_i8_e32 v52, v25, v6
	v_lshrrev_b16_e32 v6, 8, v54
	v_lshlrev_b32_e32 v24, 5, v6
	v_lshrrev_b16_e32 v24, 7, v24
	v_lshlrev_b16_e32 v25, 7, v54
	v_bfe_i32 v27, v24, 0, 1
	v_bfe_u32 v24, v6, 3, 1
	v_lshlrev_b32_e32 v5, 6, v53
	v_ashrrev_i16_e32 v26, 15, v25
	v_lshrrev_b32_e32 v25, 1, v6
	v_cmp_ne_u16_e32 vcc, 0, v24
	v_and_b32_e32 v42, 0x300, v5
	v_bfe_i32 v25, v25, 0, 1
	v_cndmask_b32_e64 v24, 0, -1, vcc
	v_or_b32_sdwa v5, v42, v45 dst_sel:DWORD dst_unused:UNUSED_PAD src0_sel:DWORD src1_sel:BYTE_1
	v_lshlrev_b16_e32 v45, 8, v25
	v_lshlrev_b16_e32 v54, 8, v24
	v_or_b32_sdwa v25, v26, v45 dst_sel:DWORD dst_unused:UNUSED_PAD src0_sel:BYTE_0 src1_sel:DWORD
	v_or_b32_sdwa v24, v27, v54 dst_sel:WORD_1 dst_unused:UNUSED_PAD src0_sel:BYTE_0 src1_sel:DWORD
	v_bfe_i32 v57, v6, 4, 1
	v_or_b32_sdwa v56, v25, v24 dst_sel:DWORD dst_unused:UNUSED_PAD src0_sel:WORD_0 src1_sel:DWORD
	v_lshlrev_b32_e32 v24, 1, v6
	v_lshrrev_b32_e32 v25, 5, v6
	v_lshrrev_b32_e32 v6, 7, v6
	v_cmp_ne_u16_e32 vcc, 0, v6
	v_bfe_i32 v25, v25, 0, 1
	v_lshrrev_b16_e32 v24, 7, v24
	v_cndmask_b32_e64 v6, 0, -1, vcc
	v_bfe_i32 v58, v24, 0, 1
	v_lshlrev_b16_e32 v59, 8, v25
	v_lshlrev_b16_e32 v6, 8, v6
	v_lshlrev_b32_e32 v5, 3, v5
	v_or_b32_sdwa v24, v57, v59 dst_sel:DWORD dst_unused:UNUSED_PAD src0_sel:BYTE_0 src1_sel:DWORD
	v_or_b32_sdwa v25, v58, v6 dst_sel:WORD_1 dst_unused:UNUSED_PAD src0_sel:BYTE_0 src1_sel:DWORD
	v_lshlrev_b16_e32 v26, 8, v26
	v_or_b32_sdwa v60, v24, v25 dst_sel:DWORD dst_unused:UNUSED_PAD src0_sel:WORD_0 src1_sel:DWORD
	global_load_dwordx2 v[24:25], v5, s[20:21]
	v_lshlrev_b16_e32 v27, 8, v27
	s_waitcnt vmcnt(0)
	v_xor_b32_e32 v5, v24, v56
	v_and_b32_e32 v24, 0xffffff00, v5
	v_sub_i16 v24, v24, v45 clamp
	v_lshlrev_b16_e32 v45, 8, v5
	v_and_b32_e32 v24, 0xffffff00, v24
	v_sub_i16 v26, v45, v26 clamp
	v_or_b32_sdwa v24, v26, v24 dst_sel:DWORD dst_unused:UNUSED_PAD src0_sel:BYTE_1 src1_sel:DWORD
	v_and_b32_sdwa v26, v5, s33 dst_sel:DWORD dst_unused:UNUSED_PAD src0_sel:WORD_1 src1_sel:DWORD
	v_sub_i16 v26, v26, v54 clamp
	v_lshlrev_b16_sdwa v5, v35, v5 dst_sel:DWORD dst_unused:UNUSED_PAD src0_sel:DWORD src1_sel:WORD_1
	v_and_b32_e32 v26, 0xffffff00, v26
	v_sub_i16 v5, v5, v27 clamp
	v_or_b32_sdwa v5, v5, v26 dst_sel:WORD_1 dst_unused:UNUSED_PAD src0_sel:BYTE_1 src1_sel:DWORD
	v_lshlrev_b16_e32 v27, 8, v57
	v_or_b32_sdwa v5, v24, v5 dst_sel:DWORD dst_unused:UNUSED_PAD src0_sel:WORD_0 src1_sel:DWORD
	v_xor_b32_e32 v24, v25, v60
	v_and_b32_e32 v25, 0xffffff00, v24
	v_sub_i16 v25, v25, v59 clamp
	v_lshlrev_b16_e32 v26, 8, v24
	v_and_b32_e32 v25, 0xffffff00, v25
	v_sub_i16 v26, v26, v27 clamp
	v_or_b32_sdwa v25, v26, v25 dst_sel:DWORD dst_unused:UNUSED_PAD src0_sel:BYTE_1 src1_sel:DWORD
	v_and_b32_sdwa v26, v24, s33 dst_sel:DWORD dst_unused:UNUSED_PAD src0_sel:WORD_1 src1_sel:DWORD
	v_sub_i16 v6, v26, v6 clamp
	v_lshlrev_b16_sdwa v24, v35, v24 dst_sel:DWORD dst_unused:UNUSED_PAD src0_sel:DWORD src1_sel:WORD_1
	v_lshlrev_b16_e32 v26, 8, v58
	v_and_b32_e32 v6, 0xffffff00, v6
	v_sub_i16 v24, v24, v26 clamp
	v_or_b32_sdwa v6, v24, v6 dst_sel:WORD_1 dst_unused:UNUSED_PAD src0_sel:BYTE_1 src1_sel:DWORD
	v_dot4c_i32_i8_e32 v52, v5, v7
	v_or_b32_sdwa v6, v25, v6 dst_sel:DWORD dst_unused:UNUSED_PAD src0_sel:WORD_0 src1_sel:DWORD
	v_dot4c_i32_i8_e32 v52, v6, v0
	v_and_b32_sdwa v0, s30, v46 dst_sel:DWORD dst_unused:UNUSED_PAD src0_sel:DWORD src1_sel:BYTE_0
	v_lshlrev_b32_e32 v5, 4, v53
	v_and_or_b32 v0, v5, s31, v0
	v_and_b32_sdwa v5, s30, v55 dst_sel:DWORD dst_unused:UNUSED_PAD src0_sel:DWORD src1_sel:BYTE_0
	v_lshlrev_b32_e32 v6, 5, v5
	v_lshrrev_b16_e32 v6, 7, v6
	v_and_b32_e32 v7, 1, v55
	v_bfe_i32 v25, v6, 0, 1
	v_bfe_u32 v6, v5, 3, 1
	v_sub_u16_e32 v24, 0, v7
	v_lshrrev_b32_e32 v7, 1, v5
	v_cmp_ne_u16_e32 vcc, 0, v6
	v_bfe_i32 v7, v7, 0, 1
	v_lshlrev_b16_e32 v26, 8, v7
	v_cndmask_b32_e64 v6, 0, -1, vcc
	v_lshlrev_b16_e32 v27, 8, v6
	v_or_b32_sdwa v7, v24, v26 dst_sel:DWORD dst_unused:UNUSED_PAD src0_sel:BYTE_0 src1_sel:DWORD
	v_or_b32_sdwa v6, v25, v27 dst_sel:WORD_1 dst_unused:UNUSED_PAD src0_sel:BYTE_0 src1_sel:DWORD
	v_bfe_i32 v46, v5, 4, 1
	v_or_b32_sdwa v45, v7, v6 dst_sel:DWORD dst_unused:UNUSED_PAD src0_sel:WORD_0 src1_sel:DWORD
	v_lshlrev_b32_e32 v6, 1, v5
	v_lshrrev_b32_e32 v7, 5, v5
	v_lshrrev_b32_e32 v5, 7, v5
	v_cmp_ne_u16_e32 vcc, 0, v5
	v_bfe_i32 v7, v7, 0, 1
	v_lshrrev_b16_e32 v6, 7, v6
	v_cndmask_b32_e64 v5, 0, -1, vcc
	v_bfe_i32 v54, v6, 0, 1
	v_lshlrev_b16_e32 v56, 8, v7
	v_lshlrev_b16_e32 v5, 8, v5
	v_lshlrev_b32_e32 v0, 3, v0
	v_or_b32_sdwa v6, v46, v56 dst_sel:DWORD dst_unused:UNUSED_PAD src0_sel:BYTE_0 src1_sel:DWORD
	v_or_b32_sdwa v7, v54, v5 dst_sel:WORD_1 dst_unused:UNUSED_PAD src0_sel:BYTE_0 src1_sel:DWORD
	v_lshlrev_b16_e32 v24, 8, v24
	v_or_b32_sdwa v57, v6, v7 dst_sel:DWORD dst_unused:UNUSED_PAD src0_sel:WORD_0 src1_sel:DWORD
	global_load_dwordx2 v[6:7], v0, s[20:21]
	v_lshlrev_b16_e32 v25, 8, v25
	v_bfe_u32 v58, v39, 7, 1
	s_waitcnt vmcnt(0)
	v_xor_b32_e32 v0, v6, v45
	v_and_b32_e32 v6, 0xffffff00, v0
	v_sub_i16 v6, v6, v26 clamp
	v_lshlrev_b16_e32 v26, 8, v0
	v_and_b32_e32 v6, 0xffffff00, v6
	v_sub_i16 v24, v26, v24 clamp
	v_or_b32_sdwa v6, v24, v6 dst_sel:DWORD dst_unused:UNUSED_PAD src0_sel:BYTE_1 src1_sel:DWORD
	v_and_b32_sdwa v24, v0, s33 dst_sel:DWORD dst_unused:UNUSED_PAD src0_sel:WORD_1 src1_sel:DWORD
	v_sub_i16 v24, v24, v27 clamp
	v_lshlrev_b16_sdwa v0, v35, v0 dst_sel:DWORD dst_unused:UNUSED_PAD src0_sel:DWORD src1_sel:WORD_1
	v_and_b32_e32 v24, 0xffffff00, v24
	v_sub_i16 v0, v0, v25 clamp
	v_or_b32_sdwa v0, v0, v24 dst_sel:WORD_1 dst_unused:UNUSED_PAD src0_sel:BYTE_1 src1_sel:DWORD
	v_lshlrev_b16_e32 v25, 8, v46
	v_or_b32_sdwa v24, v6, v0 dst_sel:DWORD dst_unused:UNUSED_PAD src0_sel:WORD_0 src1_sel:DWORD
	v_xor_b32_e32 v0, v7, v57
	v_and_b32_e32 v6, 0xffffff00, v0
	v_sub_i16 v6, v6, v56 clamp
	v_lshlrev_b16_e32 v7, 8, v0
	v_and_b32_e32 v6, 0xffffff00, v6
	v_sub_i16 v7, v7, v25 clamp
	v_or_b32_sdwa v6, v7, v6 dst_sel:DWORD dst_unused:UNUSED_PAD src0_sel:BYTE_1 src1_sel:DWORD
	v_and_b32_sdwa v7, v0, s33 dst_sel:DWORD dst_unused:UNUSED_PAD src0_sel:WORD_1 src1_sel:DWORD
	v_sub_i16 v5, v7, v5 clamp
	v_lshlrev_b16_sdwa v0, v35, v0 dst_sel:DWORD dst_unused:UNUSED_PAD src0_sel:DWORD src1_sel:WORD_1
	v_lshlrev_b16_e32 v7, 8, v54
	v_and_b32_e32 v5, 0xffffff00, v5
	v_sub_i16 v0, v0, v7 clamp
	v_or_b32_sdwa v0, v0, v5 dst_sel:WORD_1 dst_unused:UNUSED_PAD src0_sel:BYTE_1 src1_sel:DWORD
	v_bfe_u32 v57, v39, 5, 3
	v_or_b32_sdwa v25, v6, v0 dst_sel:DWORD dst_unused:UNUSED_PAD src0_sel:WORD_0 src1_sel:DWORD
	v_mov_b32_e32 v0, 0
	v_dot4c_i32_i8_e32 v0, v24, v1
	v_dot4c_i32_i8_e32 v0, v25, v2
	v_lshrrev_b16_e32 v2, 8, v55
	v_lshlrev_b16_e32 v6, 7, v55
	v_bfe_u32 v7, v2, 3, 1
	v_lshlrev_b32_e32 v5, 5, v2
	v_ashrrev_i16_e32 v26, 15, v6
	v_lshrrev_b32_e32 v6, 1, v2
	v_cmp_ne_u16_e32 vcc, 0, v7
	v_bfe_i32 v6, v6, 0, 1
	v_lshrrev_b16_e32 v5, 7, v5
	v_cndmask_b32_e64 v7, 0, -1, vcc
	v_bfe_i32 v5, v5, 0, 1
	v_lshlrev_b16_e32 v27, 8, v6
	v_lshlrev_b16_e32 v45, 8, v7
	v_lshlrev_b32_e32 v1, 2, v53
	v_or_b32_sdwa v6, v26, v27 dst_sel:DWORD dst_unused:UNUSED_PAD src0_sel:BYTE_0 src1_sel:DWORD
	v_or_b32_sdwa v7, v5, v45 dst_sel:WORD_1 dst_unused:UNUSED_PAD src0_sel:BYTE_0 src1_sel:DWORD
	v_and_or_b32 v1, v1, s31, v47
	v_or_b32_sdwa v46, v6, v7 dst_sel:DWORD dst_unused:UNUSED_PAD src0_sel:WORD_0 src1_sel:DWORD
	v_lshlrev_b32_e32 v6, 1, v2
	v_bfe_i32 v47, v2, 4, 1
	v_lshrrev_b32_e32 v7, 5, v2
	v_lshrrev_b32_e32 v2, 7, v2
	v_cmp_ne_u16_e32 vcc, 0, v2
	v_bfe_i32 v7, v7, 0, 1
	v_lshrrev_b16_e32 v6, 7, v6
	v_cndmask_b32_e64 v2, 0, -1, vcc
	v_bfe_i32 v53, v6, 0, 1
	v_lshlrev_b16_e32 v54, 8, v7
	v_lshlrev_b16_e32 v2, 8, v2
	v_lshlrev_b32_e32 v1, 3, v1
	v_or_b32_sdwa v6, v47, v54 dst_sel:DWORD dst_unused:UNUSED_PAD src0_sel:BYTE_0 src1_sel:DWORD
	v_or_b32_sdwa v7, v53, v2 dst_sel:WORD_1 dst_unused:UNUSED_PAD src0_sel:BYTE_0 src1_sel:DWORD
	v_lshlrev_b16_e32 v26, 8, v26
	v_or_b32_sdwa v55, v6, v7 dst_sel:DWORD dst_unused:UNUSED_PAD src0_sel:WORD_0 src1_sel:DWORD
	global_load_dwordx2 v[6:7], v1, s[20:21]
	v_lshlrev_b16_e32 v5, 8, v5
	v_bfe_i32 v57, v57, 0, 1
	v_lshlrev_b16_e32 v57, 8, v57
	s_waitcnt vmcnt(0)
	v_xor_b32_e32 v1, v6, v46
	v_and_b32_e32 v6, 0xffffff00, v1
	v_sub_i16 v6, v6, v27 clamp
	v_lshlrev_b16_e32 v27, 8, v1
	v_and_b32_e32 v6, 0xffffff00, v6
	v_sub_i16 v26, v27, v26 clamp
	v_or_b32_sdwa v6, v26, v6 dst_sel:DWORD dst_unused:UNUSED_PAD src0_sel:BYTE_1 src1_sel:DWORD
	v_and_b32_sdwa v26, v1, s33 dst_sel:DWORD dst_unused:UNUSED_PAD src0_sel:WORD_1 src1_sel:DWORD
	v_sub_i16 v26, v26, v45 clamp
	v_lshlrev_b16_sdwa v1, v35, v1 dst_sel:DWORD dst_unused:UNUSED_PAD src0_sel:DWORD src1_sel:WORD_1
	v_and_b32_e32 v26, 0xffffff00, v26
	v_sub_i16 v1, v1, v5 clamp
	v_or_b32_sdwa v1, v1, v26 dst_sel:WORD_1 dst_unused:UNUSED_PAD src0_sel:BYTE_1 src1_sel:DWORD
	s_nop 0
	v_or_b32_sdwa v26, v6, v1 dst_sel:DWORD dst_unused:UNUSED_PAD src0_sel:WORD_0 src1_sel:DWORD
	v_xor_b32_e32 v1, v7, v55
	v_and_b32_e32 v5, 0xffffff00, v1
	v_sub_i16 v5, v5, v54 clamp
	v_lshlrev_b16_e32 v6, 8, v1
	v_lshlrev_b16_e32 v7, 8, v47
	v_and_b32_e32 v5, 0xffffff00, v5
	v_sub_i16 v6, v6, v7 clamp
	v_or_b32_sdwa v5, v6, v5 dst_sel:DWORD dst_unused:UNUSED_PAD src0_sel:BYTE_1 src1_sel:DWORD
	v_and_b32_sdwa v6, v1, s33 dst_sel:DWORD dst_unused:UNUSED_PAD src0_sel:WORD_1 src1_sel:DWORD
	v_sub_i16 v2, v6, v2 clamp
	v_lshlrev_b16_sdwa v1, v35, v1 dst_sel:DWORD dst_unused:UNUSED_PAD src0_sel:DWORD src1_sel:WORD_1
	v_lshlrev_b16_e32 v6, 8, v53
	v_and_b32_e32 v2, 0xffffff00, v2
	v_sub_i16 v1, v1, v6 clamp
	v_or_b32_sdwa v1, v1, v2 dst_sel:WORD_1 dst_unused:UNUSED_PAD src0_sel:BYTE_1 src1_sel:DWORD
	v_dot4c_i32_i8_e32 v0, v26, v3
	v_or_b32_sdwa v27, v5, v1 dst_sel:DWORD dst_unused:UNUSED_PAD src0_sel:WORD_0 src1_sel:DWORD
	global_load_ushort v1, v[10:11], off
	global_load_ubyte v2, v[8:9], off offset:74
	global_load_ubyte v3, v[22:23], off offset:74
	v_dot4c_i32_i8_e32 v0, v27, v44
	v_add_u32_e32 v7, v50, v48
	v_lshrrev_b32_e32 v8, 31, v7
	v_add_u32_e32 v7, v7, v8
	v_ashrrev_i32_e32 v7, 1, v7
	v_cvt_f32_f16_e32 v22, v51
	v_lshlrev_b32_e32 v53, 3, v49
	v_lshlrev_b32_sdwa v49, v36, v39 dst_sel:DWORD dst_unused:UNUSED_PAD src0_sel:DWORD src1_sel:BYTE_0
	v_lshrrev_b16_e32 v49, 7, v49
	s_waitcnt vmcnt(2)
	v_cvt_f32_f16_e32 v23, v1
	s_waitcnt vmcnt(1)
	v_lshrrev_b32_e32 v45, 4, v2
	s_waitcnt vmcnt(0)
	v_lshrrev_b32_e32 v44, 4, v3
	v_mul_lo_u32 v6, v0, v44
	v_add_u32_e32 v0, v0, v52
	v_and_b32_e32 v47, 15, v2
	v_lshrrev_b32_e32 v8, 31, v0
	v_and_b32_e32 v46, 15, v3
	v_mul_lo_u32 v2, v48, v47
	v_mul_lo_u32 v5, v50, v45
	v_add_u32_e32 v0, v0, v8
	v_mul_lo_u32 v3, v52, v46
	v_ashrrev_i32_e32 v0, 1, v0
	v_add3_u32 v2, v5, v2, v7
	v_add3_u32 v0, v6, v3, v0
	v_ashrrev_i32_e32 v3, 31, v2
	v_lshrrev_b32_e32 v3, 30, v3
	v_add_u32_e32 v2, v2, v3
	v_ashrrev_i32_e32 v3, 31, v0
	v_lshrrev_b32_e32 v3, 30, v3
	v_add_u32_e32 v0, v0, v3
	v_ashrrev_i32_e32 v2, 2, v2
	v_ashrrev_i32_e32 v0, 2, v0
	v_cvt_f32_i32_e32 v7, v0
	v_cvt_f32_i32_e32 v6, v2
	scratch_load_dwordx4 v[0:3], off, off offset:48
	v_pk_mul_f32 v[4:5], v[4:5], v[22:23] op_sel_hi:[0,1]
	s_waitcnt vmcnt(0)
	v_pk_fma_f32 v[0:1], v[4:5], v[6:7], v[0:1]
	v_add_u32_e32 v4, s15, v34
	v_mad_u64_u32 v[4:5], s[34:35], v4, 36, s[24:25]
	v_mad_u64_u32 v[50:51], s[34:35], v14, 36, v[4:5]
	global_load_dword v48, v[50:51], off offset:32
	global_load_dwordx4 v[4:7], v[50:51], off offset:16
	global_load_dwordx4 v[8:11], v[50:51], off
	v_and_b32_e32 v50, 1, v39
	v_sub_u16_e32 v52, 0, v50
	v_bfe_u32 v50, v39, 1, 7
	v_bfe_i32 v51, v50, 0, 1
	v_bfe_i32 v50, v49, 0, 1
	v_bfe_u32 v49, v39, 3, 1
	v_cmp_ne_u16_e32 vcc, 0, v49
	v_lshlrev_b16_e32 v55, 8, v51
	v_or_b32_sdwa v51, v52, v55 dst_sel:DWORD dst_unused:UNUSED_PAD src0_sel:BYTE_0 src1_sel:DWORD
	v_cndmask_b32_e64 v49, 0, -1, vcc
	v_lshlrev_b16_e32 v54, 8, v49
	v_or_b32_sdwa v49, v50, v54 dst_sel:WORD_1 dst_unused:UNUSED_PAD src0_sel:BYTE_0 src1_sel:DWORD
	v_cmp_ne_u16_e32 vcc, 0, v58
	v_or_b32_sdwa v56, v51, v49 dst_sel:DWORD dst_unused:UNUSED_PAD src0_sel:WORD_0 src1_sel:DWORD
	v_lshlrev_b32_sdwa v49, v37, v39 dst_sel:DWORD dst_unused:UNUSED_PAD src0_sel:DWORD src1_sel:BYTE_0
	v_lshrrev_b16_e32 v49, 7, v49
	v_cndmask_b32_e64 v58, 0, -1, vcc
	v_bfe_i32 v51, v39, 4, 1
	v_bfe_i32 v49, v49, 0, 1
	v_lshlrev_b16_e32 v60, 8, v58
	v_or_b32_sdwa v59, v51, v57 dst_sel:DWORD dst_unused:UNUSED_PAD src0_sel:BYTE_0 src1_sel:DWORD
	v_or_b32_sdwa v58, v49, v60 dst_sel:WORD_1 dst_unused:UNUSED_PAD src0_sel:BYTE_0 src1_sel:DWORD
	v_lshlrev_b16_e32 v52, 8, v52
	v_or_b32_sdwa v61, v59, v58 dst_sel:DWORD dst_unused:UNUSED_PAD src0_sel:WORD_0 src1_sel:DWORD
	global_load_dwordx2 v[58:59], v53, s[20:21]
	v_lshlrev_b16_e32 v50, 8, v50
	v_lshlrev_b16_e32 v51, 8, v51
	;; [unrolled: 1-line block ×4, first 2 shown]
	v_add_u32_e32 v34, 64, v34
	s_waitcnt vmcnt(1)
	v_cvt_f32_f16_e32 v8, v8
	s_waitcnt vmcnt(0)
	v_xor_b32_e32 v53, v58, v56
	v_and_b32_e32 v56, 0xffffff00, v53
	v_sub_i16 v55, v56, v55 clamp
	v_lshlrev_b16_e32 v56, 8, v53
	v_and_b32_e32 v55, 0xffffff00, v55
	v_sub_i16 v52, v56, v52 clamp
	v_or_b32_sdwa v52, v52, v55 dst_sel:DWORD dst_unused:UNUSED_PAD src0_sel:BYTE_1 src1_sel:DWORD
	v_and_b32_sdwa v55, v53, s33 dst_sel:DWORD dst_unused:UNUSED_PAD src0_sel:WORD_1 src1_sel:DWORD
	v_sub_i16 v54, v55, v54 clamp
	v_lshlrev_b16_sdwa v53, v35, v53 dst_sel:DWORD dst_unused:UNUSED_PAD src0_sel:DWORD src1_sel:WORD_1
	v_and_b32_e32 v54, 0xffffff00, v54
	v_sub_i16 v50, v53, v50 clamp
	v_or_b32_sdwa v50, v50, v54 dst_sel:WORD_1 dst_unused:UNUSED_PAD src0_sel:BYTE_1 src1_sel:DWORD
	v_bfe_i32 v55, v38, 4, 1
	v_or_b32_sdwa v50, v52, v50 dst_sel:DWORD dst_unused:UNUSED_PAD src0_sel:WORD_0 src1_sel:DWORD
	v_xor_b32_e32 v52, v59, v61
	v_and_b32_e32 v53, 0xffffff00, v52
	v_sub_i16 v53, v53, v57 clamp
	v_lshlrev_b16_e32 v54, 8, v52
	v_and_b32_e32 v53, 0xffffff00, v53
	v_sub_i16 v51, v54, v51 clamp
	v_or_b32_sdwa v51, v51, v53 dst_sel:DWORD dst_unused:UNUSED_PAD src0_sel:BYTE_1 src1_sel:DWORD
	v_and_b32_sdwa v53, v52, s33 dst_sel:DWORD dst_unused:UNUSED_PAD src0_sel:WORD_1 src1_sel:DWORD
	v_sub_i16 v53, v53, v60 clamp
	v_lshlrev_b16_sdwa v52, v35, v52 dst_sel:DWORD dst_unused:UNUSED_PAD src0_sel:DWORD src1_sel:WORD_1
	v_and_b32_e32 v53, 0xffffff00, v53
	v_sub_i16 v49, v52, v49 clamp
	v_or_b32_sdwa v49, v49, v53 dst_sel:WORD_1 dst_unused:UNUSED_PAD src0_sel:BYTE_1 src1_sel:DWORD
	v_bfe_u32 v52, v38, 3, 1
	v_or_b32_sdwa v51, v51, v49 dst_sel:DWORD dst_unused:UNUSED_PAD src0_sel:WORD_0 src1_sel:DWORD
	v_mov_b32_e32 v49, 0
	v_dot4c_i32_i8_e32 v49, v50, v9
	v_dot4c_i32_i8_e32 v49, v51, v10
	v_lshlrev_b32_e32 v50, 5, v38
	v_ashrrev_i16_e32 v51, 15, v39
	v_lshrrev_b32_e32 v39, 1, v38
	v_cmp_ne_u16_e32 vcc, 0, v52
	v_bfe_i32 v39, v39, 0, 1
	v_lshrrev_b16_e32 v50, 7, v50
	v_cndmask_b32_e64 v52, 0, -1, vcc
	v_bfe_i32 v50, v50, 0, 1
	v_lshlrev_b16_e32 v53, 8, v39
	v_lshlrev_b16_e32 v52, 8, v52
	v_or_b32_sdwa v39, v51, v53 dst_sel:DWORD dst_unused:UNUSED_PAD src0_sel:BYTE_0 src1_sel:DWORD
	v_or_b32_sdwa v54, v50, v52 dst_sel:WORD_1 dst_unused:UNUSED_PAD src0_sel:BYTE_0 src1_sel:DWORD
	v_lshrrev_b32_e32 v56, 5, v38
	v_or_b32_sdwa v54, v39, v54 dst_sel:DWORD dst_unused:UNUSED_PAD src0_sel:WORD_0 src1_sel:DWORD
	v_lshlrev_b32_e32 v39, 1, v38
	v_lshrrev_b32_e32 v38, 7, v38
	v_cmp_ne_u16_e32 vcc, 0, v38
	v_bfe_i32 v56, v56, 0, 1
	v_lshrrev_b16_e32 v39, 7, v39
	v_cndmask_b32_e64 v38, 0, -1, vcc
	v_bfe_i32 v57, v39, 0, 1
	v_lshlrev_b16_e32 v56, 8, v56
	v_lshlrev_b16_e32 v58, 8, v38
	v_or_b32_sdwa v39, v55, v56 dst_sel:DWORD dst_unused:UNUSED_PAD src0_sel:BYTE_0 src1_sel:DWORD
	v_or_b32_sdwa v38, v57, v58 dst_sel:WORD_1 dst_unused:UNUSED_PAD src0_sel:BYTE_0 src1_sel:DWORD
	v_lshlrev_b16_e32 v51, 8, v51
	v_or_b32_sdwa v59, v39, v38 dst_sel:DWORD dst_unused:UNUSED_PAD src0_sel:WORD_0 src1_sel:DWORD
	global_load_dwordx2 v[38:39], v28, s[20:21]
	v_lshlrev_b16_e32 v50, 8, v50
	s_waitcnt vmcnt(0)
	v_xor_b32_e32 v28, v38, v54
	v_and_b32_e32 v38, 0xffffff00, v28
	v_sub_i16 v38, v38, v53 clamp
	v_lshlrev_b16_e32 v53, 8, v28
	v_and_b32_e32 v38, 0xffffff00, v38
	v_sub_i16 v51, v53, v51 clamp
	v_or_b32_sdwa v38, v51, v38 dst_sel:DWORD dst_unused:UNUSED_PAD src0_sel:BYTE_1 src1_sel:DWORD
	v_and_b32_sdwa v51, v28, s33 dst_sel:DWORD dst_unused:UNUSED_PAD src0_sel:WORD_1 src1_sel:DWORD
	v_sub_i16 v51, v51, v52 clamp
	v_lshlrev_b16_sdwa v28, v35, v28 dst_sel:DWORD dst_unused:UNUSED_PAD src0_sel:DWORD src1_sel:WORD_1
	v_and_b32_e32 v51, 0xffffff00, v51
	v_sub_i16 v28, v28, v50 clamp
	v_or_b32_sdwa v28, v28, v51 dst_sel:WORD_1 dst_unused:UNUSED_PAD src0_sel:BYTE_1 src1_sel:DWORD
	v_lshlrev_b16_e32 v51, 8, v55
	v_or_b32_sdwa v28, v38, v28 dst_sel:DWORD dst_unused:UNUSED_PAD src0_sel:WORD_0 src1_sel:DWORD
	v_xor_b32_e32 v38, v39, v59
	v_and_b32_e32 v39, 0xffffff00, v38
	v_sub_i16 v39, v39, v56 clamp
	v_lshlrev_b16_e32 v50, 8, v38
	v_and_b32_e32 v39, 0xffffff00, v39
	v_sub_i16 v50, v50, v51 clamp
	v_or_b32_sdwa v39, v50, v39 dst_sel:DWORD dst_unused:UNUSED_PAD src0_sel:BYTE_1 src1_sel:DWORD
	v_and_b32_sdwa v50, v38, s33 dst_sel:DWORD dst_unused:UNUSED_PAD src0_sel:WORD_1 src1_sel:DWORD
	v_sub_i16 v50, v50, v58 clamp
	v_lshlrev_b16_sdwa v38, v35, v38 dst_sel:DWORD dst_unused:UNUSED_PAD src0_sel:DWORD src1_sel:WORD_1
	v_lshlrev_b16_e32 v51, 8, v57
	v_dot4c_i32_i8_e32 v49, v28, v11
	v_mov_b32_e32 v28, 0
	v_and_b32_e32 v50, 0xffffff00, v50
	v_sub_i16 v38, v38, v51 clamp
	v_dot4c_i32_i8_e32 v28, v29, v5
	v_or_b32_sdwa v38, v38, v50 dst_sel:WORD_1 dst_unused:UNUSED_PAD src0_sel:BYTE_1 src1_sel:DWORD
	v_dot4c_i32_i8_e32 v28, v30, v6
	v_lshlrev_b32_sdwa v30, v36, v40 dst_sel:DWORD dst_unused:UNUSED_PAD src0_sel:DWORD src1_sel:BYTE_0
	v_or_b32_sdwa v38, v39, v38 dst_sel:DWORD dst_unused:UNUSED_PAD src0_sel:WORD_0 src1_sel:DWORD
	v_lshrrev_b16_e32 v30, 7, v30
	v_dot4c_i32_i8_e32 v49, v38, v4
	v_dot4c_i32_i8_e32 v28, v31, v7
	v_and_b32_e32 v31, 1, v40
	v_bfe_i32 v38, v30, 0, 1
	v_bfe_u32 v30, v40, 3, 1
	v_dot4c_i32_i8_e32 v28, v32, v48
	v_sub_u16_e32 v32, 0, v31
	v_bfe_u32 v31, v40, 1, 7
	v_cmp_ne_u16_e32 vcc, 0, v30
	v_bfe_i32 v31, v31, 0, 1
	v_and_or_b32 v29, v41, s29, v43
	v_cndmask_b32_e64 v30, 0, -1, vcc
	v_lshlrev_b16_e32 v39, 8, v31
	v_lshlrev_b16_e32 v43, 8, v30
	v_or_b32_sdwa v31, v32, v39 dst_sel:DWORD dst_unused:UNUSED_PAD src0_sel:BYTE_0 src1_sel:DWORD
	v_or_b32_sdwa v30, v38, v43 dst_sel:WORD_1 dst_unused:UNUSED_PAD src0_sel:BYTE_0 src1_sel:DWORD
	v_bfe_i32 v51, v40, 4, 1
	v_or_b32_sdwa v50, v31, v30 dst_sel:DWORD dst_unused:UNUSED_PAD src0_sel:WORD_0 src1_sel:DWORD
	v_lshlrev_b32_sdwa v30, v37, v40 dst_sel:DWORD dst_unused:UNUSED_PAD src0_sel:DWORD src1_sel:BYTE_0
	v_lshrrev_b16_e32 v30, 7, v30
	v_bfe_i32 v52, v30, 0, 1
	v_bfe_u32 v30, v40, 7, 1
	v_bfe_u32 v31, v40, 5, 3
	v_cmp_ne_u16_e32 vcc, 0, v30
	v_bfe_i32 v31, v31, 0, 1
	v_lshlrev_b16_e32 v53, 8, v31
	v_cndmask_b32_e64 v30, 0, -1, vcc
	v_lshlrev_b16_e32 v54, 8, v30
	v_lshlrev_b32_e32 v29, 3, v29
	v_or_b32_sdwa v31, v51, v53 dst_sel:DWORD dst_unused:UNUSED_PAD src0_sel:BYTE_0 src1_sel:DWORD
	v_or_b32_sdwa v30, v52, v54 dst_sel:WORD_1 dst_unused:UNUSED_PAD src0_sel:BYTE_0 src1_sel:DWORD
	v_lshlrev_b16_e32 v32, 8, v32
	v_or_b32_sdwa v55, v31, v30 dst_sel:DWORD dst_unused:UNUSED_PAD src0_sel:WORD_0 src1_sel:DWORD
	global_load_dwordx2 v[30:31], v29, s[20:21]
	v_lshlrev_b16_e32 v38, 8, v38
	s_waitcnt vmcnt(0)
	v_xor_b32_e32 v29, v30, v50
	v_and_b32_e32 v30, 0xffffff00, v29
	v_sub_i16 v30, v30, v39 clamp
	v_lshlrev_b16_e32 v39, 8, v29
	v_and_b32_e32 v30, 0xffffff00, v30
	v_sub_i16 v32, v39, v32 clamp
	v_or_b32_sdwa v30, v32, v30 dst_sel:DWORD dst_unused:UNUSED_PAD src0_sel:BYTE_1 src1_sel:DWORD
	v_and_b32_sdwa v32, v29, s33 dst_sel:DWORD dst_unused:UNUSED_PAD src0_sel:WORD_1 src1_sel:DWORD
	v_sub_i16 v32, v32, v43 clamp
	v_lshlrev_b16_sdwa v29, v35, v29 dst_sel:DWORD dst_unused:UNUSED_PAD src0_sel:DWORD src1_sel:WORD_1
	v_and_b32_e32 v32, 0xffffff00, v32
	v_sub_i16 v29, v29, v38 clamp
	v_or_b32_sdwa v29, v29, v32 dst_sel:WORD_1 dst_unused:UNUSED_PAD src0_sel:BYTE_1 src1_sel:DWORD
	v_lshlrev_b16_e32 v38, 8, v51
	v_or_b32_sdwa v30, v30, v29 dst_sel:DWORD dst_unused:UNUSED_PAD src0_sel:WORD_0 src1_sel:DWORD
	v_xor_b32_e32 v29, v31, v55
	v_and_b32_e32 v31, 0xffffff00, v29
	v_sub_i16 v31, v31, v53 clamp
	v_lshlrev_b16_e32 v32, 8, v29
	v_and_b32_e32 v31, 0xffffff00, v31
	v_sub_i16 v32, v32, v38 clamp
	v_or_b32_sdwa v31, v32, v31 dst_sel:DWORD dst_unused:UNUSED_PAD src0_sel:BYTE_1 src1_sel:DWORD
	v_and_b32_sdwa v32, v29, s33 dst_sel:DWORD dst_unused:UNUSED_PAD src0_sel:WORD_1 src1_sel:DWORD
	v_sub_i16 v32, v32, v54 clamp
	v_lshlrev_b16_sdwa v29, v35, v29 dst_sel:DWORD dst_unused:UNUSED_PAD src0_sel:DWORD src1_sel:WORD_1
	v_lshlrev_b16_e32 v38, 8, v52
	v_and_b32_e32 v32, 0xffffff00, v32
	v_sub_i16 v29, v29, v38 clamp
	v_or_b32_sdwa v29, v29, v32 dst_sel:WORD_1 dst_unused:UNUSED_PAD src0_sel:BYTE_1 src1_sel:DWORD
	s_nop 0
	v_or_b32_sdwa v31, v31, v29 dst_sel:DWORD dst_unused:UNUSED_PAD src0_sel:WORD_0 src1_sel:DWORD
	v_mov_b32_e32 v29, 0
	v_dot4c_i32_i8_e32 v29, v30, v9
	v_or_b32_sdwa v9, v42, v41 dst_sel:DWORD dst_unused:UNUSED_PAD src0_sel:DWORD src1_sel:BYTE_1
	v_lshrrev_b16_e32 v30, 8, v40
	v_lshlrev_b32_e32 v32, 3, v9
	v_lshlrev_b32_e32 v9, 5, v30
	v_lshrrev_b16_e32 v9, 7, v9
	v_dot4c_i32_i8_e32 v29, v31, v10
	v_lshlrev_b16_e32 v10, 7, v40
	v_bfe_i32 v41, v9, 0, 1
	v_bfe_u32 v9, v30, 3, 1
	v_ashrrev_i16_e32 v40, 15, v10
	v_lshrrev_b32_e32 v10, 1, v30
	v_cmp_ne_u16_e32 vcc, 0, v9
	v_bfe_i32 v10, v10, 0, 1
	v_lshlrev_b16_e32 v42, 8, v10
	v_cndmask_b32_e64 v9, 0, -1, vcc
	v_lshlrev_b16_e32 v43, 8, v9
	v_or_b32_sdwa v10, v40, v42 dst_sel:DWORD dst_unused:UNUSED_PAD src0_sel:BYTE_0 src1_sel:DWORD
	v_or_b32_sdwa v9, v41, v43 dst_sel:WORD_1 dst_unused:UNUSED_PAD src0_sel:BYTE_0 src1_sel:DWORD
	v_lshrrev_b32_e32 v31, 5, v30
	v_or_b32_sdwa v50, v10, v9 dst_sel:DWORD dst_unused:UNUSED_PAD src0_sel:WORD_0 src1_sel:DWORD
	v_lshlrev_b32_e32 v9, 1, v30
	v_bfe_i32 v10, v30, 4, 1
	v_lshrrev_b32_e32 v30, 7, v30
	v_cmp_ne_u16_e32 vcc, 0, v30
	v_bfe_i32 v31, v31, 0, 1
	v_lshrrev_b16_e32 v9, 7, v9
	v_cndmask_b32_e64 v30, 0, -1, vcc
	v_bfe_i32 v9, v9, 0, 1
	v_lshlrev_b16_e32 v31, 8, v31
	v_lshlrev_b16_e32 v30, 8, v30
	v_or_b32_sdwa v38, v10, v31 dst_sel:DWORD dst_unused:UNUSED_PAD src0_sel:BYTE_0 src1_sel:DWORD
	v_or_b32_sdwa v39, v9, v30 dst_sel:WORD_1 dst_unused:UNUSED_PAD src0_sel:BYTE_0 src1_sel:DWORD
	v_lshlrev_b16_e32 v40, 8, v40
	v_or_b32_sdwa v51, v38, v39 dst_sel:DWORD dst_unused:UNUSED_PAD src0_sel:WORD_0 src1_sel:DWORD
	global_load_dwordx2 v[38:39], v32, s[20:21]
	v_lshlrev_b16_e32 v41, 8, v41
	v_lshlrev_b16_e32 v10, 8, v10
	;; [unrolled: 1-line block ×3, first 2 shown]
	v_cmp_le_u32_e32 vcc, s5, v33
	s_or_b64 s[12:13], vcc, s[12:13]
	s_waitcnt vmcnt(0)
	v_xor_b32_e32 v32, v38, v50
	v_and_b32_e32 v38, 0xffffff00, v32
	v_sub_i16 v38, v38, v42 clamp
	v_lshlrev_b16_e32 v42, 8, v32
	v_and_b32_e32 v38, 0xffffff00, v38
	v_sub_i16 v40, v42, v40 clamp
	v_or_b32_sdwa v38, v40, v38 dst_sel:DWORD dst_unused:UNUSED_PAD src0_sel:BYTE_1 src1_sel:DWORD
	v_and_b32_sdwa v40, v32, s33 dst_sel:DWORD dst_unused:UNUSED_PAD src0_sel:WORD_1 src1_sel:DWORD
	v_sub_i16 v40, v40, v43 clamp
	v_lshlrev_b16_sdwa v32, v35, v32 dst_sel:DWORD dst_unused:UNUSED_PAD src0_sel:DWORD src1_sel:WORD_1
	v_and_b32_e32 v40, 0xffffff00, v40
	v_sub_i16 v32, v32, v41 clamp
	v_or_b32_sdwa v32, v32, v40 dst_sel:WORD_1 dst_unused:UNUSED_PAD src0_sel:BYTE_1 src1_sel:DWORD
	s_nop 0
	v_or_b32_sdwa v32, v38, v32 dst_sel:DWORD dst_unused:UNUSED_PAD src0_sel:WORD_0 src1_sel:DWORD
	v_xor_b32_e32 v38, v39, v51
	v_and_b32_e32 v39, 0xffffff00, v38
	v_sub_i16 v31, v39, v31 clamp
	v_lshlrev_b16_e32 v39, 8, v38
	v_and_b32_e32 v31, 0xffffff00, v31
	v_sub_i16 v10, v39, v10 clamp
	v_or_b32_sdwa v10, v10, v31 dst_sel:DWORD dst_unused:UNUSED_PAD src0_sel:BYTE_1 src1_sel:DWORD
	v_and_b32_sdwa v31, v38, s33 dst_sel:DWORD dst_unused:UNUSED_PAD src0_sel:WORD_1 src1_sel:DWORD
	v_sub_i16 v30, v31, v30 clamp
	v_lshlrev_b16_sdwa v31, v35, v38 dst_sel:DWORD dst_unused:UNUSED_PAD src0_sel:DWORD src1_sel:WORD_1
	v_and_b32_e32 v30, 0xffffff00, v30
	v_sub_i16 v9, v31, v9 clamp
	v_or_b32_sdwa v9, v9, v30 dst_sel:WORD_1 dst_unused:UNUSED_PAD src0_sel:BYTE_1 src1_sel:DWORD
	v_dot4c_i32_i8_e32 v29, v32, v11
	v_or_b32_sdwa v9, v10, v9 dst_sel:DWORD dst_unused:UNUSED_PAD src0_sel:WORD_0 src1_sel:DWORD
	v_dot4c_i32_i8_e32 v29, v9, v4
	v_mov_b32_e32 v4, 0
	v_dot4c_i32_i8_e32 v4, v24, v5
	v_dot4c_i32_i8_e32 v4, v25, v6
	;; [unrolled: 1-line block ×4, first 2 shown]
	v_add_u32_e32 v10, v28, v49
	v_lshrrev_b32_e32 v11, 31, v10
	v_add_u32_e32 v10, v10, v11
	v_mul_lo_u32 v9, v4, v44
	v_add_u32_e32 v4, v4, v29
	v_lshrrev_b32_e32 v11, 31, v4
	v_mul_lo_u32 v5, v49, v47
	v_mul_lo_u32 v7, v28, v45
	v_ashrrev_i32_e32 v10, 1, v10
	v_add_u32_e32 v4, v4, v11
	v_mul_lo_u32 v6, v29, v46
	v_ashrrev_i32_e32 v4, 1, v4
	v_add3_u32 v5, v7, v5, v10
	v_add3_u32 v4, v9, v6, v4
	v_ashrrev_i32_e32 v6, 31, v5
	v_lshrrev_b32_e32 v6, 30, v6
	v_add_u32_e32 v5, v5, v6
	v_ashrrev_i32_e32 v6, 2, v5
	v_ashrrev_i32_e32 v5, 31, v4
	v_lshrrev_b32_e32 v5, 30, v5
	v_add_u32_e32 v4, v4, v5
	v_ashrrev_i32_e32 v7, 2, v4
	v_cvt_f32_i32_e32 v7, v7
	v_cvt_f32_i32_e32 v6, v6
	v_pk_mul_f32 v[4:5], v[8:9], v[22:23] op_sel_hi:[0,1]
	v_pk_fma_f32 v[2:3], v[4:5], v[6:7], v[2:3]
	scratch_store_dwordx4 off, v[0:3], off offset:48
	s_andn2_b64 exec, exec, s[12:13]
	s_cbranch_execnz .LBB191_2
.LBB191_3:
	s_or_b64 exec, exec, s[6:7]
	s_mov_b32 s5, 0
	v_cmp_eq_u32_e32 vcc, 0, v13
	s_waitcnt lgkmcnt(0)
	; wave barrier
	s_and_saveexec_b64 s[6:7], vcc
	s_cbranch_execz .LBB191_20
; %bb.4:
	scratch_load_dwordx2 v[2:3], off, off
	v_mbcnt_lo_u32_b32 v0, -1, 0
	v_mbcnt_hi_u32_b32 v13, -1, v0
	s_load_dwordx2 s[6:7], s[0:1], 0x38
	s_mul_i32 s0, s3, s14
	v_or_b32_e32 v1, s2, v12
	v_and_b32_e32 v0, 64, v13
	s_mul_i32 s4, s4, s18
	s_add_i32 s2, s0, s2
	v_cmp_gt_u32_e64 s[0:1], s10, v1
	v_xor_b32_e32 v1, 32, v13
	v_add_u32_e32 v14, 64, v0
	s_add_i32 s4, s2, s4
	v_cmp_lt_i32_e64 s[2:3], v1, v14
	v_cmp_gt_u32_e32 vcc, 2, v12
	s_nop 0
	v_cndmask_b32_e64 v0, v13, v1, s[2:3]
	v_lshlrev_b32_e32 v0, 2, v0
	v_xor_b32_e32 v1, 16, v13
	v_cmp_lt_i32_e64 s[2:3], v1, v14
	s_waitcnt vmcnt(0)
	ds_bpermute_b32 v4, v0, v2
	ds_bpermute_b32 v5, v0, v3
	v_cndmask_b32_e64 v1, v13, v1, s[2:3]
	v_lshlrev_b32_e32 v1, 2, v1
	s_waitcnt lgkmcnt(0)
	v_pk_add_f32 v[4:5], v[2:3], v[4:5]
	ds_bpermute_b32 v6, v1, v4
	ds_bpermute_b32 v7, v1, v5
	v_xor_b32_e32 v2, 8, v13
	v_cmp_lt_i32_e64 s[2:3], v2, v14
	v_xor_b32_e32 v3, 4, v13
	s_waitcnt lgkmcnt(0)
	v_pk_add_f32 v[4:5], v[4:5], v[6:7]
	v_cndmask_b32_e64 v2, v13, v2, s[2:3]
	v_lshlrev_b32_e32 v2, 2, v2
	ds_bpermute_b32 v6, v2, v4
	ds_bpermute_b32 v7, v2, v5
	v_cmp_lt_i32_e64 s[2:3], v3, v14
	s_waitcnt lgkmcnt(0)
	v_pk_add_f32 v[6:7], v[4:5], v[6:7]
	v_cndmask_b32_e64 v3, v13, v3, s[2:3]
	v_lshlrev_b32_e32 v3, 2, v3
	ds_bpermute_b32 v8, v3, v6
	ds_bpermute_b32 v9, v3, v7
	v_xor_b32_e32 v4, 2, v13
	v_cmp_lt_i32_e64 s[2:3], v4, v14
	v_xor_b32_e32 v5, 1, v13
	s_waitcnt lgkmcnt(0)
	v_pk_add_f32 v[8:9], v[6:7], v[8:9]
	v_cndmask_b32_e64 v4, v13, v4, s[2:3]
	v_lshlrev_b32_e32 v4, 2, v4
	ds_bpermute_b32 v10, v4, v8
	ds_bpermute_b32 v11, v4, v9
	v_cmp_lt_i32_e64 s[2:3], v5, v14
	s_waitcnt lgkmcnt(0)
	v_pk_add_f32 v[8:9], v[8:9], v[10:11]
	v_cndmask_b32_e64 v5, v13, v5, s[2:3]
	v_lshlrev_b32_e32 v6, 2, v5
	ds_bpermute_b32 v10, v6, v8
	ds_bpermute_b32 v11, v6, v9
	s_lshl_b64 s[2:3], s[4:5], 2
	s_add_u32 s2, s6, s2
	s_addc_u32 s3, s7, s3
	s_and_b64 s[0:1], vcc, s[0:1]
	s_waitcnt lgkmcnt(0)
	v_pk_add_f32 v[8:9], v[8:9], v[10:11]
	v_lshlrev_b32_e32 v5, 2, v12
	scratch_store_dwordx2 off, v[8:9], off
	s_and_saveexec_b64 s[4:5], s[0:1]
	s_cbranch_execz .LBB191_6
; %bb.5:
	scratch_load_dword v7, v5, off
	s_waitcnt vmcnt(0)
	global_store_dword v5, v7, s[2:3]
.LBB191_6:
	s_or_b64 exec, exec, s[4:5]
	scratch_load_dwordx2 v[8:9], off, off offset:8
	s_waitcnt vmcnt(0)
	ds_bpermute_b32 v10, v0, v8
	ds_bpermute_b32 v11, v0, v9
	s_waitcnt lgkmcnt(0)
	v_pk_add_f32 v[8:9], v[8:9], v[10:11]
	ds_bpermute_b32 v10, v1, v8
	ds_bpermute_b32 v11, v1, v9
	s_waitcnt lgkmcnt(0)
	v_pk_add_f32 v[8:9], v[8:9], v[10:11]
	;; [unrolled: 4-line block ×6, first 2 shown]
	scratch_store_dwordx2 off, v[8:9], off offset:8
	s_and_saveexec_b64 s[4:5], s[0:1]
	s_cbranch_execz .LBB191_8
; %bb.7:
	scratch_load_dword v7, v5, off offset:8
	v_add_u32_e32 v8, s10, v12
	v_mov_b32_e32 v9, 0
	v_lshl_add_u64 v[8:9], v[8:9], 2, s[2:3]
	s_waitcnt vmcnt(0)
	global_store_dword v[8:9], v7, off
.LBB191_8:
	s_or_b64 exec, exec, s[4:5]
	scratch_load_dwordx2 v[8:9], off, off offset:16
	s_waitcnt vmcnt(0)
	ds_bpermute_b32 v10, v0, v8
	ds_bpermute_b32 v11, v0, v9
	s_waitcnt lgkmcnt(0)
	v_pk_add_f32 v[8:9], v[8:9], v[10:11]
	ds_bpermute_b32 v10, v1, v8
	ds_bpermute_b32 v11, v1, v9
	s_waitcnt lgkmcnt(0)
	v_pk_add_f32 v[8:9], v[8:9], v[10:11]
	;; [unrolled: 4-line block ×6, first 2 shown]
	scratch_store_dwordx2 off, v[8:9], off offset:16
	s_and_saveexec_b64 s[4:5], s[0:1]
	s_cbranch_execz .LBB191_10
; %bb.9:
	scratch_load_dword v7, v5, off offset:16
	v_lshl_or_b32 v8, s10, 1, v12
	v_mov_b32_e32 v9, 0
	v_lshl_add_u64 v[8:9], v[8:9], 2, s[2:3]
	s_waitcnt vmcnt(0)
	global_store_dword v[8:9], v7, off
.LBB191_10:
	s_or_b64 exec, exec, s[4:5]
	scratch_load_dwordx2 v[8:9], off, off offset:24
	s_waitcnt vmcnt(0)
	ds_bpermute_b32 v10, v0, v8
	ds_bpermute_b32 v11, v0, v9
	s_waitcnt lgkmcnt(0)
	v_pk_add_f32 v[8:9], v[8:9], v[10:11]
	ds_bpermute_b32 v10, v1, v8
	ds_bpermute_b32 v11, v1, v9
	s_waitcnt lgkmcnt(0)
	v_pk_add_f32 v[8:9], v[8:9], v[10:11]
	;; [unrolled: 4-line block ×6, first 2 shown]
	scratch_store_dwordx2 off, v[8:9], off offset:24
	s_and_saveexec_b64 s[4:5], s[0:1]
	s_cbranch_execz .LBB191_12
; %bb.11:
	scratch_load_dword v7, v5, off offset:24
	v_mad_u64_u32 v[8:9], s[6:7], s10, 3, v[12:13]
	v_mov_b32_e32 v9, 0
	v_lshl_add_u64 v[8:9], v[8:9], 2, s[2:3]
	s_waitcnt vmcnt(0)
	global_store_dword v[8:9], v7, off
.LBB191_12:
	s_or_b64 exec, exec, s[4:5]
	scratch_load_dwordx2 v[8:9], off, off offset:32
	s_waitcnt vmcnt(0)
	ds_bpermute_b32 v10, v0, v8
	ds_bpermute_b32 v11, v0, v9
	s_waitcnt lgkmcnt(0)
	v_pk_add_f32 v[8:9], v[8:9], v[10:11]
	ds_bpermute_b32 v10, v1, v8
	ds_bpermute_b32 v11, v1, v9
	s_waitcnt lgkmcnt(0)
	v_pk_add_f32 v[8:9], v[8:9], v[10:11]
	;; [unrolled: 4-line block ×6, first 2 shown]
	scratch_store_dwordx2 off, v[8:9], off offset:32
	s_and_saveexec_b64 s[4:5], s[0:1]
	s_cbranch_execz .LBB191_14
; %bb.13:
	scratch_load_dword v7, v5, off offset:32
	v_lshl_or_b32 v8, s10, 2, v12
	v_mov_b32_e32 v9, 0
	v_lshl_add_u64 v[8:9], v[8:9], 2, s[2:3]
	s_waitcnt vmcnt(0)
	global_store_dword v[8:9], v7, off
.LBB191_14:
	s_or_b64 exec, exec, s[4:5]
	scratch_load_dwordx2 v[8:9], off, off offset:40
	s_waitcnt vmcnt(0)
	ds_bpermute_b32 v10, v0, v8
	ds_bpermute_b32 v11, v0, v9
	s_waitcnt lgkmcnt(0)
	v_pk_add_f32 v[8:9], v[8:9], v[10:11]
	ds_bpermute_b32 v10, v1, v8
	ds_bpermute_b32 v11, v1, v9
	s_waitcnt lgkmcnt(0)
	v_pk_add_f32 v[8:9], v[8:9], v[10:11]
	;; [unrolled: 4-line block ×6, first 2 shown]
	scratch_store_dwordx2 off, v[8:9], off offset:40
	s_and_saveexec_b64 s[4:5], s[0:1]
	s_cbranch_execz .LBB191_16
; %bb.15:
	scratch_load_dword v7, v5, off offset:40
	v_mad_u64_u32 v[8:9], s[6:7], s10, 5, v[12:13]
	v_mov_b32_e32 v9, 0
	v_lshl_add_u64 v[8:9], v[8:9], 2, s[2:3]
	s_waitcnt vmcnt(0)
	global_store_dword v[8:9], v7, off
.LBB191_16:
	s_or_b64 exec, exec, s[4:5]
	scratch_load_dwordx2 v[8:9], off, off offset:48
	s_waitcnt vmcnt(0)
	ds_bpermute_b32 v10, v0, v8
	ds_bpermute_b32 v11, v0, v9
	s_waitcnt lgkmcnt(0)
	v_pk_add_f32 v[8:9], v[8:9], v[10:11]
	ds_bpermute_b32 v10, v1, v8
	ds_bpermute_b32 v11, v1, v9
	s_waitcnt lgkmcnt(0)
	v_pk_add_f32 v[8:9], v[8:9], v[10:11]
	;; [unrolled: 4-line block ×6, first 2 shown]
	scratch_store_dwordx2 off, v[8:9], off offset:48
	s_and_saveexec_b64 s[4:5], s[0:1]
	s_cbranch_execz .LBB191_18
; %bb.17:
	scratch_load_dword v7, v5, off offset:48
	s_mul_i32 s6, s10, 6
	v_or_b32_e32 v8, s6, v12
	v_mov_b32_e32 v9, 0
	v_lshl_add_u64 v[8:9], v[8:9], 2, s[2:3]
	s_waitcnt vmcnt(0)
	global_store_dword v[8:9], v7, off
.LBB191_18:
	s_or_b64 exec, exec, s[4:5]
	scratch_load_dwordx2 v[8:9], off, off offset:56
	s_waitcnt vmcnt(0)
	ds_bpermute_b32 v10, v0, v8
	ds_bpermute_b32 v11, v0, v9
	s_waitcnt lgkmcnt(0)
	v_pk_add_f32 v[8:9], v[8:9], v[10:11]
	ds_bpermute_b32 v0, v1, v8
	ds_bpermute_b32 v1, v1, v9
	s_waitcnt lgkmcnt(0)
	v_pk_add_f32 v[0:1], v[8:9], v[0:1]
	;; [unrolled: 4-line block ×6, first 2 shown]
	scratch_store_dwordx2 off, v[0:1], off offset:56
	s_and_b64 exec, exec, s[0:1]
	s_cbranch_execz .LBB191_20
; %bb.19:
	scratch_load_dword v2, v5, off offset:56
	v_mad_u64_u32 v[0:1], s[0:1], s10, 7, v[12:13]
	v_mov_b32_e32 v1, 0
	v_lshl_add_u64 v[0:1], v[0:1], 2, s[2:3]
	s_waitcnt vmcnt(0)
	global_store_dword v[0:1], v2, off
.LBB191_20:
	s_endpgm
	.section	.rodata,"a",@progbits
	.p2align	6, 0x0
	.amdhsa_kernel _ZL13mul_mat_vec_qIL9ggml_type22ELi8ELb0ELb0EEvPKvS2_PKi31ggml_cuda_mm_fusion_args_devicePfj15HIP_vector_typeIjLj3EEjjjS8_jjjS8_jjjj
		.amdhsa_group_segment_fixed_size 0
		.amdhsa_private_segment_fixed_size 80
		.amdhsa_kernarg_size 144
		.amdhsa_user_sgpr_count 2
		.amdhsa_user_sgpr_dispatch_ptr 0
		.amdhsa_user_sgpr_queue_ptr 0
		.amdhsa_user_sgpr_kernarg_segment_ptr 1
		.amdhsa_user_sgpr_dispatch_id 0
		.amdhsa_user_sgpr_kernarg_preload_length 0
		.amdhsa_user_sgpr_kernarg_preload_offset 0
		.amdhsa_user_sgpr_private_segment_size 0
		.amdhsa_uses_dynamic_stack 0
		.amdhsa_enable_private_segment 1
		.amdhsa_system_sgpr_workgroup_id_x 1
		.amdhsa_system_sgpr_workgroup_id_y 1
		.amdhsa_system_sgpr_workgroup_id_z 1
		.amdhsa_system_sgpr_workgroup_info 0
		.amdhsa_system_vgpr_workitem_id 1
		.amdhsa_next_free_vgpr 72
		.amdhsa_next_free_sgpr 36
		.amdhsa_accum_offset 72
		.amdhsa_reserve_vcc 1
		.amdhsa_float_round_mode_32 0
		.amdhsa_float_round_mode_16_64 0
		.amdhsa_float_denorm_mode_32 3
		.amdhsa_float_denorm_mode_16_64 3
		.amdhsa_dx10_clamp 1
		.amdhsa_ieee_mode 1
		.amdhsa_fp16_overflow 0
		.amdhsa_tg_split 0
		.amdhsa_exception_fp_ieee_invalid_op 0
		.amdhsa_exception_fp_denorm_src 0
		.amdhsa_exception_fp_ieee_div_zero 0
		.amdhsa_exception_fp_ieee_overflow 0
		.amdhsa_exception_fp_ieee_underflow 0
		.amdhsa_exception_fp_ieee_inexact 0
		.amdhsa_exception_int_div_zero 0
	.end_amdhsa_kernel
	.section	.text._ZL13mul_mat_vec_qIL9ggml_type22ELi8ELb0ELb0EEvPKvS2_PKi31ggml_cuda_mm_fusion_args_devicePfj15HIP_vector_typeIjLj3EEjjjS8_jjjS8_jjjj,"axG",@progbits,_ZL13mul_mat_vec_qIL9ggml_type22ELi8ELb0ELb0EEvPKvS2_PKi31ggml_cuda_mm_fusion_args_devicePfj15HIP_vector_typeIjLj3EEjjjS8_jjjS8_jjjj,comdat
.Lfunc_end191:
	.size	_ZL13mul_mat_vec_qIL9ggml_type22ELi8ELb0ELb0EEvPKvS2_PKi31ggml_cuda_mm_fusion_args_devicePfj15HIP_vector_typeIjLj3EEjjjS8_jjjS8_jjjj, .Lfunc_end191-_ZL13mul_mat_vec_qIL9ggml_type22ELi8ELb0ELb0EEvPKvS2_PKi31ggml_cuda_mm_fusion_args_devicePfj15HIP_vector_typeIjLj3EEjjjS8_jjjS8_jjjj
                                        ; -- End function
	.section	.AMDGPU.csdata,"",@progbits
; Kernel info:
; codeLenInByte = 23112
; NumSgprs: 42
; NumVgprs: 72
; NumAgprs: 0
; TotalNumVgprs: 72
; ScratchSize: 80
; MemoryBound: 0
; FloatMode: 240
; IeeeMode: 1
; LDSByteSize: 0 bytes/workgroup (compile time only)
; SGPRBlocks: 5
; VGPRBlocks: 8
; NumSGPRsForWavesPerEU: 42
; NumVGPRsForWavesPerEU: 72
; AccumOffset: 72
; Occupancy: 7
; WaveLimiterHint : 0
; COMPUTE_PGM_RSRC2:SCRATCH_EN: 1
; COMPUTE_PGM_RSRC2:USER_SGPR: 2
; COMPUTE_PGM_RSRC2:TRAP_HANDLER: 0
; COMPUTE_PGM_RSRC2:TGID_X_EN: 1
; COMPUTE_PGM_RSRC2:TGID_Y_EN: 1
; COMPUTE_PGM_RSRC2:TGID_Z_EN: 1
; COMPUTE_PGM_RSRC2:TIDIG_COMP_CNT: 1
; COMPUTE_PGM_RSRC3_GFX90A:ACCUM_OFFSET: 17
; COMPUTE_PGM_RSRC3_GFX90A:TG_SPLIT: 0
	.section	.text._ZL17mul_mat_vec_q_moeIL9ggml_type18ELi2EEvPKvS2_PKiPfj15HIP_vector_typeIjLj3EEjjjjjjjjj,"axG",@progbits,_ZL17mul_mat_vec_q_moeIL9ggml_type18ELi2EEvPKvS2_PKiPfj15HIP_vector_typeIjLj3EEjjjjjjjjj,comdat
	.globl	_ZL17mul_mat_vec_q_moeIL9ggml_type18ELi2EEvPKvS2_PKiPfj15HIP_vector_typeIjLj3EEjjjjjjjjj ; -- Begin function _ZL17mul_mat_vec_q_moeIL9ggml_type18ELi2EEvPKvS2_PKiPfj15HIP_vector_typeIjLj3EEjjjjjjjjj
	.p2align	8
	.type	_ZL17mul_mat_vec_q_moeIL9ggml_type18ELi2EEvPKvS2_PKiPfj15HIP_vector_typeIjLj3EEjjjjjjjjj,@function
_ZL17mul_mat_vec_q_moeIL9ggml_type18ELi2EEvPKvS2_PKiPfj15HIP_vector_typeIjLj3EEjjjjjjjjj: ; @_ZL17mul_mat_vec_q_moeIL9ggml_type18ELi2EEvPKvS2_PKiPfj15HIP_vector_typeIjLj3EEjjjjjjjjj
; %bb.0:
	s_load_dwordx8 s[4:11], s[0:1], 0x30
	v_bfe_u32 v18, v0, 10, 10
	s_waitcnt lgkmcnt(0)
	v_cmp_gt_u32_e32 vcc, s11, v18
	s_and_saveexec_b64 s[12:13], vcc
	s_cbranch_execz .LBB192_7
; %bb.1:
	s_load_dword s11, s[0:1], 0x20
	s_load_dword s20, s[0:1], 0x50
	s_load_dwordx8 s[12:19], s[0:1], 0x0
	v_and_b32_e32 v19, 0x3ff, v0
	v_lshrrev_b32_e32 v20, 3, v19
	s_waitcnt lgkmcnt(0)
	s_lshr_b32 s11, s11, 8
	s_lshl_b32 s2, s2, 1
	v_cmp_gt_u32_e32 vcc, s11, v20
	v_mov_b32_e32 v11, 0
	v_mov_b32_e32 v10, 0
	s_and_saveexec_b64 s[24:25], vcc
	s_cbranch_execz .LBB192_5
; %bb.2:
	v_mul_lo_u32 v2, v18, s20
	v_mov_b32_e32 v0, s16
	v_mov_b32_e32 v1, s17
	v_add_u32_e32 v8, s3, v2
	v_mov_b32_e32 v9, 0
	v_lshl_add_u64 v[0:1], v[8:9], 2, v[0:1]
	global_load_dword v5, v[0:1], off
	s_load_dwordx4 s[20:23], s[0:1], 0x24
	v_mul_lo_u32 v1, v18, s6
	s_add_i32 s26, s2, 1
	v_lshlrev_b32_e32 v0, 1, v19
	s_mul_i32 s28, s2, s5
	s_waitcnt lgkmcnt(0)
	s_mul_hi_u32 s20, s20, s3
	s_add_i32 s20, s3, s20
	s_lshr_b32 s20, s20, s21
	s_mul_i32 s20, s20, s22
	v_lshrrev_b32_e32 v7, 3, v19
	s_movk_i32 s29, 0x120
	s_mul_i32 s5, s5, s26
	v_mad_u64_u32 v[2:3], s[26:27], v1, 36, 0
	s_sub_i32 s20, s3, s20
	v_and_b32_e32 v0, 14, v0
	v_mad_u64_u32 v[2:3], s[26:27], v7, s29, v[2:3]
	s_mul_i32 s20, s20, s9
	v_and_b32_e32 v6, 7, v19
	v_lshlrev_b32_e32 v4, 1, v0
	v_lshlrev_b32_e32 v8, 1, v0
	v_mad_u64_u32 v[0:1], s[20:21], s20, 36, v[2:3]
	v_mad_u64_u32 v[0:1], s[20:21], v6, 36, v[0:1]
	v_lshl_add_u64 v[0:1], v[0:1], 0, s[14:15]
	v_lshl_add_u64 v[16:17], v[0:1], 0, 16
	s_mov_b64 s[0:1], 0
	s_movk_i32 s6, 0x62
	v_mov_b64_e32 v[12:13], s[12:13]
	s_mov_b32 s16, 0xffff
	s_mov_b32 s17, 0x1010101
	s_movk_i32 s23, 0xff00
	s_mov_b64 s[12:13], 0x900
	v_mov_b32_e32 v21, 2
	v_mov_b32_e32 v22, 8
	;; [unrolled: 1-line block ×4, first 2 shown]
	v_lshlrev_b32_e32 v14, 1, v4
	v_mov_b32_e32 v11, v9
	s_waitcnt vmcnt(0)
	v_mul_lo_u32 v0, v5, s8
	v_add_u32_e32 v23, s28, v0
	v_add_u32_e32 v24, s5, v0
.LBB192_3:                              ; =>This Inner Loop Header: Depth=1
	v_add_u32_e32 v25, v23, v20
	v_add_u32_e32 v26, v24, v20
	v_mad_i64_i32 v[28:29], s[14:15], v25, s6, v[12:13]
	v_mad_i64_i32 v[26:27], s[14:15], v26, s6, v[12:13]
	global_load_dwordx4 v[0:3], v[16:17], off offset:-16
	global_load_dwordx4 v[4:7], v[16:17], off
	v_lshl_add_u64 v[30:31], v[28:29], 0, v[8:9]
	v_lshl_add_u64 v[32:33], v[28:29], 0, v[14:15]
	;; [unrolled: 1-line block ×4, first 2 shown]
	global_load_ushort v25, v[26:27], off
	global_load_dword v42, v[30:31], off offset:66
	global_load_dword v43, v[34:35], off offset:66
	global_load_dwordx2 v[38:39], v[32:33], off offset:2
	global_load_dwordx2 v[40:41], v[36:37], off offset:2
	global_load_ushort v44, v[28:29], off
	s_getpc_b64 s[8:9]
	s_add_u32 s8, s8, _ZL11iq3xxs_grid@rel32@lo+4
	s_addc_u32 s9, s9, _ZL11iq3xxs_grid@rel32@hi+12
	v_add_u32_e32 v20, 8, v20
	v_cmp_le_u32_e32 vcc, s11, v20
	s_or_b64 s[0:1], vcc, s[0:1]
	s_waitcnt vmcnt(5)
	v_cvt_f32_f16_e32 v25, v25
	s_waitcnt vmcnt(4)
	v_and_b32_e32 v29, 0xff, v42
	v_bcnt_u32_b32 v65, v29, 0
	v_bfe_u32 v34, v42, 7, 8
	v_bfe_u32 v46, v42, 21, 8
	v_and_b32_e32 v65, 1, v65
	s_waitcnt vmcnt(3)
	v_bfe_u32 v56, v43, 21, 8
	v_bcnt_u32_b32 v66, v34, 0
	v_bcnt_u32_b32 v67, v46, 0
	v_lshlrev_b32_e32 v65, 7, v65
	v_and_b32_e32 v26, 0xffff0000, v42
	v_bcnt_u32_b32 v70, v56, 0
	v_and_b32_e32 v66, 1, v66
	v_and_b32_e32 v67, 1, v67
	v_xor_b32_e32 v29, v65, v29
	v_and_or_b32 v26, v42, s16, v26
	v_and_b32_e32 v70, 1, v70
	v_lshlrev_b32_e32 v66, 7, v66
	v_lshlrev_b32_e32 v67, 7, v67
	v_mul_lo_u32 v29, v29, s17
	v_and_b32_e32 v50, 0xff, v43
	v_bfe_u32 v26, v26, 14, 8
	v_lshlrev_b32_e32 v70, 7, v70
	v_xor_b32_e32 v34, v66, v34
	v_xor_b32_e32 v46, v67, v46
	v_and_b32_e32 v67, 0x8000000, v29
	v_bcnt_u32_b32 v68, v50, 0
	v_bcnt_u32_b32 v75, v26, 0
	v_xor_b32_e32 v56, v70, v56
	v_mul_lo_u32 v34, v34, s17
	v_and_b32_e32 v70, 0x80000000, v29
	v_cmp_ne_u16_sdwa s[14:15], v67, v9 src0_sel:BYTE_3 src1_sel:DWORD
	v_and_b32_e32 v47, 0xffff0000, v43
	v_bfe_u32 v52, v43, 7, 8
	v_and_b32_e32 v68, 1, v68
	v_and_b32_e32 v65, 1, v75
	;; [unrolled: 1-line block ×3, first 2 shown]
	v_cndmask_b32_e64 v67, 0, -1, s[14:15]
	v_cmp_ne_u16_sdwa s[14:15], v70, v9 src0_sel:BYTE_3 src1_sel:DWORD
	v_and_or_b32 v47, v43, s16, v47
	v_bcnt_u32_b32 v69, v52, 0
	v_lshlrev_b32_e32 v68, 7, v68
	v_lshlrev_b32_e32 v65, 7, v65
	v_mul_lo_u32 v46, v46, s17
	v_and_b32_e32 v78, 0x80000000, v34
	v_cndmask_b32_e64 v70, 0, -1, s[14:15]
	v_cmp_ne_u16_sdwa s[14:15], v75, v9 src0_sel:BYTE_3 src1_sel:DWORD
	v_and_b32_e32 v69, 1, v69
	v_bfe_u32 v47, v47, 14, 8
	v_xor_b32_e32 v50, v68, v50
	v_xor_b32_e32 v26, v65, v26
	v_and_b32_e32 v65, 0x8000000, v46
	v_cndmask_b32_e64 v75, 0, -1, s[14:15]
	v_cmp_ne_u16_sdwa s[14:15], v78, v9 src0_sel:BYTE_3 src1_sel:DWORD
	v_lshlrev_b32_e32 v69, 7, v69
	v_bcnt_u32_b32 v76, v47, 0
	v_mul_lo_u32 v50, v50, s17
	v_and_b32_e32 v79, 0x80000000, v46
	v_cndmask_b32_e64 v78, 0, -1, s[14:15]
	v_cmp_ne_u16_sdwa s[14:15], v65, v9 src0_sel:BYTE_3 src1_sel:DWORD
	v_xor_b32_e32 v52, v69, v52
	v_and_b32_e32 v66, 1, v76
	v_and_b32_e32 v80, 0x8000000, v50
	v_cndmask_b32_e64 v65, 0, -1, s[14:15]
	v_cmp_ne_u16_sdwa s[14:15], v79, v9 src0_sel:BYTE_3 src1_sel:DWORD
	v_mul_lo_u32 v52, v52, s17
	v_lshlrev_b32_e32 v66, 7, v66
	v_and_b32_e32 v81, 0x80000000, v50
	v_cndmask_b32_e64 v79, 0, -1, s[14:15]
	v_cmp_ne_u16_sdwa s[14:15], v80, v9 src0_sel:BYTE_3 src1_sel:DWORD
	v_xor_b32_e32 v47, v66, v47
	v_and_b32_e32 v66, 0x8000000, v52
	v_cndmask_b32_e64 v80, 0, -1, s[14:15]
	v_cmp_ne_u16_sdwa s[14:15], v81, v9 src0_sel:BYTE_3 src1_sel:DWORD
	v_mul_lo_u32 v56, v56, s17
	v_lshrrev_b32_e32 v68, 8, v29
	v_and_b32_e32 v82, 0x80000000, v52
	v_cndmask_b32_e64 v81, 0, -1, s[14:15]
	v_cmp_ne_u16_sdwa s[14:15], v66, v9 src0_sel:BYTE_3 src1_sel:DWORD
	v_and_b32_e32 v83, 0x8000000, v56
	v_lshrrev_b32_e32 v86, 8, v46
	v_lshrrev_b16_e32 v93, 1, v68
	v_cndmask_b32_e64 v66, 0, -1, s[14:15]
	v_cmp_ne_u16_sdwa s[14:15], v82, v9 src0_sel:BYTE_3 src1_sel:DWORD
	v_and_b32_e32 v30, 1, v42
	v_lshrrev_b32_e32 v69, 18, v29
	v_and_b32_e32 v84, 0x80000000, v56
	v_lshrrev_b32_e32 v88, 8, v50
	v_lshrrev_b32_e32 v90, 8, v52
	;; [unrolled: 1-line block ×3, first 2 shown]
	v_lshrrev_b16_e32 v68, 5, v68
	v_mul_lo_u32 v26, v26, s17
	v_lshrrev_b16_e32 v95, 1, v86
	v_lshrrev_b16_e32 v86, 5, v86
	v_cndmask_b32_e64 v82, 0, -1, s[14:15]
	v_cmp_ne_u16_sdwa s[14:15], v83, v9 src0_sel:BYTE_3 src1_sel:DWORD
	v_bfe_i32 v93, v93, 0, 1
	v_lshrrev_b32_e32 v57, 16, v42
	v_sub_u16_e32 v30, 0, v30
	v_lshrrev_b32_e32 v29, 22, v29
	v_lshrrev_b32_e32 v76, 8, v34
	;; [unrolled: 1-line block ×4, first 2 shown]
	v_bfe_i32 v69, v69, 0, 1
	v_lshrrev_b16_e32 v96, 1, v88
	v_lshrrev_b16_e32 v97, 1, v90
	;; [unrolled: 1-line block ×4, first 2 shown]
	v_cndmask_b32_e64 v83, 0, -1, s[14:15]
	v_cmp_ne_u16_sdwa s[14:15], v84, v9 src0_sel:BYTE_3 src1_sel:DWORD
	v_lshlrev_b16_e32 v67, 8, v67
	v_bfe_i32 v68, v68, 0, 1
	v_and_b32_e32 v99, 0x8000000, v26
	v_bfe_i32 v95, v95, 0, 1
	v_bfe_i32 v86, v86, 0, 1
	v_lshrrev_b32_e32 v104, 8, v26
	v_lshlrev_b16_e32 v93, 8, v93
	v_bfe_i32 v31, v42, 4, 1
	v_and_b32_e32 v58, 1, v43
	v_lshrrev_b32_e32 v62, 16, v43
	v_bfe_i32 v71, v57, 5, 1
	v_bfe_i32 v72, v57, 9, 1
	v_lshrrev_b32_e32 v87, 18, v50
	v_lshrrev_b32_e32 v89, 18, v52
	;; [unrolled: 1-line block ×4, first 2 shown]
	v_bfe_i32 v29, v29, 0, 1
	v_lshrrev_b16_e32 v94, 1, v76
	v_mul_lo_u32 v47, v47, s17
	v_bfe_i32 v85, v85, 0, 1
	v_bfe_i32 v46, v46, 0, 1
	v_lshrrev_b16_e32 v92, 5, v92
	v_cndmask_b32_e64 v84, 0, -1, s[14:15]
	v_lshlrev_b16_e32 v70, 8, v70
	v_and_b32_e32 v100, 0x80000000, v26
	v_lshlrev_b16_e32 v65, 8, v65
	v_lshlrev_b16_e32 v79, 8, v79
	v_bfe_i32 v96, v96, 0, 1
	v_bfe_i32 v90, v90, 0, 1
	;; [unrolled: 1-line block ×3, first 2 shown]
	v_or_b32_sdwa v107, v69, v67 dst_sel:WORD_1 dst_unused:UNUSED_PAD src0_sel:BYTE_0 src1_sel:DWORD
	v_lshlrev_b16_e32 v68, 8, v68
	v_lshlrev_b16_e32 v95, 8, v95
	;; [unrolled: 1-line block ×3, first 2 shown]
	v_lshrrev_b16_e32 v119, 1, v104
	v_cmp_ne_u16_sdwa s[14:15], v99, v9 src0_sel:BYTE_3 src1_sel:DWORD
	v_or_b32_sdwa v121, v30, v93 dst_sel:DWORD dst_unused:UNUSED_PAD src0_sel:BYTE_0 src1_sel:DWORD
	v_bfe_i32 v61, v43, 11, 1
	v_sub_u16_e32 v58, 0, v58
	v_bfe_i32 v73, v62, 5, 1
	v_lshrrev_b32_e32 v77, 18, v34
	v_lshrrev_b32_e32 v56, 22, v56
	v_lshrrev_b16_e32 v76, 5, v76
	v_bfe_i32 v87, v87, 0, 1
	v_lshrrev_b16_e32 v88, 5, v88
	v_bfe_i32 v52, v52, 0, 1
	v_bfe_i32 v91, v91, 0, 1
	;; [unrolled: 1-line block ×3, first 2 shown]
	v_and_b32_e32 v101, 0x8000000, v47
	v_lshlrev_b16_e32 v80, 8, v80
	v_lshlrev_b16_e32 v82, 8, v82
	;; [unrolled: 1-line block ×3, first 2 shown]
	v_bfe_i32 v92, v92, 0, 1
	v_lshrrev_b32_e32 v103, 18, v26
	v_lshrrev_b32_e32 v106, 8, v47
	v_or_b32_sdwa v108, v29, v70 dst_sel:WORD_1 dst_unused:UNUSED_PAD src0_sel:BYTE_0 src1_sel:DWORD
	v_or_b32_sdwa v111, v85, v65 dst_sel:WORD_1 dst_unused:UNUSED_PAD src0_sel:BYTE_0 src1_sel:DWORD
	;; [unrolled: 1-line block ×3, first 2 shown]
	v_lshlrev_b16_e32 v96, 8, v96
	v_lshlrev_b16_e32 v90, 8, v90
	;; [unrolled: 1-line block ×3, first 2 shown]
	v_cndmask_b32_e64 v99, 0, -1, s[14:15]
	v_lshrrev_b16_e32 v104, 5, v104
	v_cmp_ne_u16_sdwa s[14:15], v100, v9 src0_sel:BYTE_3 src1_sel:DWORD
	v_or_b32_sdwa v122, v31, v68 dst_sel:DWORD dst_unused:UNUSED_PAD src0_sel:BYTE_0 src1_sel:DWORD
	v_or_b32_sdwa v125, v71, v95 dst_sel:DWORD dst_unused:UNUSED_PAD src0_sel:BYTE_0 src1_sel:DWORD
	v_or_b32_sdwa v107, v121, v107 dst_sel:DWORD dst_unused:UNUSED_PAD src0_sel:WORD_0 src1_sel:DWORD
	v_or_b32_sdwa v121, v72, v86 dst_sel:DWORD dst_unused:UNUSED_PAD src0_sel:BYTE_0 src1_sel:DWORD
	v_bfe_i32 v119, v119, 0, 1
	v_bfe_i32 v35, v42, 7, 1
	;; [unrolled: 1-line block ×4, first 2 shown]
	v_lshrrev_b32_e32 v34, 22, v34
	v_lshrrev_b32_e32 v50, 22, v50
	v_bfe_i32 v77, v77, 0, 1
	v_bfe_i32 v56, v56, 0, 1
	v_lshlrev_b16_e32 v75, 8, v75
	v_and_b32_e32 v102, 0x80000000, v47
	v_bfe_i32 v76, v76, 0, 1
	v_bfe_i32 v88, v88, 0, 1
	v_lshlrev_b16_e32 v84, 8, v84
	v_lshrrev_b32_e32 v26, 22, v26
	v_lshlrev_b16_e32 v94, 8, v94
	v_or_b32_sdwa v113, v87, v80 dst_sel:WORD_1 dst_unused:UNUSED_PAD src0_sel:BYTE_0 src1_sel:DWORD
	v_or_b32_sdwa v116, v52, v82 dst_sel:WORD_1 dst_unused:UNUSED_PAD src0_sel:BYTE_0 src1_sel:DWORD
	;; [unrolled: 1-line block ×3, first 2 shown]
	v_lshlrev_b16_e32 v92, 8, v92
	v_bfe_i32 v103, v103, 0, 1
	v_cndmask_b32_e64 v100, 0, -1, s[14:15]
	v_lshrrev_b16_e32 v120, 1, v106
	v_cmp_ne_u16_sdwa s[14:15], v101, v9 src0_sel:BYTE_3 src1_sel:DWORD
	v_or_b32_sdwa v108, v122, v108 dst_sel:DWORD dst_unused:UNUSED_PAD src0_sel:WORD_0 src1_sel:DWORD
	v_or_b32_sdwa v122, v58, v96 dst_sel:DWORD dst_unused:UNUSED_PAD src0_sel:BYTE_0 src1_sel:DWORD
	v_or_b32_sdwa v111, v125, v111 dst_sel:DWORD dst_unused:UNUSED_PAD src0_sel:WORD_0 src1_sel:DWORD
	v_or_b32_sdwa v125, v61, v90 dst_sel:DWORD dst_unused:UNUSED_PAD src0_sel:BYTE_0 src1_sel:DWORD
	v_or_b32_sdwa v112, v121, v112 dst_sel:DWORD dst_unused:UNUSED_PAD src0_sel:WORD_0 src1_sel:DWORD
	v_or_b32_sdwa v121, v73, v98 dst_sel:DWORD dst_unused:UNUSED_PAD src0_sel:BYTE_0 src1_sel:DWORD
	v_lshlrev_b16_e32 v99, 8, v99
	v_bfe_i32 v104, v104, 0, 1
	v_lshlrev_b16_e32 v119, 8, v119
	v_bfe_i32 v36, v42, 11, 1
	v_bfe_i32 v59, v43, 4, 1
	;; [unrolled: 1-line block ×5, first 2 shown]
	v_lshlrev_b16_e32 v78, 8, v78
	v_lshlrev_b16_e32 v81, 8, v81
	v_bfe_i32 v97, v97, 0, 1
	v_lshrrev_b32_e32 v105, 18, v47
	v_or_b32_sdwa v109, v77, v75 dst_sel:WORD_1 dst_unused:UNUSED_PAD src0_sel:BYTE_0 src1_sel:DWORD
	v_lshlrev_b16_e32 v76, 8, v76
	v_lshlrev_b16_e32 v88, 8, v88
	v_or_b32_sdwa v118, v56, v84 dst_sel:WORD_1 dst_unused:UNUSED_PAD src0_sel:BYTE_0 src1_sel:DWORD
	v_bfe_i32 v26, v26, 0, 1
	v_cndmask_b32_e64 v101, 0, -1, s[14:15]
	v_lshrrev_b16_e32 v106, 5, v106
	v_cmp_ne_u16_sdwa s[14:15], v102, v9 src0_sel:BYTE_3 src1_sel:DWORD
	v_or_b32_sdwa v123, v35, v94 dst_sel:DWORD dst_unused:UNUSED_PAD src0_sel:BYTE_0 src1_sel:DWORD
	v_or_b32_sdwa v113, v122, v113 dst_sel:DWORD dst_unused:UNUSED_PAD src0_sel:WORD_0 src1_sel:DWORD
	v_or_b32_sdwa v122, v74, v92 dst_sel:DWORD dst_unused:UNUSED_PAD src0_sel:BYTE_0 src1_sel:DWORD
	v_lshlrev_b16_e32 v100, 8, v100
	v_bfe_i32 v120, v120, 0, 1
	v_or_b32_sdwa v116, v125, v116 dst_sel:DWORD dst_unused:UNUSED_PAD src0_sel:WORD_0 src1_sel:DWORD
	v_or_b32_sdwa v117, v121, v117 dst_sel:DWORD dst_unused:UNUSED_PAD src0_sel:WORD_0 src1_sel:DWORD
	v_or_b32_sdwa v121, v103, v99 dst_sel:WORD_1 dst_unused:UNUSED_PAD src0_sel:BYTE_0 src1_sel:DWORD
	v_lshlrev_b16_e32 v104, 8, v104
	v_or_b32_sdwa v125, v63, v119 dst_sel:DWORD dst_unused:UNUSED_PAD src0_sel:BYTE_0 src1_sel:DWORD
	v_bfe_i32 v60, v43, 7, 1
	v_bfe_i32 v64, v43, 14, 1
	;; [unrolled: 1-line block ×3, first 2 shown]
	v_lshlrev_b16_e32 v66, 8, v66
	v_lshrrev_b32_e32 v47, 22, v47
	v_or_b32_sdwa v110, v34, v78 dst_sel:WORD_1 dst_unused:UNUSED_PAD src0_sel:BYTE_0 src1_sel:DWORD
	v_or_b32_sdwa v114, v50, v81 dst_sel:WORD_1 dst_unused:UNUSED_PAD src0_sel:BYTE_0 src1_sel:DWORD
	v_lshlrev_b16_e32 v97, 8, v97
	v_bfe_i32 v105, v105, 0, 1
	v_cndmask_b32_e64 v102, 0, -1, s[14:15]
	v_or_b32_sdwa v124, v36, v76 dst_sel:DWORD dst_unused:UNUSED_PAD src0_sel:BYTE_0 src1_sel:DWORD
	v_or_b32_sdwa v109, v123, v109 dst_sel:DWORD dst_unused:UNUSED_PAD src0_sel:WORD_0 src1_sel:DWORD
	v_or_b32_sdwa v123, v59, v88 dst_sel:DWORD dst_unused:UNUSED_PAD src0_sel:BYTE_0 src1_sel:DWORD
	v_lshlrev_b16_e32 v101, 8, v101
	v_bfe_i32 v106, v106, 0, 1
	v_or_b32_sdwa v118, v122, v118 dst_sel:DWORD dst_unused:UNUSED_PAD src0_sel:WORD_0 src1_sel:DWORD
	v_or_b32_sdwa v122, v26, v100 dst_sel:WORD_1 dst_unused:UNUSED_PAD src0_sel:BYTE_0 src1_sel:DWORD
	v_lshlrev_b16_e32 v120, 8, v120
	v_or_b32_sdwa v121, v125, v121 dst_sel:DWORD dst_unused:UNUSED_PAD src0_sel:WORD_0 src1_sel:DWORD
	v_or_b32_sdwa v125, v57, v104 dst_sel:DWORD dst_unused:UNUSED_PAD src0_sel:BYTE_0 src1_sel:DWORD
	v_bfe_i32 v62, v62, 2, 1
	v_or_b32_sdwa v115, v89, v66 dst_sel:WORD_1 dst_unused:UNUSED_PAD src0_sel:BYTE_0 src1_sel:DWORD
	v_bfe_i32 v47, v47, 0, 1
	v_or_b32_sdwa v110, v124, v110 dst_sel:DWORD dst_unused:UNUSED_PAD src0_sel:WORD_0 src1_sel:DWORD
	v_or_b32_sdwa v124, v60, v97 dst_sel:DWORD dst_unused:UNUSED_PAD src0_sel:BYTE_0 src1_sel:DWORD
	v_lshlrev_b16_e32 v102, 8, v102
	v_or_b32_sdwa v114, v123, v114 dst_sel:DWORD dst_unused:UNUSED_PAD src0_sel:WORD_0 src1_sel:DWORD
	v_or_b32_sdwa v123, v105, v101 dst_sel:WORD_1 dst_unused:UNUSED_PAD src0_sel:BYTE_0 src1_sel:DWORD
	v_lshlrev_b16_e32 v106, 8, v106
	v_or_b32_sdwa v122, v125, v122 dst_sel:DWORD dst_unused:UNUSED_PAD src0_sel:WORD_0 src1_sel:DWORD
	v_or_b32_sdwa v125, v64, v120 dst_sel:DWORD dst_unused:UNUSED_PAD src0_sel:BYTE_0 src1_sel:DWORD
	s_waitcnt vmcnt(2)
	v_lshlrev_b32_sdwa v27, v21, v38 dst_sel:DWORD dst_unused:UNUSED_PAD src0_sel:DWORD src1_sel:BYTE_0
	v_lshlrev_b32_sdwa v28, v21, v38 dst_sel:DWORD dst_unused:UNUSED_PAD src0_sel:DWORD src1_sel:BYTE_1
	v_lshlrev_b32_sdwa v32, v21, v38 dst_sel:DWORD dst_unused:UNUSED_PAD src0_sel:DWORD src1_sel:BYTE_2
	v_lshlrev_b32_sdwa v33, v21, v38 dst_sel:DWORD dst_unused:UNUSED_PAD src0_sel:DWORD src1_sel:BYTE_3
	v_lshlrev_b32_sdwa v37, v21, v39 dst_sel:DWORD dst_unused:UNUSED_PAD src0_sel:DWORD src1_sel:BYTE_0
	v_lshlrev_b32_sdwa v38, v21, v39 dst_sel:DWORD dst_unused:UNUSED_PAD src0_sel:DWORD src1_sel:BYTE_1
	v_or_b32_sdwa v115, v124, v115 dst_sel:DWORD dst_unused:UNUSED_PAD src0_sel:WORD_0 src1_sel:DWORD
	v_or_b32_sdwa v124, v47, v102 dst_sel:WORD_1 dst_unused:UNUSED_PAD src0_sel:BYTE_0 src1_sel:DWORD
	v_or_b32_sdwa v123, v125, v123 dst_sel:DWORD dst_unused:UNUSED_PAD src0_sel:WORD_0 src1_sel:DWORD
	v_or_b32_sdwa v125, v62, v106 dst_sel:DWORD dst_unused:UNUSED_PAD src0_sel:BYTE_0 src1_sel:DWORD
	v_lshlrev_b32_sdwa v45, v21, v39 dst_sel:DWORD dst_unused:UNUSED_PAD src0_sel:DWORD src1_sel:BYTE_2
	v_lshlrev_b32_sdwa v39, v21, v39 dst_sel:DWORD dst_unused:UNUSED_PAD src0_sel:DWORD src1_sel:BYTE_3
	v_or_b32_sdwa v124, v125, v124 dst_sel:DWORD dst_unused:UNUSED_PAD src0_sel:WORD_0 src1_sel:DWORD
	global_load_dword v125, v[16:17], off offset:16
	global_load_dword v126, v27, s[8:9]
	global_load_dword v127, v28, s[8:9]
                                        ; kill: killed $vgpr27
                                        ; kill: killed $vgpr28
	s_nop 0
	global_load_dword v27, v32, s[8:9]
	global_load_dword v28, v33, s[8:9]
                                        ; kill: killed $vgpr32
                                        ; kill: killed $vgpr33
	s_nop 0
	global_load_dword v32, v37, s[8:9]
	global_load_dword v33, v38, s[8:9]
                                        ; kill: killed $vgpr37
                                        ; kill: killed $vgpr38
	s_nop 0
	global_load_dword v37, v45, s[8:9]
	global_load_dword v38, v39, s[8:9]
	s_waitcnt vmcnt(10)
	v_lshlrev_b32_sdwa v48, v21, v40 dst_sel:DWORD dst_unused:UNUSED_PAD src0_sel:DWORD src1_sel:BYTE_0
	v_lshlrev_b32_sdwa v49, v21, v40 dst_sel:DWORD dst_unused:UNUSED_PAD src0_sel:DWORD src1_sel:BYTE_1
	v_lshlrev_b32_sdwa v51, v21, v40 dst_sel:DWORD dst_unused:UNUSED_PAD src0_sel:DWORD src1_sel:BYTE_2
	v_lshlrev_b32_sdwa v40, v21, v40 dst_sel:DWORD dst_unused:UNUSED_PAD src0_sel:DWORD src1_sel:BYTE_3
	v_lshlrev_b32_sdwa v53, v21, v41 dst_sel:DWORD dst_unused:UNUSED_PAD src0_sel:DWORD src1_sel:BYTE_0
	v_lshlrev_b32_sdwa v54, v21, v41 dst_sel:DWORD dst_unused:UNUSED_PAD src0_sel:DWORD src1_sel:BYTE_1
	v_lshlrev_b32_sdwa v55, v21, v41 dst_sel:DWORD dst_unused:UNUSED_PAD src0_sel:DWORD src1_sel:BYTE_2
	v_lshlrev_b32_sdwa v41, v21, v41 dst_sel:DWORD dst_unused:UNUSED_PAD src0_sel:DWORD src1_sel:BYTE_3
	v_lshlrev_b16_e32 v36, 8, v36
	v_lshlrev_b16_e32 v30, 8, v30
	;; [unrolled: 1-line block ×13, first 2 shown]
	v_mov_b32_e32 v45, 0
	v_lshlrev_b16_e32 v52, 8, v52
	v_lshlrev_b16_e32 v62, 8, v62
	v_lshlrev_b16_e32 v47, 8, v47
	v_lshrrev_b32_e32 v42, 28, v42
	v_lshrrev_b32_e32 v43, 28, v43
	s_waitcnt vmcnt(9)
	v_cvt_f32_f16_e32 v44, v44
	v_lshl_add_u64 v[16:17], v[16:17], 0, s[12:13]
	s_waitcnt vmcnt(7)
	v_xor_b32_e32 v39, v126, v107
	s_waitcnt vmcnt(6)
	v_xor_b32_e32 v107, v127, v108
	v_mov_b32_e32 v108, 0
	s_waitcnt vmcnt(5)
	v_xor_b32_e32 v27, v27, v109
	v_cvt_f32_f16_e32 v109, v0
	global_load_dword v0, v48, s[8:9]
	global_load_dword v126, v49, s[8:9]
	;; [unrolled: 1-line block ×3, first 2 shown]
                                        ; kill: killed $vgpr51
                                        ; kill: killed $vgpr48
                                        ; kill: killed $vgpr49
	s_nop 0
	global_load_dword v48, v40, s[8:9]
	global_load_dword v49, v53, s[8:9]
	global_load_dword v51, v54, s[8:9]
                                        ; kill: killed $vgpr53
                                        ; kill: killed $vgpr54
                                        ; kill: killed $vgpr40
	s_nop 0
	global_load_dword v40, v55, s[8:9]
	global_load_dword v53, v41, s[8:9]
	s_waitcnt vmcnt(12)
	v_xor_b32_e32 v28, v28, v110
	v_lshlrev_b16_e32 v41, 8, v63
	v_lshlrev_b16_e32 v54, 8, v59
	;; [unrolled: 1-line block ×9, first 2 shown]
	s_waitcnt vmcnt(11)
	v_xor_b32_e32 v32, v32, v121
	v_lshlrev_b16_e32 v121, 8, v28
	v_lshlrev_b16_e32 v55, 8, v60
	;; [unrolled: 1-line block ×8, first 2 shown]
	s_waitcnt vmcnt(10)
	v_xor_b32_e32 v33, v33, v122
	s_waitcnt vmcnt(9)
	v_xor_b32_e32 v37, v37, v111
	v_and_b32_e32 v105, 0xffffff00, v39
	v_lshlrev_b16_e32 v110, 8, v39
	v_and_b32_sdwa v111, v39, s23 dst_sel:DWORD dst_unused:UNUSED_PAD src0_sel:WORD_1 src1_sel:DWORD
	v_and_b32_sdwa v122, v28, s23 dst_sel:DWORD dst_unused:UNUSED_PAD src0_sel:WORD_1 src1_sel:DWORD
	v_sub_i16 v36, v121, v36 clamp
	s_waitcnt vmcnt(8)
	v_xor_b32_e32 v38, v38, v112
	v_lshlrev_b16_sdwa v39, v22, v39 dst_sel:DWORD dst_unused:UNUSED_PAD src0_sel:DWORD src1_sel:WORD_1
	v_and_b32_e32 v112, 0xffffff00, v107
	v_sub_i16 v93, v105, v93 clamp
	v_lshlrev_b16_e32 v105, 8, v32
	v_sub_i16 v30, v110, v30 clamp
	v_and_b32_sdwa v110, v32, s23 dst_sel:DWORD dst_unused:UNUSED_PAD src0_sel:WORD_1 src1_sel:DWORD
	v_sub_i16 v67, v111, v67 clamp
	v_sub_i16 v78, v122, v78 clamp
	v_and_b32_e32 v111, 0xffffff00, v33
	v_sub_i16 v39, v39, v69 clamp
	v_lshlrev_b16_e32 v69, 8, v33
	v_sub_i16 v68, v112, v68 clamp
	v_and_b32_sdwa v112, v33, s23 dst_sel:DWORD dst_unused:UNUSED_PAD src0_sel:WORD_1 src1_sel:DWORD
	v_sub_i16 v41, v105, v41 clamp
	v_and_b32_e32 v67, 0xffffff00, v67
	v_lshlrev_b16_sdwa v33, v22, v33 dst_sel:DWORD dst_unused:UNUSED_PAD src0_sel:DWORD src1_sel:WORD_1
	v_sub_i16 v99, v110, v99 clamp
	v_sub_i16 v104, v111, v104 clamp
	;; [unrolled: 1-line block ×4, first 2 shown]
	v_and_b32_e32 v68, 0xffffff00, v68
	v_or_b32_sdwa v39, v39, v67 dst_sel:WORD_1 dst_unused:UNUSED_PAD src0_sel:BYTE_1 src1_sel:DWORD
	v_sub_i16 v26, v33, v26 clamp
	v_and_b32_e32 v78, 0xffffff00, v78
	s_waitcnt vmcnt(7)
	v_xor_b32_e32 v0, v0, v113
	s_waitcnt vmcnt(6)
	v_xor_b32_e32 v91, v126, v114
	;; [unrolled: 2-line block ×3, first 2 shown]
	v_and_b32_e32 v115, 0xffffff00, v27
	v_and_b32_sdwa v121, v0, s23 dst_sel:DWORD dst_unused:UNUSED_PAD src0_sel:WORD_1 src1_sel:DWORD
	v_and_b32_sdwa v114, v107, s23 dst_sel:DWORD dst_unused:UNUSED_PAD src0_sel:WORD_1 src1_sel:DWORD
	s_waitcnt vmcnt(4)
	v_xor_b32_e32 v48, v48, v116
	v_lshlrev_b16_e32 v116, 8, v27
	s_waitcnt vmcnt(3)
	v_xor_b32_e32 v49, v49, v123
	v_and_b32_e32 v123, 0xffffff00, v32
	v_lshlrev_b16_sdwa v32, v22, v32 dst_sel:DWORD dst_unused:UNUSED_PAD src0_sel:DWORD src1_sel:WORD_1
	v_and_b32_e32 v122, 0xffffff00, v91
	s_waitcnt vmcnt(1)
	v_xor_b32_e32 v40, v40, v117
	s_waitcnt vmcnt(0)
	v_xor_b32_e32 v53, v53, v118
	v_and_b32_sdwa v117, v27, s23 dst_sel:DWORD dst_unused:UNUSED_PAD src0_sel:WORD_1 src1_sel:DWORD
	v_lshlrev_b16_sdwa v27, v22, v27 dst_sel:DWORD dst_unused:UNUSED_PAD src0_sel:DWORD src1_sel:WORD_1
	v_and_b32_e32 v118, 0xffffff00, v28
	v_lshlrev_b16_sdwa v28, v22, v28 dst_sel:DWORD dst_unused:UNUSED_PAD src0_sel:DWORD src1_sel:WORD_1
	v_sub_i16 v27, v27, v72 clamp
	v_and_b32_e32 v72, 0xffffff00, v0
	v_sub_i16 v76, v118, v76 clamp
	v_lshlrev_b16_e32 v118, 8, v0
	v_lshlrev_b16_sdwa v0, v22, v0 dst_sel:DWORD dst_unused:UNUSED_PAD src0_sel:DWORD src1_sel:WORD_1
	v_sub_i16 v28, v28, v34 clamp
	v_lshlrev_b16_e32 v34, 8, v91
	v_sub_i16 v119, v123, v119 clamp
	v_and_b32_sdwa v123, v91, s23 dst_sel:DWORD dst_unused:UNUSED_PAD src0_sel:WORD_1 src1_sel:DWORD
	v_sub_i16 v72, v72, v96 clamp
	v_and_b32_e32 v96, 0xffffff00, v53
	v_sub_i16 v58, v118, v58 clamp
	v_lshlrev_b16_e32 v118, 8, v53
	v_sub_i16 v80, v121, v80 clamp
	v_and_b32_sdwa v121, v53, s23 dst_sel:DWORD dst_unused:UNUSED_PAD src0_sel:WORD_1 src1_sel:DWORD
	v_lshlrev_b16_sdwa v53, v22, v53 dst_sel:DWORD dst_unused:UNUSED_PAD src0_sel:DWORD src1_sel:WORD_1
	v_lshlrev_b16_e32 v113, 8, v107
	v_lshlrev_b16_sdwa v107, v22, v107 dst_sel:DWORD dst_unused:UNUSED_PAD src0_sel:DWORD src1_sel:WORD_1
	v_sub_i16 v70, v114, v70 clamp
	v_sub_i16 v94, v115, v94 clamp
	v_and_b32_e32 v115, 0xffffff00, v38
	v_sub_i16 v35, v116, v35 clamp
	v_lshlrev_b16_e32 v116, 8, v38
	v_sub_i16 v75, v117, v75 clamp
	v_and_b32_sdwa v117, v38, s23 dst_sel:DWORD dst_unused:UNUSED_PAD src0_sel:WORD_1 src1_sel:DWORD
	v_lshlrev_b16_sdwa v38, v22, v38 dst_sel:DWORD dst_unused:UNUSED_PAD src0_sel:DWORD src1_sel:WORD_1
	v_lshlrev_b16_sdwa v91, v22, v91 dst_sel:DWORD dst_unused:UNUSED_PAD src0_sel:DWORD src1_sel:WORD_1
	v_and_b32_e32 v105, 0xffffff00, v103
	v_sub_i16 v32, v32, v87 clamp
	v_and_b32_sdwa v87, v103, s23 dst_sel:DWORD dst_unused:UNUSED_PAD src0_sel:WORD_1 src1_sel:DWORD
	v_sub_i16 v0, v0, v74 clamp
	v_sub_i16 v74, v122, v88 clamp
	;; [unrolled: 1-line block ×5, first 2 shown]
	v_and_b32_e32 v56, 0xffffff00, v93
	v_and_b32_e32 v72, 0xffffff00, v72
	;; [unrolled: 1-line block ×3, first 2 shown]
	v_sub_i16 v31, v113, v31 clamp
	v_and_b32_e32 v113, 0xffffff00, v37
	v_lshlrev_b16_e32 v114, 8, v37
	v_sub_i16 v29, v107, v29 clamp
	v_and_b32_sdwa v107, v37, s23 dst_sel:DWORD dst_unused:UNUSED_PAD src0_sel:WORD_1 src1_sel:DWORD
	v_lshlrev_b16_e32 v110, 8, v103
	v_lshlrev_b16_sdwa v103, v22, v103 dst_sel:DWORD dst_unused:UNUSED_PAD src0_sel:DWORD src1_sel:WORD_1
	v_and_b32_e32 v111, 0xffffff00, v48
	v_lshlrev_b16_e32 v69, 8, v48
	v_and_b32_sdwa v112, v48, s23 dst_sel:DWORD dst_unused:UNUSED_PAD src0_sel:WORD_1 src1_sel:DWORD
	v_sub_i16 v63, v116, v63 clamp
	v_and_b32_e32 v116, 0xffffff00, v40
	v_sub_i16 v79, v117, v79 clamp
	v_lshlrev_b16_e32 v117, 8, v40
	v_sub_i16 v38, v38, v46 clamp
	v_and_b32_sdwa v46, v40, s23 dst_sel:DWORD dst_unused:UNUSED_PAD src0_sel:WORD_1 src1_sel:DWORD
	v_lshlrev_b16_sdwa v40, v22, v40 dst_sel:DWORD dst_unused:UNUSED_PAD src0_sel:DWORD src1_sel:WORD_1
	v_sub_i16 v50, v91, v50 clamp
	v_sub_i16 v81, v105, v97 clamp
	v_sub_i16 v66, v87, v66 clamp
	v_and_b32_e32 v70, 0xffffff00, v70
	v_and_b32_e32 v74, 0xffffff00, v74
	;; [unrolled: 1-line block ×3, first 2 shown]
	v_or_b32_sdwa v30, v30, v56 dst_sel:DWORD dst_unused:UNUSED_PAD src0_sel:BYTE_1 src1_sel:DWORD
	v_or_b32_sdwa v58, v58, v72 dst_sel:DWORD dst_unused:UNUSED_PAD src0_sel:BYTE_1 src1_sel:DWORD
	v_or_b32_sdwa v0, v0, v80 dst_sel:WORD_1 dst_unused:UNUSED_PAD src0_sel:BYTE_1 src1_sel:DWORD
	v_xor_b32_e32 v51, v51, v124
	v_lshlrev_b16_sdwa v37, v22, v37 dst_sel:DWORD dst_unused:UNUSED_PAD src0_sel:DWORD src1_sel:WORD_1
	v_lshlrev_b16_sdwa v48, v22, v48 dst_sel:DWORD dst_unused:UNUSED_PAD src0_sel:DWORD src1_sel:WORD_1
	v_and_b32_e32 v33, 0xffffff00, v49
	v_sub_i16 v95, v113, v95 clamp
	v_lshlrev_b16_e32 v113, 8, v49
	v_sub_i16 v61, v114, v61 clamp
	v_and_b32_sdwa v114, v49, s23 dst_sel:DWORD dst_unused:UNUSED_PAD src0_sel:WORD_1 src1_sel:DWORD
	v_lshlrev_b16_sdwa v49, v22, v49 dst_sel:DWORD dst_unused:UNUSED_PAD src0_sel:DWORD src1_sel:WORD_1
	v_sub_i16 v65, v107, v65 clamp
	v_sub_i16 v55, v110, v55 clamp
	;; [unrolled: 1-line block ×7, first 2 shown]
	v_and_b32_e32 v85, 0xffffff00, v94
	v_and_b32_e32 v75, 0xffffff00, v75
	;; [unrolled: 1-line block ×5, first 2 shown]
	v_or_b32_sdwa v31, v31, v68 dst_sel:DWORD dst_unused:UNUSED_PAD src0_sel:BYTE_1 src1_sel:DWORD
	v_or_b32_sdwa v29, v29, v70 dst_sel:WORD_1 dst_unused:UNUSED_PAD src0_sel:BYTE_1 src1_sel:DWORD
	v_or_b32_sdwa v34, v34, v74 dst_sel:DWORD dst_unused:UNUSED_PAD src0_sel:BYTE_1 src1_sel:DWORD
	v_or_b32_sdwa v50, v50, v54 dst_sel:WORD_1 dst_unused:UNUSED_PAD src0_sel:BYTE_1 src1_sel:DWORD
	v_or_b32_sdwa v30, v30, v39 dst_sel:DWORD dst_unused:UNUSED_PAD src0_sel:WORD_0 src1_sel:DWORD
	v_or_b32_sdwa v0, v58, v0 dst_sel:DWORD dst_unused:UNUSED_PAD src0_sel:WORD_0 src1_sel:DWORD
	v_and_b32_e32 v107, 0xffffff00, v51
	v_sub_i16 v37, v37, v73 clamp
	v_lshlrev_b16_e32 v73, 8, v51
	v_sub_i16 v86, v115, v86 clamp
	v_and_b32_sdwa v115, v51, s23 dst_sel:DWORD dst_unused:UNUSED_PAD src0_sel:WORD_1 src1_sel:DWORD
	v_sub_i16 v48, v48, v52 clamp
	v_sub_i16 v33, v33, v120 clamp
	;; [unrolled: 1-line block ×7, first 2 shown]
	v_and_b32_e32 v88, 0xffffff00, v119
	v_and_b32_e32 v89, 0xffffff00, v99
	;; [unrolled: 1-line block ×7, first 2 shown]
	v_or_b32_sdwa v35, v35, v85 dst_sel:DWORD dst_unused:UNUSED_PAD src0_sel:BYTE_1 src1_sel:DWORD
	v_or_b32_sdwa v27, v27, v75 dst_sel:WORD_1 dst_unused:UNUSED_PAD src0_sel:BYTE_1 src1_sel:DWORD
	v_or_b32_sdwa v36, v36, v76 dst_sel:DWORD dst_unused:UNUSED_PAD src0_sel:BYTE_1 src1_sel:DWORD
	v_or_b32_sdwa v28, v28, v78 dst_sel:WORD_1 dst_unused:UNUSED_PAD src0_sel:BYTE_1 src1_sel:DWORD
	;; [unrolled: 2-line block ×3, first 2 shown]
	v_or_b32_sdwa v29, v31, v29 dst_sel:DWORD dst_unused:UNUSED_PAD src0_sel:WORD_0 src1_sel:DWORD
	v_or_b32_sdwa v34, v34, v50 dst_sel:DWORD dst_unused:UNUSED_PAD src0_sel:WORD_0 src1_sel:DWORD
	v_dot4c_i32_i8_e32 v45, v30, v1
	v_dot4c_i32_i8_e32 v108, v0, v1
	v_lshlrev_b16_sdwa v51, v22, v51 dst_sel:DWORD dst_unused:UNUSED_PAD src0_sel:DWORD src1_sel:WORD_1
	v_sub_i16 v82, v107, v106 clamp
	v_sub_i16 v62, v73, v62 clamp
	;; [unrolled: 1-line block ×3, first 2 shown]
	v_and_b32_e32 v33, 0xffffff00, v33
	v_and_b32_e32 v60, 0xffffff00, v60
	v_or_b32_sdwa v41, v41, v88 dst_sel:DWORD dst_unused:UNUSED_PAD src0_sel:BYTE_1 src1_sel:DWORD
	v_or_b32_sdwa v32, v32, v89 dst_sel:WORD_1 dst_unused:UNUSED_PAD src0_sel:BYTE_1 src1_sel:DWORD
	v_or_b32_sdwa v56, v57, v90 dst_sel:DWORD dst_unused:UNUSED_PAD src0_sel:BYTE_1 src1_sel:DWORD
	v_or_b32_sdwa v57, v61, v92 dst_sel:DWORD dst_unused:UNUSED_PAD src0_sel:BYTE_1 src1_sel:DWORD
	v_or_b32_sdwa v37, v37, v65 dst_sel:WORD_1 dst_unused:UNUSED_PAD src0_sel:BYTE_1 src1_sel:DWORD
	v_or_b32_sdwa v59, v59, v87 dst_sel:DWORD dst_unused:UNUSED_PAD src0_sel:BYTE_1 src1_sel:DWORD
	v_or_b32_sdwa v48, v48, v69 dst_sel:WORD_1 dst_unused:UNUSED_PAD src0_sel:BYTE_1 src1_sel:DWORD
	v_or_b32_sdwa v27, v35, v27 dst_sel:DWORD dst_unused:UNUSED_PAD src0_sel:WORD_0 src1_sel:DWORD
	v_or_b32_sdwa v28, v36, v28 dst_sel:DWORD dst_unused:UNUSED_PAD src0_sel:WORD_0 src1_sel:DWORD
	;; [unrolled: 1-line block ×3, first 2 shown]
	v_dot4c_i32_i8_e32 v45, v29, v2
	v_dot4c_i32_i8_e32 v108, v34, v2
	v_sub_i16 v47, v51, v47 clamp
	v_sub_i16 v51, v116, v98 clamp
	v_and_b32_e32 v91, 0xffffff00, v100
	v_and_b32_e32 v86, 0xffffff00, v86
	;; [unrolled: 1-line block ×5, first 2 shown]
	v_or_b32_sdwa v33, v52, v33 dst_sel:DWORD dst_unused:UNUSED_PAD src0_sel:BYTE_1 src1_sel:DWORD
	v_or_b32_sdwa v49, v49, v60 dst_sel:WORD_1 dst_unused:UNUSED_PAD src0_sel:BYTE_1 src1_sel:DWORD
	v_or_b32_sdwa v31, v41, v32 dst_sel:DWORD dst_unused:UNUSED_PAD src0_sel:WORD_0 src1_sel:DWORD
	v_or_b32_sdwa v32, v57, v37 dst_sel:DWORD dst_unused:UNUSED_PAD src0_sel:WORD_0 src1_sel:DWORD
	;; [unrolled: 1-line block ×3, first 2 shown]
	v_dot4c_i32_i8_e32 v45, v27, v3
	v_dot4c_i32_i8_e32 v108, v36, v3
	v_sub_i16 v64, v117, v64 clamp
	v_sub_i16 v84, v121, v84 clamp
	v_and_b32_e32 v51, 0xffffff00, v51
	v_and_b32_e32 v46, 0xffffff00, v46
	v_or_b32_sdwa v26, v26, v91 dst_sel:WORD_1 dst_unused:UNUSED_PAD src0_sel:BYTE_1 src1_sel:DWORD
	v_or_b32_sdwa v61, v63, v86 dst_sel:DWORD dst_unused:UNUSED_PAD src0_sel:BYTE_1 src1_sel:DWORD
	v_or_b32_sdwa v38, v38, v79 dst_sel:WORD_1 dst_unused:UNUSED_PAD src0_sel:BYTE_1 src1_sel:DWORD
	v_or_b32_sdwa v52, v62, v82 dst_sel:DWORD dst_unused:UNUSED_PAD src0_sel:BYTE_1 src1_sel:DWORD
	v_or_b32_sdwa v47, v47, v73 dst_sel:WORD_1 dst_unused:UNUSED_PAD src0_sel:BYTE_1 src1_sel:DWORD
	v_or_b32_sdwa v33, v33, v49 dst_sel:DWORD dst_unused:UNUSED_PAD src0_sel:WORD_0 src1_sel:DWORD
	v_dot4c_i32_i8_e32 v45, v28, v4
	v_dot4c_i32_i8_e32 v108, v37, v4
	v_sub_i16 v71, v118, v71 clamp
	v_and_b32_e32 v83, 0xffffff00, v83
	v_and_b32_e32 v84, 0xffffff00, v84
	v_or_b32_sdwa v51, v64, v51 dst_sel:DWORD dst_unused:UNUSED_PAD src0_sel:BYTE_1 src1_sel:DWORD
	v_or_b32_sdwa v40, v40, v46 dst_sel:WORD_1 dst_unused:UNUSED_PAD src0_sel:BYTE_1 src1_sel:DWORD
	v_or_b32_sdwa v26, v56, v26 dst_sel:DWORD dst_unused:UNUSED_PAD src0_sel:WORD_0 src1_sel:DWORD
	v_or_b32_sdwa v35, v61, v38 dst_sel:DWORD dst_unused:UNUSED_PAD src0_sel:WORD_0 src1_sel:DWORD
	;; [unrolled: 1-line block ×3, first 2 shown]
	v_dot4c_i32_i8_e32 v45, v31, v5
	v_dot4c_i32_i8_e32 v108, v33, v5
	v_or_b32_sdwa v46, v71, v83 dst_sel:DWORD dst_unused:UNUSED_PAD src0_sel:BYTE_1 src1_sel:DWORD
	v_or_b32_sdwa v53, v53, v84 dst_sel:WORD_1 dst_unused:UNUSED_PAD src0_sel:BYTE_1 src1_sel:DWORD
	v_or_b32_sdwa v39, v51, v40 dst_sel:DWORD dst_unused:UNUSED_PAD src0_sel:WORD_0 src1_sel:DWORD
	v_dot4c_i32_i8_e32 v45, v26, v6
	v_dot4c_i32_i8_e32 v108, v38, v6
	v_or_b32_sdwa v40, v46, v53 dst_sel:DWORD dst_unused:UNUSED_PAD src0_sel:WORD_0 src1_sel:DWORD
	v_dot4c_i32_i8_e32 v45, v32, v7
	v_dot4c_i32_i8_e32 v108, v39, v7
	;; [unrolled: 1-line block ×4, first 2 shown]
	s_nop 1
	v_lshrrev_b32_e32 v0, 31, v45
	v_lshrrev_b32_e32 v1, 31, v108
	v_add_u32_e32 v0, v45, v0
	v_add_u32_e32 v1, v108, v1
	v_ashrrev_i32_e32 v0, 1, v0
	v_ashrrev_i32_e32 v2, 1, v1
	v_mad_u64_u32 v[0:1], s[8:9], v45, v42, v[0:1]
	v_mad_u64_u32 v[2:3], s[8:9], v108, v43, v[2:3]
	v_lshrrev_b32_e32 v1, 31, v0
	v_lshrrev_b32_e32 v3, 31, v2
	v_add_u32_e32 v0, v0, v1
	v_add_u32_e32 v1, v2, v3
	v_ashrrev_i32_e32 v0, 1, v0
	v_ashrrev_i32_e32 v1, 1, v1
	v_cvt_f32_i32_e32 v0, v0
	v_cvt_f32_i32_e32 v1, v1
	v_mul_f32_e32 v2, v25, v109
	v_mul_f32_e32 v3, v44, v109
	v_fmac_f32_e32 v10, v3, v0
	v_fmac_f32_e32 v11, v2, v1
	s_andn2_b64 exec, exec, s[0:1]
	s_cbranch_execnz .LBB192_3
; %bb.4:
	s_or_b64 exec, exec, s[0:1]
.LBB192_5:
	s_or_b64 exec, exec, s[24:25]
	v_mbcnt_lo_u32_b32 v0, -1, 0
	v_mbcnt_hi_u32_b32 v4, -1, v0
	v_and_b32_e32 v0, 64, v4
	v_add_u32_e32 v5, 64, v0
	v_xor_b32_e32 v0, 32, v4
	v_cmp_lt_i32_e32 vcc, v0, v5
	v_xor_b32_e32 v2, 16, v4
	v_xor_b32_e32 v6, 8, v4
	v_cndmask_b32_e32 v0, v4, v0, vcc
	v_lshlrev_b32_e32 v1, 2, v0
	ds_bpermute_b32 v0, v1, v10
	ds_bpermute_b32 v1, v1, v11
	v_cmp_lt_i32_e32 vcc, v2, v5
	s_waitcnt lgkmcnt(0)
	v_pk_add_f32 v[0:1], v[10:11], v[0:1]
	v_cndmask_b32_e32 v2, v4, v2, vcc
	v_lshlrev_b32_e32 v3, 2, v2
	ds_bpermute_b32 v2, v3, v0
	ds_bpermute_b32 v3, v3, v1
	v_cmp_lt_i32_e32 vcc, v6, v5
	s_waitcnt lgkmcnt(0)
	v_pk_add_f32 v[0:1], v[0:1], v[2:3]
	v_cndmask_b32_e32 v6, v4, v6, vcc
	v_lshlrev_b32_e32 v6, 2, v6
	ds_bpermute_b32 v2, v6, v0
	ds_bpermute_b32 v3, v6, v1
	v_xor_b32_e32 v6, 4, v4
	v_cmp_lt_i32_e32 vcc, v6, v5
	s_waitcnt lgkmcnt(0)
	v_pk_add_f32 v[0:1], v[0:1], v[2:3]
	v_cndmask_b32_e32 v6, v4, v6, vcc
	v_lshlrev_b32_e32 v6, 2, v6
	ds_bpermute_b32 v2, v6, v0
	ds_bpermute_b32 v3, v6, v1
	v_xor_b32_e32 v6, 2, v4
	;; [unrolled: 8-line block ×3, first 2 shown]
	v_cmp_lt_i32_e32 vcc, v6, v5
	s_waitcnt lgkmcnt(0)
	v_pk_add_f32 v[0:1], v[0:1], v[2:3]
	v_cndmask_b32_e32 v4, v4, v6, vcc
	v_lshlrev_b32_e32 v4, 2, v4
	ds_bpermute_b32 v2, v4, v0
	ds_bpermute_b32 v3, v4, v1
	v_add_u32_e32 v4, s2, v19
	v_cmp_gt_u32_e32 vcc, 2, v19
	v_cmp_gt_u32_e64 s[0:1], s4, v4
	s_and_b64 s[0:1], vcc, s[0:1]
	s_and_b64 exec, exec, s[0:1]
	s_cbranch_execz .LBB192_7
; %bb.6:
	v_cmp_eq_u32_e32 vcc, 1, v19
	s_mul_i32 s3, s3, s10
	v_mov_b32_e32 v4, s18
	s_waitcnt lgkmcnt(0)
	v_cndmask_b32_e32 v2, v2, v3, vcc
	v_cndmask_b32_e32 v0, v0, v1, vcc
	v_add_f32_e32 v2, v0, v2
	v_mul_lo_u32 v0, v18, s7
	v_or_b32_e32 v1, s2, v19
	v_mov_b32_e32 v5, s19
	v_add3_u32 v0, v1, v0, s3
	v_mov_b32_e32 v1, 0
	v_lshl_add_u64 v[0:1], v[0:1], 2, v[4:5]
	global_store_dword v[0:1], v2, off
.LBB192_7:
	s_endpgm
	.section	.rodata,"a",@progbits
	.p2align	6, 0x0
	.amdhsa_kernel _ZL17mul_mat_vec_q_moeIL9ggml_type18ELi2EEvPKvS2_PKiPfj15HIP_vector_typeIjLj3EEjjjjjjjjj
		.amdhsa_group_segment_fixed_size 0
		.amdhsa_private_segment_fixed_size 0
		.amdhsa_kernarg_size 84
		.amdhsa_user_sgpr_count 2
		.amdhsa_user_sgpr_dispatch_ptr 0
		.amdhsa_user_sgpr_queue_ptr 0
		.amdhsa_user_sgpr_kernarg_segment_ptr 1
		.amdhsa_user_sgpr_dispatch_id 0
		.amdhsa_user_sgpr_kernarg_preload_length 0
		.amdhsa_user_sgpr_kernarg_preload_offset 0
		.amdhsa_user_sgpr_private_segment_size 0
		.amdhsa_uses_dynamic_stack 0
		.amdhsa_enable_private_segment 0
		.amdhsa_system_sgpr_workgroup_id_x 1
		.amdhsa_system_sgpr_workgroup_id_y 1
		.amdhsa_system_sgpr_workgroup_id_z 0
		.amdhsa_system_sgpr_workgroup_info 0
		.amdhsa_system_vgpr_workitem_id 1
		.amdhsa_next_free_vgpr 128
		.amdhsa_next_free_sgpr 30
		.amdhsa_accum_offset 128
		.amdhsa_reserve_vcc 1
		.amdhsa_float_round_mode_32 0
		.amdhsa_float_round_mode_16_64 0
		.amdhsa_float_denorm_mode_32 3
		.amdhsa_float_denorm_mode_16_64 3
		.amdhsa_dx10_clamp 1
		.amdhsa_ieee_mode 1
		.amdhsa_fp16_overflow 0
		.amdhsa_tg_split 0
		.amdhsa_exception_fp_ieee_invalid_op 0
		.amdhsa_exception_fp_denorm_src 0
		.amdhsa_exception_fp_ieee_div_zero 0
		.amdhsa_exception_fp_ieee_overflow 0
		.amdhsa_exception_fp_ieee_underflow 0
		.amdhsa_exception_fp_ieee_inexact 0
		.amdhsa_exception_int_div_zero 0
	.end_amdhsa_kernel
	.section	.text._ZL17mul_mat_vec_q_moeIL9ggml_type18ELi2EEvPKvS2_PKiPfj15HIP_vector_typeIjLj3EEjjjjjjjjj,"axG",@progbits,_ZL17mul_mat_vec_q_moeIL9ggml_type18ELi2EEvPKvS2_PKiPfj15HIP_vector_typeIjLj3EEjjjjjjjjj,comdat
.Lfunc_end192:
	.size	_ZL17mul_mat_vec_q_moeIL9ggml_type18ELi2EEvPKvS2_PKiPfj15HIP_vector_typeIjLj3EEjjjjjjjjj, .Lfunc_end192-_ZL17mul_mat_vec_q_moeIL9ggml_type18ELi2EEvPKvS2_PKiPfj15HIP_vector_typeIjLj3EEjjjjjjjjj
                                        ; -- End function
	.section	.AMDGPU.csdata,"",@progbits
; Kernel info:
; codeLenInByte = 5024
; NumSgprs: 36
; NumVgprs: 128
; NumAgprs: 0
; TotalNumVgprs: 128
; ScratchSize: 0
; MemoryBound: 0
; FloatMode: 240
; IeeeMode: 1
; LDSByteSize: 0 bytes/workgroup (compile time only)
; SGPRBlocks: 4
; VGPRBlocks: 15
; NumSGPRsForWavesPerEU: 36
; NumVGPRsForWavesPerEU: 128
; AccumOffset: 128
; Occupancy: 4
; WaveLimiterHint : 1
; COMPUTE_PGM_RSRC2:SCRATCH_EN: 0
; COMPUTE_PGM_RSRC2:USER_SGPR: 2
; COMPUTE_PGM_RSRC2:TRAP_HANDLER: 0
; COMPUTE_PGM_RSRC2:TGID_X_EN: 1
; COMPUTE_PGM_RSRC2:TGID_Y_EN: 1
; COMPUTE_PGM_RSRC2:TGID_Z_EN: 0
; COMPUTE_PGM_RSRC2:TIDIG_COMP_CNT: 1
; COMPUTE_PGM_RSRC3_GFX90A:ACCUM_OFFSET: 31
; COMPUTE_PGM_RSRC3_GFX90A:TG_SPLIT: 0
	.section	.text._ZL13mul_mat_vec_qIL9ggml_type18ELi1ELb1ELb1EEvPKvS2_PKi31ggml_cuda_mm_fusion_args_devicePfj15HIP_vector_typeIjLj3EEjjjS8_jjjS8_jjjj,"axG",@progbits,_ZL13mul_mat_vec_qIL9ggml_type18ELi1ELb1ELb1EEvPKvS2_PKi31ggml_cuda_mm_fusion_args_devicePfj15HIP_vector_typeIjLj3EEjjjS8_jjjS8_jjjj,comdat
	.globl	_ZL13mul_mat_vec_qIL9ggml_type18ELi1ELb1ELb1EEvPKvS2_PKi31ggml_cuda_mm_fusion_args_devicePfj15HIP_vector_typeIjLj3EEjjjS8_jjjS8_jjjj ; -- Begin function _ZL13mul_mat_vec_qIL9ggml_type18ELi1ELb1ELb1EEvPKvS2_PKi31ggml_cuda_mm_fusion_args_devicePfj15HIP_vector_typeIjLj3EEjjjS8_jjjS8_jjjj
	.p2align	8
	.type	_ZL13mul_mat_vec_qIL9ggml_type18ELi1ELb1ELb1EEvPKvS2_PKi31ggml_cuda_mm_fusion_args_devicePfj15HIP_vector_typeIjLj3EEjjjS8_jjjS8_jjjj,@function
_ZL13mul_mat_vec_qIL9ggml_type18ELi1ELb1ELb1EEvPKvS2_PKi31ggml_cuda_mm_fusion_args_devicePfj15HIP_vector_typeIjLj3EEjjjS8_jjjS8_jjjj: ; @_ZL13mul_mat_vec_qIL9ggml_type18ELi1ELb1ELb1EEvPKvS2_PKi31ggml_cuda_mm_fusion_args_devicePfj15HIP_vector_typeIjLj3EEjjjS8_jjjS8_jjjj
; %bb.0:
	s_load_dwordx8 s[16:23], s[2:3], 0x0
	s_load_dwordx4 s[36:39], s[2:3], 0x20
	s_load_dwordx4 s[40:43], s[2:3], 0x40
	;; [unrolled: 1-line block ×3, first 2 shown]
	s_mov_b32 s14, s5
	s_waitcnt lgkmcnt(0)
	s_cmp_lg_u64 s[20:21], 0
	s_cselect_b64 s[8:9], -1, 0
	s_cmp_eq_u64 s[20:21], 0
	s_mov_b64 s[10:11], 0
	s_cbranch_scc1 .LBB193_5
; %bb.1:
	s_mov_b32 s15, 0
	s_lshl_b64 s[12:13], s[14:15], 2
	s_add_u32 s12, s20, s12
	s_addc_u32 s13, s21, s13
	s_load_dword s44, s[12:13], 0x0
	s_load_dword s33, s[2:3], 0x50
	;; [unrolled: 1-line block ×3, first 2 shown]
	s_andn2_b64 vcc, exec, s[10:11]
	s_cbranch_vccnz .LBB193_3
.LBB193_2:
	s_load_dwordx2 s[10:11], s[2:3], 0x5c
	s_waitcnt lgkmcnt(0)
	s_mul_hi_u32 s5, s10, s14
	s_add_i32 s5, s14, s5
	s_lshr_b32 s44, s5, s11
.LBB193_3:
	s_andn2_b64 vcc, exec, s[8:9]
	s_cbranch_vccnz .LBB193_6
; %bb.4:
	s_mul_hi_u32 s5, s41, s14
	s_add_i32 s5, s14, s5
	s_lshr_b32 s5, s5, s42
	s_mul_i32 s5, s5, s43
	s_sub_i32 s41, s14, s5
	s_waitcnt lgkmcnt(0)
	s_mov_b32 s15, s44
	s_branch .LBB193_7
.LBB193_5:
                                        ; implicit-def: $sgpr44
	s_load_dword s33, s[2:3], 0x50
	s_load_dword s45, s[2:3], 0x78
	s_branch .LBB193_2
.LBB193_6:
	s_mov_b32 s15, s14
	s_mov_b32 s41, s14
.LBB193_7:
	s_load_dword s7, s[2:3], 0x58
	s_load_dwordx4 s[28:31], s[2:3], 0x80
	s_lshl_b32 s20, s4, 1
	s_cmp_eq_u64 s[22:23], 0
	v_and_b32_e32 v22, 0x3ff, v0
	v_bfe_u32 v27, v0, 10, 10
	s_cselect_b64 s[8:9], -1, 0
	s_and_b64 vcc, exec, s[8:9]
	v_mov_b32_e32 v23, 0
	v_cmp_gt_u32_e64 s[4:5], 2, v22
	v_cmp_eq_u32_e64 s[10:11], 0, v27
	v_or_b32_e32 v1, s20, v22
	v_mov_b32_e32 v24, 0
	s_cbranch_vccnz .LBB193_11
; %bb.8:
	s_waitcnt lgkmcnt(0)
	v_cmp_gt_u32_e32 vcc, s7, v1
	s_and_b64 s[4:5], s[4:5], vcc
	s_mov_b32 s13, 0
	s_and_b64 s[10:11], s[4:5], s[10:11]
	v_mov_b32_e32 v24, 0
	s_and_saveexec_b64 s[4:5], s[10:11]
	s_cbranch_execz .LBB193_10
; %bb.9:
	s_mul_i32 s12, s6, s30
	s_lshl_b64 s[10:11], s[12:13], 2
	s_add_u32 s21, s22, s10
	s_mul_i32 s12, s15, s26
	s_addc_u32 s22, s23, s11
	s_lshl_b64 s[10:11], s[12:13], 2
	s_add_u32 s12, s21, s10
	s_addc_u32 s13, s22, s11
	s_ashr_i32 s21, s20, 31
	s_lshl_b64 s[10:11], s[20:21], 2
	s_add_u32 s10, s12, s10
	s_addc_u32 s11, s13, s11
	v_lshlrev_b32_e32 v2, 2, v22
	global_load_dword v24, v2, s[10:11]
.LBB193_10:
	s_or_b64 exec, exec, s[4:5]
.LBB193_11:
	s_cmp_lg_u64 s[36:37], 0
	s_cselect_b64 s[34:35], -1, 0
	s_cmp_eq_u64 s[36:37], 0
	s_cselect_b64 s[22:23], -1, 0
	s_cmp_lg_u64 s[38:39], 0
	s_cselect_b64 s[4:5], -1, 0
	s_and_b64 s[10:11], s[4:5], s[34:35]
	s_andn2_b64 vcc, exec, s[10:11]
	s_cbranch_vccnz .LBB193_15
; %bb.12:
	v_cmp_gt_u32_e32 vcc, 2, v22
	s_waitcnt lgkmcnt(0)
	v_cmp_gt_u32_e64 s[12:13], s7, v1
	v_cmp_eq_u32_e64 s[10:11], 0, v27
	s_and_b64 s[12:13], vcc, s[12:13]
	s_mov_b32 s43, 0
	s_and_b64 s[12:13], s[12:13], s[10:11]
	v_mov_b32_e32 v23, 0
	s_and_saveexec_b64 s[10:11], s[12:13]
	s_cbranch_execz .LBB193_14
; %bb.13:
	s_mul_i32 s42, s6, s30
	s_lshl_b64 s[12:13], s[42:43], 2
	s_add_u32 s21, s38, s12
	s_mul_i32 s42, s15, s26
	s_addc_u32 s31, s39, s13
	s_lshl_b64 s[12:13], s[42:43], 2
	s_add_u32 s15, s21, s12
	s_addc_u32 s31, s31, s13
	s_ashr_i32 s21, s20, 31
	s_lshl_b64 s[12:13], s[20:21], 2
	s_add_u32 s12, s15, s12
	s_addc_u32 s13, s31, s13
	v_lshlrev_b32_e32 v1, 2, v22
	global_load_dword v23, v1, s[12:13]
.LBB193_14:
	s_or_b64 exec, exec, s[10:11]
.LBB193_15:
	s_load_dwordx2 s[0:1], s[0:1], 0x4
	v_bfe_u32 v1, v0, 20, 10
	v_lshl_add_u32 v0, v27, 6, v22
	s_lshr_b32 s15, s40, 8
	v_lshrrev_b32_e32 v28, 3, v0
	s_waitcnt lgkmcnt(0)
	s_lshr_b32 s0, s0, 16
	v_mul_u32_u24_e32 v2, s1, v27
	s_mul_i32 s0, s0, s1
	v_mad_u32_u24 v2, s0, v22, v2
	v_add_lshl_u32 v1, v2, v1, 3
	v_add_u32_e32 v26, 0x800, v1
	v_add_u32_e32 v25, 0x400, v1
	v_cndmask_b32_e64 v1, 0, 1, s[34:35]
	v_mov_b32_e32 v32, 0
	v_cmp_gt_u32_e32 vcc, s15, v28
	v_cmp_ne_u32_e64 s[10:11], 1, v1
	v_mov_b32_e32 v29, 0
	v_mov_b32_e32 v31, 0
	v_mov_b32_e32 v30, 0
	ds_write2_b32 v26, v32, v32 offset1:1
	ds_write2_b32 v25, v32, v32 offset1:1
	s_and_saveexec_b64 s[0:1], vcc
	s_cbranch_execz .LBB193_23
; %bb.16:
	s_mul_hi_u32 s13, s27, s6
	s_add_i32 s13, s6, s13
	s_lshr_b32 s13, s13, s45
	s_mul_i32 s21, s44, s24
	s_mul_i32 s13, s13, s28
	;; [unrolled: 1-line block ×3, first 2 shown]
	s_add_i32 s27, s13, s21
	s_add_i32 s13, s20, 1
	v_lshlrev_b32_e32 v1, 1, v22
	s_mul_i32 s24, s20, s33
	s_mul_i32 s33, s33, s13
	s_mul_hi_u32 s13, s12, 36
	s_mul_i32 s12, s12, 36
	v_and_b32_e32 v2, 14, v1
	v_lshrrev_b32_e32 v5, 3, v0
	v_mov_b32_e32 v0, s12
	v_mov_b32_e32 v1, s13
	s_movk_i32 s12, 0x120
	s_mul_i32 s29, s6, s29
	v_mad_u64_u32 v[0:1], s[12:13], v5, s12, v[0:1]
	v_and_b32_e32 v3, 7, v22
	v_mad_u64_u32 v[0:1], s[12:13], s29, 36, v[0:1]
	v_lshlrev_b32_e32 v4, 1, v2
	v_mad_u64_u32 v[0:1], s[12:13], v3, 36, v[0:1]
	v_mov_b32_e32 v9, 0
	v_lshl_add_u64 v[0:1], v[0:1], 0, s[18:19]
	v_lshlrev_b32_e32 v14, 1, v4
	s_add_i32 s21, s27, s24
	s_add_i32 s27, s27, s33
	v_lshl_add_u64 v[10:11], v[0:1], 0, 16
	s_mov_b64 s[12:13], 0
	s_movk_i32 s28, 0x62
	v_mov_b64_e32 v[12:13], s[16:17]
	v_lshlrev_b32_e32 v8, 1, v2
	s_mov_b32 s29, 0xffff
	s_mov_b32 s31, 0x1010101
	s_movk_i32 s33, 0xff00
	s_mov_b64 s[18:19], 0x1200
	v_mov_b32_e32 v16, v14
	v_mov_b32_e32 v17, v9
	;; [unrolled: 1-line block ×8, first 2 shown]
	s_branch .LBB193_18
.LBB193_17:                             ;   in Loop: Header=BB193_18 Depth=1
	s_waitcnt vmcnt(9)
	v_and_b32_e32 v19, 0xff, v46
	v_bcnt_u32_b32 v20, v19, 0
	v_and_b32_e32 v20, 1, v20
	v_lshlrev_b32_e32 v20, 7, v20
	v_xor_b32_e32 v19, v20, v19
	v_mul_lo_u32 v19, v19, s31
	v_and_b32_e32 v20, 0x8000000, v19
	v_lshrrev_b32_e32 v56, 8, v19
	v_lshrrev_b16_e32 v57, 1, v56
	v_cmp_ne_u16_sdwa s[24:25], v20, v9 src0_sel:BYTE_3 src1_sel:DWORD
	v_and_b32_e32 v21, 1, v46
	v_bfe_i32 v57, v57, 0, 1
	v_lshrrev_b32_e32 v58, 18, v19
	v_cndmask_b32_e64 v20, 0, -1, s[24:25]
	v_sub_u16_e32 v21, 0, v21
	v_bfe_i32 v58, v58, 0, 1
	v_lshlrev_b16_e32 v20, 8, v20
	v_lshlrev_b16_e32 v57, 8, v57
	v_or_b32_sdwa v59, v58, v20 dst_sel:WORD_1 dst_unused:UNUSED_PAD src0_sel:BYTE_0 src1_sel:DWORD
	v_or_b32_sdwa v60, v21, v57 dst_sel:DWORD dst_unused:UNUSED_PAD src0_sel:BYTE_0 src1_sel:DWORD
	v_or_b32_sdwa v59, v60, v59 dst_sel:DWORD dst_unused:UNUSED_PAD src0_sel:WORD_0 src1_sel:DWORD
	s_waitcnt vmcnt(8)
	v_xor_b32_e32 v55, v55, v59
	v_and_b32_e32 v59, 0xffffff00, v55
	v_sub_i16 v57, v59, v57 clamp
	v_lshlrev_b16_e32 v59, 8, v55
	v_lshlrev_b16_e32 v21, 8, v21
	v_and_b32_e32 v57, 0xffffff00, v57
	v_sub_i16 v21, v59, v21 clamp
	v_or_b32_sdwa v21, v21, v57 dst_sel:DWORD dst_unused:UNUSED_PAD src0_sel:BYTE_1 src1_sel:DWORD
	v_and_b32_sdwa v57, v55, s33 dst_sel:DWORD dst_unused:UNUSED_PAD src0_sel:WORD_1 src1_sel:DWORD
	v_sub_i16 v20, v57, v20 clamp
	v_lshlrev_b16_sdwa v55, v34, v55 dst_sel:DWORD dst_unused:UNUSED_PAD src0_sel:DWORD src1_sel:WORD_1
	v_lshlrev_b16_e32 v57, 8, v58
	v_and_b32_e32 v20, 0xffffff00, v20
	v_sub_i16 v55, v55, v57 clamp
	v_or_b32_sdwa v20, v55, v20 dst_sel:WORD_1 dst_unused:UNUSED_PAD src0_sel:BYTE_1 src1_sel:DWORD
	v_lshrrev_b16_e32 v56, 5, v56
	v_or_b32_sdwa v20, v21, v20 dst_sel:DWORD dst_unused:UNUSED_PAD src0_sel:WORD_0 src1_sel:DWORD
	v_and_b32_e32 v21, 0x80000000, v19
	v_cmp_ne_u16_sdwa s[24:25], v21, v9 src0_sel:BYTE_3 src1_sel:DWORD
	v_bfe_i32 v56, v56, 0, 1
	v_lshrrev_b32_e32 v19, 22, v19
	v_cndmask_b32_e64 v21, 0, -1, s[24:25]
	v_bfe_i32 v55, v46, 4, 1
	v_bfe_i32 v19, v19, 0, 1
	v_lshlrev_b16_e32 v21, 8, v21
	v_lshlrev_b16_e32 v56, 8, v56
	v_or_b32_sdwa v57, v19, v21 dst_sel:WORD_1 dst_unused:UNUSED_PAD src0_sel:BYTE_0 src1_sel:DWORD
	v_or_b32_sdwa v58, v55, v56 dst_sel:DWORD dst_unused:UNUSED_PAD src0_sel:BYTE_0 src1_sel:DWORD
	v_or_b32_sdwa v57, v58, v57 dst_sel:DWORD dst_unused:UNUSED_PAD src0_sel:WORD_0 src1_sel:DWORD
	s_waitcnt vmcnt(7)
	v_xor_b32_e32 v54, v54, v57
	v_and_b32_e32 v57, 0xffffff00, v54
	v_sub_i16 v56, v57, v56 clamp
	v_lshlrev_b16_e32 v57, 8, v54
	v_lshlrev_b16_e32 v55, 8, v55
	v_and_b32_e32 v56, 0xffffff00, v56
	v_sub_i16 v55, v57, v55 clamp
	v_or_b32_sdwa v55, v55, v56 dst_sel:DWORD dst_unused:UNUSED_PAD src0_sel:BYTE_1 src1_sel:DWORD
	v_and_b32_sdwa v56, v54, s33 dst_sel:DWORD dst_unused:UNUSED_PAD src0_sel:WORD_1 src1_sel:DWORD
	v_sub_i16 v21, v56, v21 clamp
	v_lshlrev_b16_sdwa v54, v34, v54 dst_sel:DWORD dst_unused:UNUSED_PAD src0_sel:DWORD src1_sel:WORD_1
	v_lshlrev_b16_e32 v19, 8, v19
	v_and_b32_e32 v21, 0xffffff00, v21
	v_sub_i16 v19, v54, v19 clamp
	v_or_b32_sdwa v19, v19, v21 dst_sel:WORD_1 dst_unused:UNUSED_PAD src0_sel:BYTE_1 src1_sel:DWORD
	v_mov_b32_e32 v21, v9
	v_or_b32_sdwa v19, v55, v19 dst_sel:DWORD dst_unused:UNUSED_PAD src0_sel:WORD_0 src1_sel:DWORD
	v_dot4c_i32_i8_e32 v21, v20, v5
	v_dot4c_i32_i8_e32 v21, v19, v6
	v_bfe_u32 v19, v46, 7, 8
	v_bcnt_u32_b32 v20, v19, 0
	v_and_b32_e32 v20, 1, v20
	v_lshlrev_b32_e32 v20, 7, v20
	v_xor_b32_e32 v19, v20, v19
	v_mul_lo_u32 v19, v19, s31
	v_and_b32_e32 v20, 0x8000000, v19
	v_lshrrev_b32_e32 v55, 8, v19
	v_lshrrev_b16_e32 v56, 1, v55
	v_cmp_ne_u16_sdwa s[24:25], v20, v9 src0_sel:BYTE_3 src1_sel:DWORD
	v_bfe_i32 v56, v56, 0, 1
	v_lshrrev_b32_e32 v57, 18, v19
	v_cndmask_b32_e64 v20, 0, -1, s[24:25]
	v_bfe_i32 v54, v46, 7, 1
	v_bfe_i32 v57, v57, 0, 1
	v_lshlrev_b16_e32 v56, 8, v56
	v_lshlrev_b16_e32 v20, 8, v20
	v_or_b32_sdwa v58, v54, v56 dst_sel:DWORD dst_unused:UNUSED_PAD src0_sel:BYTE_0 src1_sel:DWORD
	v_or_b32_sdwa v59, v57, v20 dst_sel:WORD_1 dst_unused:UNUSED_PAD src0_sel:BYTE_0 src1_sel:DWORD
	v_lshlrev_b16_e32 v54, 8, v54
	v_or_b32_sdwa v58, v58, v59 dst_sel:DWORD dst_unused:UNUSED_PAD src0_sel:WORD_0 src1_sel:DWORD
	s_waitcnt vmcnt(6)
	v_xor_b32_e32 v53, v53, v58
	v_and_b32_e32 v58, 0xffffff00, v53
	v_sub_i16 v56, v58, v56 clamp
	v_lshlrev_b16_e32 v58, 8, v53
	v_and_b32_e32 v56, 0xffffff00, v56
	v_sub_i16 v54, v58, v54 clamp
	v_or_b32_sdwa v54, v54, v56 dst_sel:DWORD dst_unused:UNUSED_PAD src0_sel:BYTE_1 src1_sel:DWORD
	v_and_b32_sdwa v56, v53, s33 dst_sel:DWORD dst_unused:UNUSED_PAD src0_sel:WORD_1 src1_sel:DWORD
	v_sub_i16 v20, v56, v20 clamp
	v_lshlrev_b16_sdwa v53, v34, v53 dst_sel:DWORD dst_unused:UNUSED_PAD src0_sel:DWORD src1_sel:WORD_1
	v_lshlrev_b16_e32 v56, 8, v57
	v_and_b32_e32 v20, 0xffffff00, v20
	v_sub_i16 v53, v53, v56 clamp
	v_or_b32_sdwa v20, v53, v20 dst_sel:WORD_1 dst_unused:UNUSED_PAD src0_sel:BYTE_1 src1_sel:DWORD
	v_and_b32_e32 v53, 0x80000000, v19
	v_lshrrev_b16_e32 v55, 5, v55
	v_cmp_ne_u16_sdwa s[24:25], v53, v9 src0_sel:BYTE_3 src1_sel:DWORD
	v_bfe_i32 v55, v55, 0, 1
	v_lshrrev_b32_e32 v19, 22, v19
	v_cndmask_b32_e64 v53, 0, -1, s[24:25]
	v_or_b32_sdwa v20, v54, v20 dst_sel:DWORD dst_unused:UNUSED_PAD src0_sel:WORD_0 src1_sel:DWORD
	v_bfe_i32 v54, v46, 11, 1
	v_bfe_i32 v19, v19, 0, 1
	v_lshlrev_b16_e32 v55, 8, v55
	v_lshlrev_b16_e32 v53, 8, v53
	v_or_b32_sdwa v56, v54, v55 dst_sel:DWORD dst_unused:UNUSED_PAD src0_sel:BYTE_0 src1_sel:DWORD
	v_or_b32_sdwa v57, v19, v53 dst_sel:WORD_1 dst_unused:UNUSED_PAD src0_sel:BYTE_0 src1_sel:DWORD
	v_lshlrev_b16_e32 v54, 8, v54
	v_or_b32_sdwa v56, v56, v57 dst_sel:DWORD dst_unused:UNUSED_PAD src0_sel:WORD_0 src1_sel:DWORD
	s_waitcnt vmcnt(5)
	v_xor_b32_e32 v52, v52, v56
	v_and_b32_e32 v56, 0xffffff00, v52
	v_sub_i16 v55, v56, v55 clamp
	v_lshlrev_b16_e32 v56, 8, v52
	v_and_b32_e32 v55, 0xffffff00, v55
	v_sub_i16 v54, v56, v54 clamp
	v_or_b32_sdwa v54, v54, v55 dst_sel:DWORD dst_unused:UNUSED_PAD src0_sel:BYTE_1 src1_sel:DWORD
	v_and_b32_sdwa v55, v52, s33 dst_sel:DWORD dst_unused:UNUSED_PAD src0_sel:WORD_1 src1_sel:DWORD
	v_sub_i16 v53, v55, v53 clamp
	v_lshlrev_b16_sdwa v52, v34, v52 dst_sel:DWORD dst_unused:UNUSED_PAD src0_sel:DWORD src1_sel:WORD_1
	v_lshlrev_b16_e32 v19, 8, v19
	v_and_b32_e32 v18, 0xffff0000, v46
	v_and_b32_e32 v53, 0xffffff00, v53
	v_sub_i16 v19, v52, v19 clamp
	v_and_or_b32 v18, v46, s29, v18
	v_or_b32_sdwa v19, v19, v53 dst_sel:WORD_1 dst_unused:UNUSED_PAD src0_sel:BYTE_1 src1_sel:DWORD
	v_dot4c_i32_i8_e32 v21, v20, v7
	v_or_b32_sdwa v19, v54, v19 dst_sel:DWORD dst_unused:UNUSED_PAD src0_sel:WORD_0 src1_sel:DWORD
	v_bfe_u32 v18, v18, 14, 8
	v_dot4c_i32_i8_e32 v21, v19, v0
	v_bcnt_u32_b32 v19, v18, 0
	v_and_b32_e32 v19, 1, v19
	v_lshlrev_b32_e32 v19, 7, v19
	v_xor_b32_e32 v18, v19, v18
	v_mul_lo_u32 v18, v18, s31
	v_and_b32_e32 v19, 0x8000000, v18
	v_lshrrev_b32_e32 v52, 8, v18
	v_lshrrev_b16_e32 v53, 1, v52
	v_cmp_ne_u16_sdwa s[24:25], v19, v9 src0_sel:BYTE_3 src1_sel:DWORD
	v_bfe_i32 v53, v53, 0, 1
	v_lshrrev_b32_e32 v54, 18, v18
	v_cndmask_b32_e64 v19, 0, -1, s[24:25]
	v_bfe_i32 v20, v46, 14, 1
	v_bfe_i32 v54, v54, 0, 1
	v_lshlrev_b16_e32 v19, 8, v19
	v_lshlrev_b16_e32 v53, 8, v53
	v_or_b32_sdwa v55, v54, v19 dst_sel:WORD_1 dst_unused:UNUSED_PAD src0_sel:BYTE_0 src1_sel:DWORD
	v_or_b32_sdwa v56, v20, v53 dst_sel:DWORD dst_unused:UNUSED_PAD src0_sel:BYTE_0 src1_sel:DWORD
	v_or_b32_sdwa v55, v56, v55 dst_sel:DWORD dst_unused:UNUSED_PAD src0_sel:WORD_0 src1_sel:DWORD
	s_waitcnt vmcnt(4)
	v_xor_b32_e32 v51, v51, v55
	v_and_b32_e32 v55, 0xffffff00, v51
	v_sub_i16 v53, v55, v53 clamp
	v_lshlrev_b16_e32 v55, 8, v51
	v_lshlrev_b16_e32 v20, 8, v20
	v_and_b32_e32 v53, 0xffffff00, v53
	v_sub_i16 v20, v55, v20 clamp
	v_or_b32_sdwa v20, v20, v53 dst_sel:DWORD dst_unused:UNUSED_PAD src0_sel:BYTE_1 src1_sel:DWORD
	v_and_b32_sdwa v53, v51, s33 dst_sel:DWORD dst_unused:UNUSED_PAD src0_sel:WORD_1 src1_sel:DWORD
	v_sub_i16 v19, v53, v19 clamp
	v_lshlrev_b16_sdwa v51, v34, v51 dst_sel:DWORD dst_unused:UNUSED_PAD src0_sel:DWORD src1_sel:WORD_1
	v_lshlrev_b16_e32 v53, 8, v54
	v_and_b32_e32 v19, 0xffffff00, v19
	v_sub_i16 v51, v51, v53 clamp
	v_or_b32_sdwa v19, v51, v19 dst_sel:WORD_1 dst_unused:UNUSED_PAD src0_sel:BYTE_1 src1_sel:DWORD
	v_lshrrev_b16_e32 v52, 5, v52
	v_or_b32_sdwa v19, v20, v19 dst_sel:DWORD dst_unused:UNUSED_PAD src0_sel:WORD_0 src1_sel:DWORD
	v_and_b32_e32 v20, 0x80000000, v18
	v_cmp_ne_u16_sdwa s[24:25], v20, v9 src0_sel:BYTE_3 src1_sel:DWORD
	v_lshrrev_b32_e32 v15, 16, v46
	v_bfe_i32 v52, v52, 0, 1
	v_lshrrev_b32_e32 v18, 22, v18
	v_cndmask_b32_e64 v20, 0, -1, s[24:25]
	v_bfe_i32 v51, v15, 2, 1
	v_bfe_i32 v18, v18, 0, 1
	v_lshlrev_b16_e32 v20, 8, v20
	v_lshlrev_b16_e32 v52, 8, v52
	v_or_b32_sdwa v53, v18, v20 dst_sel:WORD_1 dst_unused:UNUSED_PAD src0_sel:BYTE_0 src1_sel:DWORD
	v_or_b32_sdwa v54, v51, v52 dst_sel:DWORD dst_unused:UNUSED_PAD src0_sel:BYTE_0 src1_sel:DWORD
	v_or_b32_sdwa v53, v54, v53 dst_sel:DWORD dst_unused:UNUSED_PAD src0_sel:WORD_0 src1_sel:DWORD
	s_waitcnt vmcnt(3)
	v_xor_b32_e32 v50, v50, v53
	v_and_b32_e32 v53, 0xffffff00, v50
	v_sub_i16 v52, v53, v52 clamp
	v_lshlrev_b16_e32 v53, 8, v50
	v_lshlrev_b16_e32 v51, 8, v51
	v_and_b32_e32 v52, 0xffffff00, v52
	v_sub_i16 v51, v53, v51 clamp
	v_or_b32_sdwa v51, v51, v52 dst_sel:DWORD dst_unused:UNUSED_PAD src0_sel:BYTE_1 src1_sel:DWORD
	v_and_b32_sdwa v52, v50, s33 dst_sel:DWORD dst_unused:UNUSED_PAD src0_sel:WORD_1 src1_sel:DWORD
	v_sub_i16 v20, v52, v20 clamp
	v_lshlrev_b16_sdwa v50, v34, v50 dst_sel:DWORD dst_unused:UNUSED_PAD src0_sel:DWORD src1_sel:WORD_1
	v_lshlrev_b16_e32 v18, 8, v18
	v_and_b32_e32 v20, 0xffffff00, v20
	v_sub_i16 v18, v50, v18 clamp
	v_or_b32_sdwa v18, v18, v20 dst_sel:WORD_1 dst_unused:UNUSED_PAD src0_sel:BYTE_1 src1_sel:DWORD
	v_dot4c_i32_i8_e32 v21, v19, v1
	v_or_b32_sdwa v18, v51, v18 dst_sel:DWORD dst_unused:UNUSED_PAD src0_sel:WORD_0 src1_sel:DWORD
	v_dot4c_i32_i8_e32 v21, v18, v2
	v_bfe_u32 v18, v46, 21, 8
	v_bcnt_u32_b32 v19, v18, 0
	v_and_b32_e32 v19, 1, v19
	v_lshlrev_b32_e32 v19, 7, v19
	v_xor_b32_e32 v18, v19, v18
	v_mul_lo_u32 v18, v18, s31
	v_and_b32_e32 v19, 0x8000000, v18
	v_lshrrev_b32_e32 v50, 8, v18
	v_lshrrev_b16_e32 v51, 1, v50
	v_cmp_ne_u16_sdwa s[24:25], v19, v9 src0_sel:BYTE_3 src1_sel:DWORD
	v_bfe_i32 v51, v51, 0, 1
	v_lshrrev_b32_e32 v52, 18, v18
	v_cndmask_b32_e64 v19, 0, -1, s[24:25]
	v_bfe_i32 v20, v15, 5, 1
	v_bfe_i32 v52, v52, 0, 1
	v_lshlrev_b16_e32 v51, 8, v51
	v_lshlrev_b16_e32 v19, 8, v19
	v_or_b32_sdwa v53, v20, v51 dst_sel:DWORD dst_unused:UNUSED_PAD src0_sel:BYTE_0 src1_sel:DWORD
	v_or_b32_sdwa v54, v52, v19 dst_sel:WORD_1 dst_unused:UNUSED_PAD src0_sel:BYTE_0 src1_sel:DWORD
	v_lshlrev_b16_e32 v20, 8, v20
	v_or_b32_sdwa v53, v53, v54 dst_sel:DWORD dst_unused:UNUSED_PAD src0_sel:WORD_0 src1_sel:DWORD
	s_waitcnt vmcnt(2)
	v_xor_b32_e32 v49, v49, v53
	v_and_b32_e32 v53, 0xffffff00, v49
	v_sub_i16 v51, v53, v51 clamp
	v_lshlrev_b16_e32 v53, 8, v49
	v_and_b32_e32 v51, 0xffffff00, v51
	v_sub_i16 v20, v53, v20 clamp
	v_or_b32_sdwa v20, v20, v51 dst_sel:DWORD dst_unused:UNUSED_PAD src0_sel:BYTE_1 src1_sel:DWORD
	v_and_b32_sdwa v51, v49, s33 dst_sel:DWORD dst_unused:UNUSED_PAD src0_sel:WORD_1 src1_sel:DWORD
	v_sub_i16 v19, v51, v19 clamp
	v_lshlrev_b16_sdwa v49, v34, v49 dst_sel:DWORD dst_unused:UNUSED_PAD src0_sel:DWORD src1_sel:WORD_1
	v_lshlrev_b16_e32 v51, 8, v52
	v_and_b32_e32 v19, 0xffffff00, v19
	v_sub_i16 v49, v49, v51 clamp
	v_or_b32_sdwa v19, v49, v19 dst_sel:WORD_1 dst_unused:UNUSED_PAD src0_sel:BYTE_1 src1_sel:DWORD
	v_lshrrev_b16_e32 v49, 5, v50
	v_or_b32_sdwa v19, v20, v19 dst_sel:DWORD dst_unused:UNUSED_PAD src0_sel:WORD_0 src1_sel:DWORD
	v_and_b32_e32 v20, 0x80000000, v18
	v_cmp_ne_u16_sdwa s[24:25], v20, v9 src0_sel:BYTE_3 src1_sel:DWORD
	v_bfe_i32 v49, v49, 0, 1
	v_lshrrev_b32_e32 v18, 22, v18
	v_cndmask_b32_e64 v20, 0, -1, s[24:25]
	v_bfe_i32 v15, v15, 9, 1
	v_bfe_i32 v18, v18, 0, 1
	v_lshlrev_b16_e32 v49, 8, v49
	v_lshlrev_b16_e32 v20, 8, v20
	v_or_b32_sdwa v50, v15, v49 dst_sel:DWORD dst_unused:UNUSED_PAD src0_sel:BYTE_0 src1_sel:DWORD
	v_or_b32_sdwa v51, v18, v20 dst_sel:WORD_1 dst_unused:UNUSED_PAD src0_sel:BYTE_0 src1_sel:DWORD
	v_lshlrev_b16_e32 v15, 8, v15
	v_or_b32_sdwa v50, v50, v51 dst_sel:DWORD dst_unused:UNUSED_PAD src0_sel:WORD_0 src1_sel:DWORD
	s_waitcnt vmcnt(1)
	v_xor_b32_e32 v48, v48, v50
	v_and_b32_e32 v50, 0xffffff00, v48
	v_sub_i16 v49, v50, v49 clamp
	v_lshlrev_b16_e32 v50, 8, v48
	v_and_b32_e32 v49, 0xffffff00, v49
	v_sub_i16 v15, v50, v15 clamp
	v_or_b32_sdwa v15, v15, v49 dst_sel:DWORD dst_unused:UNUSED_PAD src0_sel:BYTE_1 src1_sel:DWORD
	v_and_b32_sdwa v49, v48, s33 dst_sel:DWORD dst_unused:UNUSED_PAD src0_sel:WORD_1 src1_sel:DWORD
	v_sub_i16 v20, v49, v20 clamp
	v_lshlrev_b16_sdwa v48, v34, v48 dst_sel:DWORD dst_unused:UNUSED_PAD src0_sel:DWORD src1_sel:WORD_1
	v_lshlrev_b16_e32 v18, 8, v18
	v_and_b32_e32 v20, 0xffffff00, v20
	v_sub_i16 v18, v48, v18 clamp
	v_or_b32_sdwa v18, v18, v20 dst_sel:WORD_1 dst_unused:UNUSED_PAD src0_sel:BYTE_1 src1_sel:DWORD
	v_dot4c_i32_i8_e32 v21, v19, v3
	v_or_b32_sdwa v15, v15, v18 dst_sel:DWORD dst_unused:UNUSED_PAD src0_sel:WORD_0 src1_sel:DWORD
	v_dot4c_i32_i8_e32 v21, v15, v35
	v_lshrrev_b32_e32 v15, 28, v46
	v_and_b32_e32 v20, 0xffff0000, v36
	v_and_or_b32 v20, v36, s29, v20
	v_lshrrev_b32_e32 v18, 31, v21
	v_add_u32_e32 v18, v21, v18
	v_ashrrev_i32_e32 v18, 1, v18
	v_mad_u64_u32 v[18:19], s[24:25], v21, v15, v[18:19]
	v_and_b32_e32 v21, 0xff, v36
	v_bcnt_u32_b32 v46, v21, 0
	v_and_b32_e32 v46, 1, v46
	v_lshlrev_b32_e32 v46, 7, v46
	v_xor_b32_e32 v21, v46, v21
	v_mul_lo_u32 v21, v21, s31
	v_and_b32_e32 v46, 0x8000000, v21
	v_lshrrev_b32_e32 v48, 8, v21
	v_lshrrev_b32_e32 v15, 31, v18
	v_lshrrev_b16_e32 v49, 1, v48
	v_cmp_ne_u16_sdwa s[24:25], v46, v9 src0_sel:BYTE_3 src1_sel:DWORD
	v_add_u32_e32 v15, v18, v15
	s_waitcnt vmcnt(0)
	v_cvt_f32_f16_e32 v18, v47
	v_and_b32_e32 v47, 1, v36
	v_bfe_i32 v49, v49, 0, 1
	v_lshrrev_b32_e32 v50, 18, v21
	v_cndmask_b32_e64 v46, 0, -1, s[24:25]
	v_sub_u16_e32 v47, 0, v47
	v_bfe_i32 v50, v50, 0, 1
	v_lshlrev_b16_e32 v46, 8, v46
	v_lshlrev_b16_e32 v49, 8, v49
	v_or_b32_sdwa v51, v50, v46 dst_sel:WORD_1 dst_unused:UNUSED_PAD src0_sel:BYTE_0 src1_sel:DWORD
	v_or_b32_sdwa v52, v47, v49 dst_sel:DWORD dst_unused:UNUSED_PAD src0_sel:BYTE_0 src1_sel:DWORD
	v_or_b32_sdwa v51, v52, v51 dst_sel:DWORD dst_unused:UNUSED_PAD src0_sel:WORD_0 src1_sel:DWORD
	v_xor_b32_e32 v45, v45, v51
	v_and_b32_e32 v51, 0xffffff00, v45
	v_sub_i16 v49, v51, v49 clamp
	v_lshlrev_b16_e32 v51, 8, v45
	v_lshlrev_b16_e32 v47, 8, v47
	v_and_b32_e32 v49, 0xffffff00, v49
	v_sub_i16 v47, v51, v47 clamp
	v_or_b32_sdwa v47, v47, v49 dst_sel:DWORD dst_unused:UNUSED_PAD src0_sel:BYTE_1 src1_sel:DWORD
	v_and_b32_sdwa v49, v45, s33 dst_sel:DWORD dst_unused:UNUSED_PAD src0_sel:WORD_1 src1_sel:DWORD
	v_sub_i16 v46, v49, v46 clamp
	v_lshlrev_b16_sdwa v45, v34, v45 dst_sel:DWORD dst_unused:UNUSED_PAD src0_sel:DWORD src1_sel:WORD_1
	v_lshlrev_b16_e32 v49, 8, v50
	v_and_b32_e32 v46, 0xffffff00, v46
	v_sub_i16 v45, v45, v49 clamp
	v_or_b32_sdwa v45, v45, v46 dst_sel:WORD_1 dst_unused:UNUSED_PAD src0_sel:BYTE_1 src1_sel:DWORD
	v_and_b32_e32 v46, 0x80000000, v21
	v_lshrrev_b16_e32 v48, 5, v48
	v_cmp_ne_u16_sdwa s[24:25], v46, v9 src0_sel:BYTE_3 src1_sel:DWORD
	v_bfe_i32 v48, v48, 0, 1
	v_lshrrev_b32_e32 v21, 22, v21
	v_cndmask_b32_e64 v46, 0, -1, s[24:25]
	v_or_b32_sdwa v45, v47, v45 dst_sel:DWORD dst_unused:UNUSED_PAD src0_sel:WORD_0 src1_sel:DWORD
	v_bfe_i32 v47, v36, 4, 1
	v_bfe_i32 v21, v21, 0, 1
	v_lshlrev_b16_e32 v46, 8, v46
	v_lshlrev_b16_e32 v48, 8, v48
	v_or_b32_sdwa v49, v21, v46 dst_sel:WORD_1 dst_unused:UNUSED_PAD src0_sel:BYTE_0 src1_sel:DWORD
	v_or_b32_sdwa v50, v47, v48 dst_sel:DWORD dst_unused:UNUSED_PAD src0_sel:BYTE_0 src1_sel:DWORD
	v_or_b32_sdwa v49, v50, v49 dst_sel:DWORD dst_unused:UNUSED_PAD src0_sel:WORD_0 src1_sel:DWORD
	v_xor_b32_e32 v44, v44, v49
	v_and_b32_e32 v49, 0xffffff00, v44
	v_sub_i16 v48, v49, v48 clamp
	v_lshlrev_b16_e32 v49, 8, v44
	v_lshlrev_b16_e32 v47, 8, v47
	v_and_b32_e32 v48, 0xffffff00, v48
	v_sub_i16 v47, v49, v47 clamp
	v_or_b32_sdwa v47, v47, v48 dst_sel:DWORD dst_unused:UNUSED_PAD src0_sel:BYTE_1 src1_sel:DWORD
	v_and_b32_sdwa v48, v44, s33 dst_sel:DWORD dst_unused:UNUSED_PAD src0_sel:WORD_1 src1_sel:DWORD
	v_sub_i16 v46, v48, v46 clamp
	v_lshlrev_b16_sdwa v44, v34, v44 dst_sel:DWORD dst_unused:UNUSED_PAD src0_sel:DWORD src1_sel:WORD_1
	v_lshlrev_b16_e32 v21, 8, v21
	v_and_b32_e32 v46, 0xffffff00, v46
	v_sub_i16 v21, v44, v21 clamp
	v_or_b32_sdwa v21, v21, v46 dst_sel:WORD_1 dst_unused:UNUSED_PAD src0_sel:BYTE_1 src1_sel:DWORD
	v_mov_b32_e32 v44, v9
	v_or_b32_sdwa v21, v47, v21 dst_sel:DWORD dst_unused:UNUSED_PAD src0_sel:WORD_0 src1_sel:DWORD
	v_dot4c_i32_i8_e32 v44, v45, v5
	v_bfe_u32 v5, v36, 7, 8
	v_dot4c_i32_i8_e32 v44, v21, v6
	v_bcnt_u32_b32 v6, v5, 0
	v_and_b32_e32 v6, 1, v6
	v_lshlrev_b32_e32 v6, 7, v6
	v_xor_b32_e32 v5, v6, v5
	v_mul_lo_u32 v5, v5, s31
	v_and_b32_e32 v6, 0x8000000, v5
	v_lshrrev_b32_e32 v45, 8, v5
	v_lshrrev_b16_e32 v46, 1, v45
	v_cmp_ne_u16_sdwa s[24:25], v6, v9 src0_sel:BYTE_3 src1_sel:DWORD
	v_bfe_i32 v46, v46, 0, 1
	v_lshrrev_b32_e32 v47, 18, v5
	v_cndmask_b32_e64 v6, 0, -1, s[24:25]
	v_bfe_i32 v21, v36, 7, 1
	v_bfe_i32 v47, v47, 0, 1
	v_lshlrev_b16_e32 v46, 8, v46
	v_lshlrev_b16_e32 v6, 8, v6
	v_or_b32_sdwa v48, v21, v46 dst_sel:DWORD dst_unused:UNUSED_PAD src0_sel:BYTE_0 src1_sel:DWORD
	v_or_b32_sdwa v49, v47, v6 dst_sel:WORD_1 dst_unused:UNUSED_PAD src0_sel:BYTE_0 src1_sel:DWORD
	v_lshlrev_b16_e32 v21, 8, v21
	v_or_b32_sdwa v48, v48, v49 dst_sel:DWORD dst_unused:UNUSED_PAD src0_sel:WORD_0 src1_sel:DWORD
	v_xor_b32_e32 v43, v43, v48
	v_and_b32_e32 v48, 0xffffff00, v43
	v_sub_i16 v46, v48, v46 clamp
	v_lshlrev_b16_e32 v48, 8, v43
	v_and_b32_e32 v46, 0xffffff00, v46
	v_sub_i16 v21, v48, v21 clamp
	v_or_b32_sdwa v21, v21, v46 dst_sel:DWORD dst_unused:UNUSED_PAD src0_sel:BYTE_1 src1_sel:DWORD
	v_and_b32_sdwa v46, v43, s33 dst_sel:DWORD dst_unused:UNUSED_PAD src0_sel:WORD_1 src1_sel:DWORD
	v_sub_i16 v6, v46, v6 clamp
	v_lshlrev_b16_sdwa v43, v34, v43 dst_sel:DWORD dst_unused:UNUSED_PAD src0_sel:DWORD src1_sel:WORD_1
	v_lshlrev_b16_e32 v46, 8, v47
	v_and_b32_e32 v6, 0xffffff00, v6
	v_sub_i16 v43, v43, v46 clamp
	v_or_b32_sdwa v6, v43, v6 dst_sel:WORD_1 dst_unused:UNUSED_PAD src0_sel:BYTE_1 src1_sel:DWORD
	v_lshrrev_b16_e32 v45, 5, v45
	v_or_b32_sdwa v6, v21, v6 dst_sel:DWORD dst_unused:UNUSED_PAD src0_sel:WORD_0 src1_sel:DWORD
	v_and_b32_e32 v21, 0x80000000, v5
	v_cmp_ne_u16_sdwa s[24:25], v21, v9 src0_sel:BYTE_3 src1_sel:DWORD
	v_bfe_i32 v45, v45, 0, 1
	v_lshrrev_b32_e32 v5, 22, v5
	v_cndmask_b32_e64 v21, 0, -1, s[24:25]
	v_bfe_i32 v43, v36, 11, 1
	v_bfe_i32 v5, v5, 0, 1
	v_lshlrev_b16_e32 v45, 8, v45
	v_lshlrev_b16_e32 v21, 8, v21
	v_or_b32_sdwa v46, v43, v45 dst_sel:DWORD dst_unused:UNUSED_PAD src0_sel:BYTE_0 src1_sel:DWORD
	v_or_b32_sdwa v47, v5, v21 dst_sel:WORD_1 dst_unused:UNUSED_PAD src0_sel:BYTE_0 src1_sel:DWORD
	v_lshlrev_b16_e32 v43, 8, v43
	v_or_b32_sdwa v46, v46, v47 dst_sel:DWORD dst_unused:UNUSED_PAD src0_sel:WORD_0 src1_sel:DWORD
	v_xor_b32_e32 v42, v42, v46
	v_and_b32_e32 v46, 0xffffff00, v42
	v_sub_i16 v45, v46, v45 clamp
	v_lshlrev_b16_e32 v46, 8, v42
	v_and_b32_e32 v45, 0xffffff00, v45
	v_sub_i16 v43, v46, v43 clamp
	v_or_b32_sdwa v43, v43, v45 dst_sel:DWORD dst_unused:UNUSED_PAD src0_sel:BYTE_1 src1_sel:DWORD
	v_and_b32_sdwa v45, v42, s33 dst_sel:DWORD dst_unused:UNUSED_PAD src0_sel:WORD_1 src1_sel:DWORD
	v_sub_i16 v21, v45, v21 clamp
	v_lshlrev_b16_sdwa v42, v34, v42 dst_sel:DWORD dst_unused:UNUSED_PAD src0_sel:DWORD src1_sel:WORD_1
	v_lshlrev_b16_e32 v5, 8, v5
	v_and_b32_e32 v21, 0xffffff00, v21
	v_sub_i16 v5, v42, v5 clamp
	v_or_b32_sdwa v5, v5, v21 dst_sel:WORD_1 dst_unused:UNUSED_PAD src0_sel:BYTE_1 src1_sel:DWORD
	v_dot4c_i32_i8_e32 v44, v6, v7
	v_or_b32_sdwa v5, v43, v5 dst_sel:DWORD dst_unused:UNUSED_PAD src0_sel:WORD_0 src1_sel:DWORD
	v_dot4c_i32_i8_e32 v44, v5, v0
	v_bfe_u32 v0, v20, 14, 8
	v_bcnt_u32_b32 v5, v0, 0
	v_and_b32_e32 v5, 1, v5
	v_lshlrev_b32_e32 v5, 7, v5
	v_xor_b32_e32 v0, v5, v0
	v_mul_lo_u32 v0, v0, s31
	v_and_b32_e32 v5, 0x8000000, v0
	v_lshrrev_b32_e32 v7, 8, v0
	v_lshrrev_b16_e32 v20, 1, v7
	v_cmp_ne_u16_sdwa s[24:25], v5, v9 src0_sel:BYTE_3 src1_sel:DWORD
	v_bfe_i32 v20, v20, 0, 1
	v_lshrrev_b32_e32 v21, 18, v0
	v_cndmask_b32_e64 v5, 0, -1, s[24:25]
	v_bfe_i32 v6, v36, 14, 1
	v_bfe_i32 v21, v21, 0, 1
	v_lshlrev_b16_e32 v5, 8, v5
	v_lshlrev_b16_e32 v20, 8, v20
	v_or_b32_sdwa v42, v21, v5 dst_sel:WORD_1 dst_unused:UNUSED_PAD src0_sel:BYTE_0 src1_sel:DWORD
	v_or_b32_sdwa v43, v6, v20 dst_sel:DWORD dst_unused:UNUSED_PAD src0_sel:BYTE_0 src1_sel:DWORD
	v_or_b32_sdwa v42, v43, v42 dst_sel:DWORD dst_unused:UNUSED_PAD src0_sel:WORD_0 src1_sel:DWORD
	v_xor_b32_e32 v41, v41, v42
	v_and_b32_e32 v42, 0xffffff00, v41
	v_sub_i16 v20, v42, v20 clamp
	v_lshlrev_b16_e32 v42, 8, v41
	v_lshlrev_b16_e32 v6, 8, v6
	v_and_b32_e32 v20, 0xffffff00, v20
	v_sub_i16 v6, v42, v6 clamp
	v_or_b32_sdwa v6, v6, v20 dst_sel:DWORD dst_unused:UNUSED_PAD src0_sel:BYTE_1 src1_sel:DWORD
	v_and_b32_sdwa v20, v41, s33 dst_sel:DWORD dst_unused:UNUSED_PAD src0_sel:WORD_1 src1_sel:DWORD
	v_sub_i16 v5, v20, v5 clamp
	v_lshlrev_b16_sdwa v20, v34, v41 dst_sel:DWORD dst_unused:UNUSED_PAD src0_sel:DWORD src1_sel:WORD_1
	v_lshlrev_b16_e32 v21, 8, v21
	v_and_b32_e32 v5, 0xffffff00, v5
	v_sub_i16 v20, v20, v21 clamp
	v_or_b32_sdwa v5, v20, v5 dst_sel:WORD_1 dst_unused:UNUSED_PAD src0_sel:BYTE_1 src1_sel:DWORD
	v_lshrrev_b16_e32 v7, 5, v7
	v_or_b32_sdwa v5, v6, v5 dst_sel:DWORD dst_unused:UNUSED_PAD src0_sel:WORD_0 src1_sel:DWORD
	v_and_b32_e32 v6, 0x80000000, v0
	v_cmp_ne_u16_sdwa s[24:25], v6, v9 src0_sel:BYTE_3 src1_sel:DWORD
	v_lshrrev_b32_e32 v19, 16, v36
	v_bfe_i32 v7, v7, 0, 1
	v_lshrrev_b32_e32 v0, 22, v0
	v_cndmask_b32_e64 v6, 0, -1, s[24:25]
	v_bfe_i32 v20, v19, 2, 1
	v_bfe_i32 v0, v0, 0, 1
	v_lshlrev_b16_e32 v6, 8, v6
	v_lshlrev_b16_e32 v7, 8, v7
	v_or_b32_sdwa v21, v0, v6 dst_sel:WORD_1 dst_unused:UNUSED_PAD src0_sel:BYTE_0 src1_sel:DWORD
	v_or_b32_sdwa v41, v20, v7 dst_sel:DWORD dst_unused:UNUSED_PAD src0_sel:BYTE_0 src1_sel:DWORD
	v_or_b32_sdwa v21, v41, v21 dst_sel:DWORD dst_unused:UNUSED_PAD src0_sel:WORD_0 src1_sel:DWORD
	v_xor_b32_e32 v21, v40, v21
	v_and_b32_e32 v40, 0xffffff00, v21
	v_sub_i16 v7, v40, v7 clamp
	v_lshlrev_b16_e32 v40, 8, v21
	v_lshlrev_b16_e32 v20, 8, v20
	v_and_b32_e32 v7, 0xffffff00, v7
	v_sub_i16 v20, v40, v20 clamp
	v_or_b32_sdwa v7, v20, v7 dst_sel:DWORD dst_unused:UNUSED_PAD src0_sel:BYTE_1 src1_sel:DWORD
	v_and_b32_sdwa v20, v21, s33 dst_sel:DWORD dst_unused:UNUSED_PAD src0_sel:WORD_1 src1_sel:DWORD
	v_sub_i16 v6, v20, v6 clamp
	v_lshlrev_b16_sdwa v20, v34, v21 dst_sel:DWORD dst_unused:UNUSED_PAD src0_sel:DWORD src1_sel:WORD_1
	v_lshlrev_b16_e32 v0, 8, v0
	v_and_b32_e32 v6, 0xffffff00, v6
	v_sub_i16 v0, v20, v0 clamp
	v_or_b32_sdwa v0, v0, v6 dst_sel:WORD_1 dst_unused:UNUSED_PAD src0_sel:BYTE_1 src1_sel:DWORD
	v_dot4c_i32_i8_e32 v44, v5, v1
	v_or_b32_sdwa v0, v7, v0 dst_sel:DWORD dst_unused:UNUSED_PAD src0_sel:WORD_0 src1_sel:DWORD
	v_dot4c_i32_i8_e32 v44, v0, v2
	v_bfe_u32 v0, v36, 21, 8
	v_bcnt_u32_b32 v1, v0, 0
	v_and_b32_e32 v1, 1, v1
	v_lshlrev_b32_e32 v1, 7, v1
	v_xor_b32_e32 v0, v1, v0
	v_mul_lo_u32 v0, v0, s31
	v_and_b32_e32 v1, 0x8000000, v0
	v_lshrrev_b32_e32 v5, 8, v0
	v_lshrrev_b16_e32 v6, 1, v5
	v_cmp_ne_u16_sdwa s[24:25], v1, v9 src0_sel:BYTE_3 src1_sel:DWORD
	v_bfe_i32 v6, v6, 0, 1
	v_lshrrev_b32_e32 v7, 18, v0
	v_cndmask_b32_e64 v1, 0, -1, s[24:25]
	v_bfe_i32 v2, v19, 5, 1
	v_bfe_i32 v7, v7, 0, 1
	v_lshlrev_b16_e32 v6, 8, v6
	v_lshlrev_b16_e32 v1, 8, v1
	v_or_b32_sdwa v20, v2, v6 dst_sel:DWORD dst_unused:UNUSED_PAD src0_sel:BYTE_0 src1_sel:DWORD
	v_or_b32_sdwa v21, v7, v1 dst_sel:WORD_1 dst_unused:UNUSED_PAD src0_sel:BYTE_0 src1_sel:DWORD
	v_lshlrev_b16_e32 v2, 8, v2
	v_or_b32_sdwa v20, v20, v21 dst_sel:DWORD dst_unused:UNUSED_PAD src0_sel:WORD_0 src1_sel:DWORD
	v_xor_b32_e32 v20, v39, v20
	v_and_b32_e32 v21, 0xffffff00, v20
	v_sub_i16 v6, v21, v6 clamp
	v_lshlrev_b16_e32 v21, 8, v20
	v_and_b32_e32 v6, 0xffffff00, v6
	v_sub_i16 v2, v21, v2 clamp
	v_or_b32_sdwa v2, v2, v6 dst_sel:DWORD dst_unused:UNUSED_PAD src0_sel:BYTE_1 src1_sel:DWORD
	v_and_b32_sdwa v6, v20, s33 dst_sel:DWORD dst_unused:UNUSED_PAD src0_sel:WORD_1 src1_sel:DWORD
	v_sub_i16 v1, v6, v1 clamp
	v_lshlrev_b16_sdwa v6, v34, v20 dst_sel:DWORD dst_unused:UNUSED_PAD src0_sel:DWORD src1_sel:WORD_1
	v_lshlrev_b16_e32 v7, 8, v7
	v_and_b32_e32 v1, 0xffffff00, v1
	v_sub_i16 v6, v6, v7 clamp
	v_or_b32_sdwa v1, v6, v1 dst_sel:WORD_1 dst_unused:UNUSED_PAD src0_sel:BYTE_1 src1_sel:DWORD
	v_lshrrev_b16_e32 v5, 5, v5
	v_or_b32_sdwa v1, v2, v1 dst_sel:DWORD dst_unused:UNUSED_PAD src0_sel:WORD_0 src1_sel:DWORD
	v_and_b32_e32 v2, 0x80000000, v0
	v_cmp_ne_u16_sdwa s[24:25], v2, v9 src0_sel:BYTE_3 src1_sel:DWORD
	v_bfe_i32 v5, v5, 0, 1
	v_lshrrev_b32_e32 v0, 22, v0
	v_cndmask_b32_e64 v2, 0, -1, s[24:25]
	v_bfe_i32 v6, v19, 9, 1
	v_bfe_i32 v0, v0, 0, 1
	v_lshlrev_b16_e32 v5, 8, v5
	v_lshlrev_b16_e32 v2, 8, v2
	v_or_b32_sdwa v7, v6, v5 dst_sel:DWORD dst_unused:UNUSED_PAD src0_sel:BYTE_0 src1_sel:DWORD
	v_or_b32_sdwa v19, v0, v2 dst_sel:WORD_1 dst_unused:UNUSED_PAD src0_sel:BYTE_0 src1_sel:DWORD
	v_lshlrev_b16_e32 v6, 8, v6
	v_or_b32_sdwa v7, v7, v19 dst_sel:DWORD dst_unused:UNUSED_PAD src0_sel:WORD_0 src1_sel:DWORD
	v_xor_b32_e32 v7, v38, v7
	v_and_b32_e32 v19, 0xffffff00, v7
	v_sub_i16 v5, v19, v5 clamp
	v_lshlrev_b16_e32 v19, 8, v7
	v_and_b32_e32 v5, 0xffffff00, v5
	v_sub_i16 v6, v19, v6 clamp
	v_or_b32_sdwa v5, v6, v5 dst_sel:DWORD dst_unused:UNUSED_PAD src0_sel:BYTE_1 src1_sel:DWORD
	v_and_b32_sdwa v6, v7, s33 dst_sel:DWORD dst_unused:UNUSED_PAD src0_sel:WORD_1 src1_sel:DWORD
	v_sub_i16 v2, v6, v2 clamp
	v_lshlrev_b16_sdwa v6, v34, v7 dst_sel:DWORD dst_unused:UNUSED_PAD src0_sel:DWORD src1_sel:WORD_1
	v_lshlrev_b16_e32 v0, 8, v0
	v_and_b32_e32 v2, 0xffffff00, v2
	v_sub_i16 v0, v6, v0 clamp
	v_or_b32_sdwa v0, v0, v2 dst_sel:WORD_1 dst_unused:UNUSED_PAD src0_sel:BYTE_1 src1_sel:DWORD
	v_dot4c_i32_i8_e32 v44, v1, v3
	v_or_b32_sdwa v0, v5, v0 dst_sel:DWORD dst_unused:UNUSED_PAD src0_sel:WORD_0 src1_sel:DWORD
	v_dot4c_i32_i8_e32 v44, v0, v35
	v_lshrrev_b32_e32 v1, 28, v36
	v_ashrrev_i32_e32 v15, 1, v15
	v_cvt_f32_i32_e32 v15, v15
	v_lshrrev_b32_e32 v0, 31, v44
	v_add_u32_e32 v0, v44, v0
	v_ashrrev_i32_e32 v0, 1, v0
	v_mad_u64_u32 v[0:1], s[24:25], v44, v1, v[0:1]
	v_lshrrev_b32_e32 v1, 31, v0
	v_add_u32_e32 v0, v0, v1
	v_ashrrev_i32_e32 v0, 1, v0
	v_cvt_f32_f16_e32 v1, v37
	v_cvt_f32_i32_e32 v0, v0
	v_add_u32_e32 v28, 16, v28
	v_mul_f32_e32 v2, v18, v4
	v_mul_f32_e32 v1, v1, v4
	v_cmp_le_u32_e32 vcc, s15, v28
	v_fmac_f32_e32 v29, v2, v15
	v_fmac_f32_e32 v32, v1, v0
	s_or_b64 s[12:13], vcc, s[12:13]
	v_lshl_add_u64 v[10:11], v[10:11], 0, s[18:19]
	s_andn2_b64 exec, exec, s[12:13]
	s_cbranch_execz .LBB193_22
.LBB193_18:                             ; =>This Inner Loop Header: Depth=1
	v_add_u32_e32 v15, s21, v28
	v_mad_i64_i32 v[18:19], s[24:25], v15, s28, v[12:13]
	v_lshl_add_u64 v[20:21], v[18:19], 0, v[16:17]
	global_load_dwordx2 v[38:39], v[20:21], off offset:2
	global_load_dwordx4 v[4:7], v[10:11], off offset:-16
	global_load_dwordx4 v[0:3], v[10:11], off
	global_load_dword v35, v[10:11], off offset:16
	v_lshl_add_u64 v[20:21], v[18:19], 0, v[8:9]
	s_getpc_b64 s[24:25]
	s_add_u32 s24, s24, _ZL11iq3xxs_grid@rel32@lo+4
	s_addc_u32 s25, s25, _ZL11iq3xxs_grid@rel32@hi+12
	global_load_dword v36, v[20:21], off offset:66
	s_and_b64 vcc, exec, s[10:11]
	s_waitcnt vmcnt(4)
	v_lshlrev_b32_sdwa v20, v33, v38 dst_sel:DWORD dst_unused:UNUSED_PAD src0_sel:DWORD src1_sel:BYTE_0
	v_lshlrev_b32_sdwa v21, v33, v38 dst_sel:DWORD dst_unused:UNUSED_PAD src0_sel:DWORD src1_sel:BYTE_1
	v_lshlrev_b32_sdwa v46, v33, v38 dst_sel:DWORD dst_unused:UNUSED_PAD src0_sel:DWORD src1_sel:BYTE_2
	v_lshlrev_b32_sdwa v47, v33, v38 dst_sel:DWORD dst_unused:UNUSED_PAD src0_sel:DWORD src1_sel:BYTE_3
	v_lshlrev_b32_sdwa v48, v33, v39 dst_sel:DWORD dst_unused:UNUSED_PAD src0_sel:DWORD src1_sel:BYTE_0
	v_lshlrev_b32_sdwa v49, v33, v39 dst_sel:DWORD dst_unused:UNUSED_PAD src0_sel:DWORD src1_sel:BYTE_1
	v_lshlrev_b32_sdwa v50, v33, v39 dst_sel:DWORD dst_unused:UNUSED_PAD src0_sel:DWORD src1_sel:BYTE_2
	v_lshlrev_b32_sdwa v51, v33, v39 dst_sel:DWORD dst_unused:UNUSED_PAD src0_sel:DWORD src1_sel:BYTE_3
	global_load_dword v45, v20, s[24:25]
	global_load_dword v44, v21, s[24:25]
	;; [unrolled: 1-line block ×8, first 2 shown]
	global_load_ushort v37, v[18:19], off
	s_waitcnt vmcnt(12)
	v_cvt_f32_f16_e32 v4, v4
	s_cbranch_vccnz .LBB193_20
; %bb.19:                               ;   in Loop: Header=BB193_18 Depth=1
	v_mov_b64_e32 v[18:19], s[36:37]
	v_mad_i64_i32 v[18:19], s[34:35], v15, s28, v[18:19]
	v_mov_b32_e32 v15, v9
	v_lshl_add_u64 v[48:49], v[18:19], 0, v[14:15]
	v_lshl_add_u64 v[46:47], v[18:19], 0, v[8:9]
	global_load_dwordx2 v[20:21], v[48:49], off offset:2
	global_load_dword v15, v[46:47], off offset:66
	s_waitcnt vmcnt(1)
	v_lshlrev_b32_sdwa v48, v33, v20 dst_sel:DWORD dst_unused:UNUSED_PAD src0_sel:DWORD src1_sel:BYTE_0
	global_load_dword v48, v48, s[24:25]
	v_lshlrev_b32_sdwa v49, v33, v20 dst_sel:DWORD dst_unused:UNUSED_PAD src0_sel:DWORD src1_sel:BYTE_1
	global_load_dword v49, v49, s[24:25]
	s_waitcnt vmcnt(2)
	v_and_b32_e32 v50, 0xff, v15
	v_bcnt_u32_b32 v51, v50, 0
	v_and_b32_e32 v51, 1, v51
	v_lshlrev_b32_e32 v51, 7, v51
	v_xor_b32_e32 v50, v51, v50
	v_mul_lo_u32 v50, v50, s31
	v_and_b32_e32 v51, 0x8000000, v50
	v_lshrrev_b32_e32 v53, 8, v50
	v_lshrrev_b16_e32 v54, 1, v53
	v_cmp_ne_u16_sdwa s[34:35], v51, v9 src0_sel:BYTE_3 src1_sel:DWORD
	v_and_b32_e32 v52, 1, v15
	v_bfe_i32 v54, v54, 0, 1
	v_lshrrev_b32_e32 v55, 18, v50
	v_cndmask_b32_e64 v51, 0, -1, s[34:35]
	v_sub_u16_e32 v52, 0, v52
	v_bfe_i32 v55, v55, 0, 1
	v_lshlrev_b16_e32 v51, 8, v51
	v_lshlrev_b16_e32 v54, 8, v54
	v_or_b32_sdwa v56, v55, v51 dst_sel:WORD_1 dst_unused:UNUSED_PAD src0_sel:BYTE_0 src1_sel:DWORD
	v_or_b32_sdwa v57, v52, v54 dst_sel:DWORD dst_unused:UNUSED_PAD src0_sel:BYTE_0 src1_sel:DWORD
	v_or_b32_sdwa v56, v57, v56 dst_sel:DWORD dst_unused:UNUSED_PAD src0_sel:WORD_0 src1_sel:DWORD
	v_lshlrev_b16_e32 v52, 8, v52
	v_lshrrev_b16_e32 v53, 5, v53
	v_bfe_i32 v53, v53, 0, 1
	v_lshlrev_b16_e32 v53, 8, v53
	v_and_b32_e32 v47, 0xffff0000, v15
	v_and_or_b32 v47, v15, s29, v47
	v_bfe_u32 v47, v47, 14, 8
	global_load_ushort v18, v[18:19], off
	v_lshrrev_b32_e32 v46, 16, v15
	s_waitcnt vmcnt(2)
	v_xor_b32_e32 v48, v48, v56
	v_and_b32_e32 v56, 0xffffff00, v48
	v_sub_i16 v54, v56, v54 clamp
	v_lshlrev_b16_e32 v56, 8, v48
	v_and_b32_e32 v54, 0xffffff00, v54
	v_sub_i16 v52, v56, v52 clamp
	v_or_b32_sdwa v52, v52, v54 dst_sel:DWORD dst_unused:UNUSED_PAD src0_sel:BYTE_1 src1_sel:DWORD
	v_and_b32_sdwa v54, v48, s33 dst_sel:DWORD dst_unused:UNUSED_PAD src0_sel:WORD_1 src1_sel:DWORD
	v_sub_i16 v51, v54, v51 clamp
	v_lshlrev_b16_sdwa v48, v34, v48 dst_sel:DWORD dst_unused:UNUSED_PAD src0_sel:DWORD src1_sel:WORD_1
	v_lshlrev_b16_e32 v54, 8, v55
	v_and_b32_e32 v51, 0xffffff00, v51
	v_sub_i16 v48, v48, v54 clamp
	v_or_b32_sdwa v48, v48, v51 dst_sel:WORD_1 dst_unused:UNUSED_PAD src0_sel:BYTE_1 src1_sel:DWORD
	v_and_b32_e32 v51, 0x80000000, v50
	v_cmp_ne_u16_sdwa s[34:35], v51, v9 src0_sel:BYTE_3 src1_sel:DWORD
	v_lshrrev_b32_e32 v50, 22, v50
	v_or_b32_sdwa v48, v52, v48 dst_sel:DWORD dst_unused:UNUSED_PAD src0_sel:WORD_0 src1_sel:DWORD
	v_cndmask_b32_e64 v51, 0, -1, s[34:35]
	v_bfe_i32 v52, v15, 4, 1
	v_bfe_i32 v50, v50, 0, 1
	v_lshlrev_b16_e32 v51, 8, v51
	v_or_b32_sdwa v54, v50, v51 dst_sel:WORD_1 dst_unused:UNUSED_PAD src0_sel:BYTE_0 src1_sel:DWORD
	v_or_b32_sdwa v55, v52, v53 dst_sel:DWORD dst_unused:UNUSED_PAD src0_sel:BYTE_0 src1_sel:DWORD
	v_or_b32_sdwa v54, v55, v54 dst_sel:DWORD dst_unused:UNUSED_PAD src0_sel:WORD_0 src1_sel:DWORD
	s_waitcnt vmcnt(1)
	v_xor_b32_e32 v49, v49, v54
	v_and_b32_e32 v54, 0xffffff00, v49
	v_sub_i16 v53, v54, v53 clamp
	v_lshlrev_b16_e32 v54, 8, v49
	v_lshlrev_b16_e32 v52, 8, v52
	v_and_b32_e32 v53, 0xffffff00, v53
	v_sub_i16 v52, v54, v52 clamp
	v_or_b32_sdwa v52, v52, v53 dst_sel:DWORD dst_unused:UNUSED_PAD src0_sel:BYTE_1 src1_sel:DWORD
	v_and_b32_sdwa v53, v49, s33 dst_sel:DWORD dst_unused:UNUSED_PAD src0_sel:WORD_1 src1_sel:DWORD
	v_lshlrev_b16_sdwa v49, v34, v49 dst_sel:DWORD dst_unused:UNUSED_PAD src0_sel:DWORD src1_sel:WORD_1
	v_lshlrev_b16_e32 v50, 8, v50
	v_sub_i16 v49, v49, v50 clamp
	v_mov_b32_e32 v50, v9
	v_dot4c_i32_i8_e32 v50, v48, v5
	v_lshlrev_b32_sdwa v48, v33, v20 dst_sel:DWORD dst_unused:UNUSED_PAD src0_sel:DWORD src1_sel:BYTE_2
	global_load_dword v48, v48, s[24:25]
	v_lshlrev_b32_sdwa v20, v33, v20 dst_sel:DWORD dst_unused:UNUSED_PAD src0_sel:DWORD src1_sel:BYTE_3
	global_load_dword v20, v20, s[24:25]
	v_sub_i16 v51, v53, v51 clamp
	v_and_b32_e32 v51, 0xffffff00, v51
	v_or_b32_sdwa v49, v49, v51 dst_sel:WORD_1 dst_unused:UNUSED_PAD src0_sel:BYTE_1 src1_sel:DWORD
	s_waitcnt vmcnt(2)
	v_cvt_f32_f16_e32 v18, v18
	v_or_b32_sdwa v49, v52, v49 dst_sel:DWORD dst_unused:UNUSED_PAD src0_sel:WORD_0 src1_sel:DWORD
	v_dot4c_i32_i8_e32 v50, v49, v6
	v_bfe_u32 v49, v15, 7, 8
	v_bcnt_u32_b32 v51, v49, 0
	v_and_b32_e32 v51, 1, v51
	v_lshlrev_b32_e32 v51, 7, v51
	v_xor_b32_e32 v49, v51, v49
	v_mul_lo_u32 v49, v49, s31
	v_and_b32_e32 v51, 0x8000000, v49
	v_lshrrev_b32_e32 v53, 8, v49
	v_lshrrev_b16_e32 v54, 1, v53
	v_cmp_ne_u16_sdwa s[34:35], v51, v9 src0_sel:BYTE_3 src1_sel:DWORD
	v_bfe_i32 v54, v54, 0, 1
	v_lshrrev_b32_e32 v55, 18, v49
	v_cndmask_b32_e64 v51, 0, -1, s[34:35]
	v_bfe_i32 v52, v15, 7, 1
	v_bfe_i32 v55, v55, 0, 1
	v_lshlrev_b16_e32 v51, 8, v51
	v_lshlrev_b16_e32 v54, 8, v54
	v_or_b32_sdwa v56, v55, v51 dst_sel:WORD_1 dst_unused:UNUSED_PAD src0_sel:BYTE_0 src1_sel:DWORD
	v_or_b32_sdwa v57, v52, v54 dst_sel:DWORD dst_unused:UNUSED_PAD src0_sel:BYTE_0 src1_sel:DWORD
	v_or_b32_sdwa v56, v57, v56 dst_sel:DWORD dst_unused:UNUSED_PAD src0_sel:WORD_0 src1_sel:DWORD
	v_lshlrev_b16_e32 v52, 8, v52
	v_lshrrev_b16_e32 v53, 5, v53
	v_bfe_i32 v53, v53, 0, 1
	v_lshlrev_b16_e32 v53, 8, v53
	v_mul_f32_e32 v18, v4, v18
	s_waitcnt vmcnt(1)
	v_xor_b32_e32 v48, v48, v56
	v_and_b32_e32 v56, 0xffffff00, v48
	v_sub_i16 v54, v56, v54 clamp
	v_lshlrev_b16_e32 v56, 8, v48
	v_and_b32_e32 v54, 0xffffff00, v54
	v_sub_i16 v52, v56, v52 clamp
	v_or_b32_sdwa v52, v52, v54 dst_sel:DWORD dst_unused:UNUSED_PAD src0_sel:BYTE_1 src1_sel:DWORD
	v_and_b32_sdwa v54, v48, s33 dst_sel:DWORD dst_unused:UNUSED_PAD src0_sel:WORD_1 src1_sel:DWORD
	v_sub_i16 v51, v54, v51 clamp
	v_lshlrev_b16_sdwa v48, v34, v48 dst_sel:DWORD dst_unused:UNUSED_PAD src0_sel:DWORD src1_sel:WORD_1
	v_lshlrev_b16_e32 v54, 8, v55
	v_and_b32_e32 v51, 0xffffff00, v51
	v_sub_i16 v48, v48, v54 clamp
	v_or_b32_sdwa v48, v48, v51 dst_sel:WORD_1 dst_unused:UNUSED_PAD src0_sel:BYTE_1 src1_sel:DWORD
	v_and_b32_e32 v51, 0x80000000, v49
	v_cmp_ne_u16_sdwa s[34:35], v51, v9 src0_sel:BYTE_3 src1_sel:DWORD
	v_lshrrev_b32_e32 v49, 22, v49
	v_or_b32_sdwa v48, v52, v48 dst_sel:DWORD dst_unused:UNUSED_PAD src0_sel:WORD_0 src1_sel:DWORD
	v_cndmask_b32_e64 v51, 0, -1, s[34:35]
	v_bfe_i32 v52, v15, 11, 1
	v_bfe_i32 v49, v49, 0, 1
	v_lshlrev_b16_e32 v51, 8, v51
	v_or_b32_sdwa v54, v49, v51 dst_sel:WORD_1 dst_unused:UNUSED_PAD src0_sel:BYTE_0 src1_sel:DWORD
	v_or_b32_sdwa v55, v52, v53 dst_sel:DWORD dst_unused:UNUSED_PAD src0_sel:BYTE_0 src1_sel:DWORD
	v_or_b32_sdwa v54, v55, v54 dst_sel:DWORD dst_unused:UNUSED_PAD src0_sel:WORD_0 src1_sel:DWORD
	s_waitcnt vmcnt(0)
	v_xor_b32_e32 v20, v20, v54
	v_and_b32_e32 v54, 0xffffff00, v20
	v_sub_i16 v53, v54, v53 clamp
	v_lshlrev_b16_e32 v54, 8, v20
	v_lshlrev_b16_e32 v52, 8, v52
	v_and_b32_e32 v53, 0xffffff00, v53
	v_sub_i16 v52, v54, v52 clamp
	v_or_b32_sdwa v52, v52, v53 dst_sel:DWORD dst_unused:UNUSED_PAD src0_sel:BYTE_1 src1_sel:DWORD
	v_and_b32_sdwa v53, v20, s33 dst_sel:DWORD dst_unused:UNUSED_PAD src0_sel:WORD_1 src1_sel:DWORD
	v_sub_i16 v51, v53, v51 clamp
	v_lshlrev_b16_sdwa v20, v34, v20 dst_sel:DWORD dst_unused:UNUSED_PAD src0_sel:DWORD src1_sel:WORD_1
	v_lshlrev_b16_e32 v49, 8, v49
	v_and_b32_e32 v51, 0xffffff00, v51
	v_sub_i16 v20, v20, v49 clamp
	v_or_b32_sdwa v20, v20, v51 dst_sel:WORD_1 dst_unused:UNUSED_PAD src0_sel:BYTE_1 src1_sel:DWORD
	v_dot4c_i32_i8_e32 v50, v48, v7
	v_or_b32_sdwa v20, v52, v20 dst_sel:DWORD dst_unused:UNUSED_PAD src0_sel:WORD_0 src1_sel:DWORD
	v_dot4c_i32_i8_e32 v50, v20, v0
	v_lshlrev_b32_sdwa v20, v33, v21 dst_sel:DWORD dst_unused:UNUSED_PAD src0_sel:DWORD src1_sel:BYTE_0
	global_load_dword v20, v20, s[24:25]
	v_lshlrev_b32_sdwa v48, v33, v21 dst_sel:DWORD dst_unused:UNUSED_PAD src0_sel:DWORD src1_sel:BYTE_1
	global_load_dword v48, v48, s[24:25]
	v_bcnt_u32_b32 v49, v47, 0
	v_and_b32_e32 v49, 1, v49
	v_lshlrev_b32_e32 v49, 7, v49
	v_xor_b32_e32 v47, v49, v47
	v_mul_lo_u32 v47, v47, s31
	v_and_b32_e32 v49, 0x8000000, v47
	v_lshrrev_b32_e32 v52, 8, v47
	v_lshrrev_b16_e32 v53, 1, v52
	v_cmp_ne_u16_sdwa s[34:35], v49, v9 src0_sel:BYTE_3 src1_sel:DWORD
	v_bfe_i32 v53, v53, 0, 1
	v_lshrrev_b32_e32 v54, 18, v47
	v_cndmask_b32_e64 v49, 0, -1, s[34:35]
	v_bfe_i32 v51, v15, 14, 1
	v_bfe_i32 v54, v54, 0, 1
	v_lshlrev_b16_e32 v49, 8, v49
	v_lshlrev_b16_e32 v53, 8, v53
	v_or_b32_sdwa v55, v54, v49 dst_sel:WORD_1 dst_unused:UNUSED_PAD src0_sel:BYTE_0 src1_sel:DWORD
	v_or_b32_sdwa v56, v51, v53 dst_sel:DWORD dst_unused:UNUSED_PAD src0_sel:BYTE_0 src1_sel:DWORD
	v_or_b32_sdwa v55, v56, v55 dst_sel:DWORD dst_unused:UNUSED_PAD src0_sel:WORD_0 src1_sel:DWORD
	v_lshlrev_b16_e32 v51, 8, v51
	v_lshrrev_b16_e32 v52, 5, v52
	v_bfe_i32 v52, v52, 0, 1
	v_lshlrev_b16_e32 v52, 8, v52
	s_waitcnt vmcnt(1)
	v_xor_b32_e32 v20, v20, v55
	v_and_b32_e32 v55, 0xffffff00, v20
	v_sub_i16 v53, v55, v53 clamp
	v_lshlrev_b16_e32 v55, 8, v20
	v_and_b32_e32 v53, 0xffffff00, v53
	v_sub_i16 v51, v55, v51 clamp
	v_or_b32_sdwa v51, v51, v53 dst_sel:DWORD dst_unused:UNUSED_PAD src0_sel:BYTE_1 src1_sel:DWORD
	v_and_b32_sdwa v53, v20, s33 dst_sel:DWORD dst_unused:UNUSED_PAD src0_sel:WORD_1 src1_sel:DWORD
	v_sub_i16 v49, v53, v49 clamp
	v_lshlrev_b16_sdwa v20, v34, v20 dst_sel:DWORD dst_unused:UNUSED_PAD src0_sel:DWORD src1_sel:WORD_1
	v_lshlrev_b16_e32 v53, 8, v54
	v_and_b32_e32 v49, 0xffffff00, v49
	v_sub_i16 v20, v20, v53 clamp
	v_or_b32_sdwa v20, v20, v49 dst_sel:WORD_1 dst_unused:UNUSED_PAD src0_sel:BYTE_1 src1_sel:DWORD
	v_and_b32_e32 v49, 0x80000000, v47
	v_or_b32_sdwa v20, v51, v20 dst_sel:DWORD dst_unused:UNUSED_PAD src0_sel:WORD_0 src1_sel:DWORD
	v_dot4c_i32_i8_e32 v50, v20, v1
	v_lshlrev_b32_sdwa v20, v33, v21 dst_sel:DWORD dst_unused:UNUSED_PAD src0_sel:DWORD src1_sel:BYTE_2
	global_load_dword v20, v20, s[24:25]
	v_lshlrev_b32_sdwa v21, v33, v21 dst_sel:DWORD dst_unused:UNUSED_PAD src0_sel:DWORD src1_sel:BYTE_3
	global_load_dword v21, v21, s[24:25]
	v_cmp_ne_u16_sdwa s[34:35], v49, v9 src0_sel:BYTE_3 src1_sel:DWORD
	v_lshrrev_b32_e32 v47, 22, v47
	v_bfe_i32 v51, v46, 2, 1
	v_cndmask_b32_e64 v49, 0, -1, s[34:35]
	v_bfe_i32 v47, v47, 0, 1
	v_lshlrev_b16_e32 v49, 8, v49
	v_or_b32_sdwa v53, v47, v49 dst_sel:WORD_1 dst_unused:UNUSED_PAD src0_sel:BYTE_0 src1_sel:DWORD
	v_or_b32_sdwa v54, v51, v52 dst_sel:DWORD dst_unused:UNUSED_PAD src0_sel:BYTE_0 src1_sel:DWORD
	v_or_b32_sdwa v53, v54, v53 dst_sel:DWORD dst_unused:UNUSED_PAD src0_sel:WORD_0 src1_sel:DWORD
	s_waitcnt vmcnt(2)
	v_xor_b32_e32 v48, v48, v53
	v_and_b32_e32 v53, 0xffffff00, v48
	v_sub_i16 v52, v53, v52 clamp
	v_lshlrev_b16_e32 v53, 8, v48
	v_lshlrev_b16_e32 v51, 8, v51
	v_and_b32_e32 v52, 0xffffff00, v52
	v_sub_i16 v51, v53, v51 clamp
	v_or_b32_sdwa v51, v51, v52 dst_sel:DWORD dst_unused:UNUSED_PAD src0_sel:BYTE_1 src1_sel:DWORD
	v_and_b32_sdwa v52, v48, s33 dst_sel:DWORD dst_unused:UNUSED_PAD src0_sel:WORD_1 src1_sel:DWORD
	v_sub_i16 v49, v52, v49 clamp
	v_lshlrev_b16_sdwa v48, v34, v48 dst_sel:DWORD dst_unused:UNUSED_PAD src0_sel:DWORD src1_sel:WORD_1
	v_lshlrev_b16_e32 v47, 8, v47
	v_and_b32_e32 v49, 0xffffff00, v49
	v_sub_i16 v47, v48, v47 clamp
	v_or_b32_sdwa v47, v47, v49 dst_sel:WORD_1 dst_unused:UNUSED_PAD src0_sel:BYTE_1 src1_sel:DWORD
	v_bfe_i32 v49, v46, 5, 1
	v_or_b32_sdwa v47, v51, v47 dst_sel:DWORD dst_unused:UNUSED_PAD src0_sel:WORD_0 src1_sel:DWORD
	v_dot4c_i32_i8_e32 v50, v47, v2
	v_bfe_u32 v47, v15, 21, 8
	v_bcnt_u32_b32 v48, v47, 0
	v_and_b32_e32 v48, 1, v48
	v_lshlrev_b32_e32 v48, 7, v48
	v_xor_b32_e32 v47, v48, v47
	v_mul_lo_u32 v47, v47, s31
	v_and_b32_e32 v48, 0x8000000, v47
	v_lshrrev_b32_e32 v51, 8, v47
	v_lshrrev_b16_e32 v52, 1, v51
	v_cmp_ne_u16_sdwa s[34:35], v48, v9 src0_sel:BYTE_3 src1_sel:DWORD
	v_bfe_i32 v52, v52, 0, 1
	v_lshrrev_b32_e32 v53, 18, v47
	v_cndmask_b32_e64 v48, 0, -1, s[34:35]
	v_bfe_i32 v53, v53, 0, 1
	v_lshlrev_b16_e32 v48, 8, v48
	v_lshlrev_b16_e32 v52, 8, v52
	v_or_b32_sdwa v54, v53, v48 dst_sel:WORD_1 dst_unused:UNUSED_PAD src0_sel:BYTE_0 src1_sel:DWORD
	v_or_b32_sdwa v55, v49, v52 dst_sel:DWORD dst_unused:UNUSED_PAD src0_sel:BYTE_0 src1_sel:DWORD
	v_or_b32_sdwa v54, v55, v54 dst_sel:DWORD dst_unused:UNUSED_PAD src0_sel:WORD_0 src1_sel:DWORD
	v_lshlrev_b16_e32 v49, 8, v49
	v_bfe_i32 v46, v46, 9, 1
	v_lshrrev_b32_e32 v15, 28, v15
	s_waitcnt vmcnt(1)
	v_xor_b32_e32 v20, v20, v54
	v_and_b32_e32 v54, 0xffffff00, v20
	v_sub_i16 v52, v54, v52 clamp
	v_lshlrev_b16_e32 v54, 8, v20
	v_and_b32_e32 v52, 0xffffff00, v52
	v_sub_i16 v49, v54, v49 clamp
	v_or_b32_sdwa v49, v49, v52 dst_sel:DWORD dst_unused:UNUSED_PAD src0_sel:BYTE_1 src1_sel:DWORD
	v_and_b32_sdwa v52, v20, s33 dst_sel:DWORD dst_unused:UNUSED_PAD src0_sel:WORD_1 src1_sel:DWORD
	v_sub_i16 v48, v52, v48 clamp
	v_lshlrev_b16_sdwa v20, v34, v20 dst_sel:DWORD dst_unused:UNUSED_PAD src0_sel:DWORD src1_sel:WORD_1
	v_lshlrev_b16_e32 v52, 8, v53
	v_and_b32_e32 v48, 0xffffff00, v48
	v_sub_i16 v20, v20, v52 clamp
	v_or_b32_sdwa v20, v20, v48 dst_sel:WORD_1 dst_unused:UNUSED_PAD src0_sel:BYTE_1 src1_sel:DWORD
	v_and_b32_e32 v48, 0x80000000, v47
	v_or_b32_sdwa v20, v49, v20 dst_sel:DWORD dst_unused:UNUSED_PAD src0_sel:WORD_0 src1_sel:DWORD
	v_lshrrev_b16_e32 v49, 5, v51
	v_cmp_ne_u16_sdwa s[34:35], v48, v9 src0_sel:BYTE_3 src1_sel:DWORD
	v_bfe_i32 v49, v49, 0, 1
	v_lshrrev_b32_e32 v47, 22, v47
	v_cndmask_b32_e64 v48, 0, -1, s[34:35]
	v_bfe_i32 v47, v47, 0, 1
	v_lshlrev_b16_e32 v48, 8, v48
	v_lshlrev_b16_e32 v49, 8, v49
	v_or_b32_sdwa v51, v47, v48 dst_sel:WORD_1 dst_unused:UNUSED_PAD src0_sel:BYTE_0 src1_sel:DWORD
	v_or_b32_sdwa v52, v46, v49 dst_sel:DWORD dst_unused:UNUSED_PAD src0_sel:BYTE_0 src1_sel:DWORD
	v_or_b32_sdwa v51, v52, v51 dst_sel:DWORD dst_unused:UNUSED_PAD src0_sel:WORD_0 src1_sel:DWORD
	s_waitcnt vmcnt(0)
	v_xor_b32_e32 v21, v21, v51
	v_and_b32_e32 v51, 0xffffff00, v21
	v_sub_i16 v49, v51, v49 clamp
	v_lshlrev_b16_e32 v51, 8, v21
	v_lshlrev_b16_e32 v46, 8, v46
	v_and_b32_e32 v49, 0xffffff00, v49
	v_sub_i16 v46, v51, v46 clamp
	v_or_b32_sdwa v46, v46, v49 dst_sel:DWORD dst_unused:UNUSED_PAD src0_sel:BYTE_1 src1_sel:DWORD
	v_and_b32_sdwa v49, v21, s33 dst_sel:DWORD dst_unused:UNUSED_PAD src0_sel:WORD_1 src1_sel:DWORD
	v_sub_i16 v48, v49, v48 clamp
	v_lshlrev_b16_sdwa v21, v34, v21 dst_sel:DWORD dst_unused:UNUSED_PAD src0_sel:DWORD src1_sel:WORD_1
	v_lshlrev_b16_e32 v47, 8, v47
	v_and_b32_e32 v48, 0xffffff00, v48
	v_sub_i16 v21, v21, v47 clamp
	v_or_b32_sdwa v21, v21, v48 dst_sel:WORD_1 dst_unused:UNUSED_PAD src0_sel:BYTE_1 src1_sel:DWORD
	v_dot4c_i32_i8_e32 v50, v20, v3
	v_or_b32_sdwa v21, v46, v21 dst_sel:DWORD dst_unused:UNUSED_PAD src0_sel:WORD_0 src1_sel:DWORD
	v_dot4c_i32_i8_e32 v50, v21, v35
	s_nop 2
	v_lshrrev_b32_e32 v20, 31, v50
	v_add_u32_e32 v20, v50, v20
	v_ashrrev_i32_e32 v20, 1, v20
	v_mad_u64_u32 v[20:21], s[34:35], v50, v15, v[20:21]
	v_lshrrev_b32_e32 v15, 31, v20
	v_add_u32_e32 v15, v20, v15
	v_ashrrev_i32_e32 v15, 1, v15
	v_cvt_f32_i32_e32 v15, v15
	v_fmac_f32_e32 v31, v18, v15
.LBB193_20:                             ;   in Loop: Header=BB193_18 Depth=1
	v_add_u32_e32 v18, s27, v28
	v_mov_b64_e32 v[20:21], s[16:17]
	v_mad_i64_i32 v[20:21], s[34:35], v18, s28, v[20:21]
	v_mov_b32_e32 v15, v9
	v_lshl_add_u64 v[46:47], v[20:21], 0, v[14:15]
	global_load_dwordx2 v[48:49], v[46:47], off offset:2
	v_lshl_add_u64 v[46:47], v[20:21], 0, v[8:9]
	global_load_dword v46, v[46:47], off offset:66
	s_and_b64 vcc, exec, s[10:11]
	s_waitcnt vmcnt(1)
	v_lshlrev_b32_sdwa v19, v33, v48 dst_sel:DWORD dst_unused:UNUSED_PAD src0_sel:DWORD src1_sel:BYTE_0
	v_lshlrev_b32_sdwa v56, v33, v48 dst_sel:DWORD dst_unused:UNUSED_PAD src0_sel:DWORD src1_sel:BYTE_1
	v_lshlrev_b32_sdwa v57, v33, v48 dst_sel:DWORD dst_unused:UNUSED_PAD src0_sel:DWORD src1_sel:BYTE_2
	v_lshlrev_b32_sdwa v58, v33, v48 dst_sel:DWORD dst_unused:UNUSED_PAD src0_sel:DWORD src1_sel:BYTE_3
	v_lshlrev_b32_sdwa v59, v33, v49 dst_sel:DWORD dst_unused:UNUSED_PAD src0_sel:DWORD src1_sel:BYTE_0
	v_lshlrev_b32_sdwa v60, v33, v49 dst_sel:DWORD dst_unused:UNUSED_PAD src0_sel:DWORD src1_sel:BYTE_1
	v_lshlrev_b32_sdwa v61, v33, v49 dst_sel:DWORD dst_unused:UNUSED_PAD src0_sel:DWORD src1_sel:BYTE_2
	v_lshlrev_b32_sdwa v62, v33, v49 dst_sel:DWORD dst_unused:UNUSED_PAD src0_sel:DWORD src1_sel:BYTE_3
	global_load_dword v55, v19, s[24:25]
	global_load_dword v54, v56, s[24:25]
	global_load_dword v53, v57, s[24:25]
	global_load_dword v52, v58, s[24:25]
	global_load_dword v51, v59, s[24:25]
	global_load_dword v50, v60, s[24:25]
	global_load_dword v49, v61, s[24:25]
	global_load_dword v48, v62, s[24:25]
	global_load_ushort v47, v[20:21], off
	s_cbranch_vccnz .LBB193_17
; %bb.21:                               ;   in Loop: Header=BB193_18 Depth=1
	v_mov_b64_e32 v[20:21], s[36:37]
	v_mad_i64_i32 v[18:19], s[24:25], v18, s28, v[20:21]
	v_lshl_add_u64 v[58:59], v[18:19], 0, v[14:15]
	v_lshl_add_u64 v[56:57], v[18:19], 0, v[8:9]
	global_load_dwordx2 v[20:21], v[58:59], off offset:2
	global_load_dword v15, v[56:57], off offset:66
	s_getpc_b64 s[24:25]
	s_add_u32 s24, s24, _ZL11iq3xxs_grid@rel32@lo+4
	s_addc_u32 s25, s25, _ZL11iq3xxs_grid@rel32@hi+12
	global_load_ushort v18, v[18:19], off
	s_waitcnt vmcnt(2)
	v_lshlrev_b32_sdwa v58, v33, v20 dst_sel:DWORD dst_unused:UNUSED_PAD src0_sel:DWORD src1_sel:BYTE_0
	global_load_dword v58, v58, s[24:25]
	v_lshlrev_b32_sdwa v59, v33, v20 dst_sel:DWORD dst_unused:UNUSED_PAD src0_sel:DWORD src1_sel:BYTE_1
	global_load_dword v59, v59, s[24:25]
	s_waitcnt vmcnt(3)
	v_and_b32_e32 v60, 0xff, v15
	v_bcnt_u32_b32 v61, v60, 0
	v_and_b32_e32 v61, 1, v61
	v_lshlrev_b32_e32 v61, 7, v61
	v_xor_b32_e32 v60, v61, v60
	v_mul_lo_u32 v60, v60, s31
	v_and_b32_e32 v61, 0x8000000, v60
	v_lshrrev_b32_e32 v63, 8, v60
	v_lshrrev_b16_e32 v64, 1, v63
	v_cmp_ne_u16_sdwa s[34:35], v61, v9 src0_sel:BYTE_3 src1_sel:DWORD
	v_and_b32_e32 v62, 1, v15
	v_bfe_i32 v64, v64, 0, 1
	v_lshrrev_b32_e32 v65, 18, v60
	v_cndmask_b32_e64 v61, 0, -1, s[34:35]
	v_sub_u16_e32 v62, 0, v62
	v_bfe_i32 v65, v65, 0, 1
	v_lshlrev_b16_e32 v61, 8, v61
	v_lshlrev_b16_e32 v64, 8, v64
	v_or_b32_sdwa v66, v65, v61 dst_sel:WORD_1 dst_unused:UNUSED_PAD src0_sel:BYTE_0 src1_sel:DWORD
	v_or_b32_sdwa v67, v62, v64 dst_sel:DWORD dst_unused:UNUSED_PAD src0_sel:BYTE_0 src1_sel:DWORD
	v_or_b32_sdwa v66, v67, v66 dst_sel:DWORD dst_unused:UNUSED_PAD src0_sel:WORD_0 src1_sel:DWORD
	v_lshlrev_b16_e32 v62, 8, v62
	v_lshrrev_b16_e32 v63, 5, v63
	v_bfe_i32 v63, v63, 0, 1
	v_lshlrev_b16_e32 v63, 8, v63
	v_and_b32_e32 v57, 0xffff0000, v15
	v_and_or_b32 v57, v15, s29, v57
	v_bfe_u32 v57, v57, 14, 8
	v_lshrrev_b32_e32 v56, 16, v15
	s_waitcnt vmcnt(2)
	v_cvt_f32_f16_e32 v18, v18
	v_mul_f32_e32 v18, v4, v18
	s_waitcnt vmcnt(1)
	v_xor_b32_e32 v58, v58, v66
	v_and_b32_e32 v66, 0xffffff00, v58
	v_sub_i16 v64, v66, v64 clamp
	v_lshlrev_b16_e32 v66, 8, v58
	v_and_b32_e32 v64, 0xffffff00, v64
	v_sub_i16 v62, v66, v62 clamp
	v_or_b32_sdwa v62, v62, v64 dst_sel:DWORD dst_unused:UNUSED_PAD src0_sel:BYTE_1 src1_sel:DWORD
	v_and_b32_sdwa v64, v58, s33 dst_sel:DWORD dst_unused:UNUSED_PAD src0_sel:WORD_1 src1_sel:DWORD
	v_sub_i16 v61, v64, v61 clamp
	v_lshlrev_b16_sdwa v58, v34, v58 dst_sel:DWORD dst_unused:UNUSED_PAD src0_sel:DWORD src1_sel:WORD_1
	v_lshlrev_b16_e32 v64, 8, v65
	v_and_b32_e32 v61, 0xffffff00, v61
	v_sub_i16 v58, v58, v64 clamp
	v_or_b32_sdwa v58, v58, v61 dst_sel:WORD_1 dst_unused:UNUSED_PAD src0_sel:BYTE_1 src1_sel:DWORD
	v_and_b32_e32 v61, 0x80000000, v60
	v_cmp_ne_u16_sdwa s[34:35], v61, v9 src0_sel:BYTE_3 src1_sel:DWORD
	v_lshrrev_b32_e32 v60, 22, v60
	v_or_b32_sdwa v58, v62, v58 dst_sel:DWORD dst_unused:UNUSED_PAD src0_sel:WORD_0 src1_sel:DWORD
	v_cndmask_b32_e64 v61, 0, -1, s[34:35]
	v_bfe_i32 v62, v15, 4, 1
	v_bfe_i32 v60, v60, 0, 1
	v_lshlrev_b16_e32 v61, 8, v61
	v_or_b32_sdwa v64, v60, v61 dst_sel:WORD_1 dst_unused:UNUSED_PAD src0_sel:BYTE_0 src1_sel:DWORD
	v_or_b32_sdwa v65, v62, v63 dst_sel:DWORD dst_unused:UNUSED_PAD src0_sel:BYTE_0 src1_sel:DWORD
	v_or_b32_sdwa v64, v65, v64 dst_sel:DWORD dst_unused:UNUSED_PAD src0_sel:WORD_0 src1_sel:DWORD
	s_waitcnt vmcnt(0)
	v_xor_b32_e32 v59, v59, v64
	v_and_b32_e32 v64, 0xffffff00, v59
	v_sub_i16 v63, v64, v63 clamp
	v_lshlrev_b16_e32 v64, 8, v59
	v_lshlrev_b16_e32 v62, 8, v62
	v_and_b32_e32 v63, 0xffffff00, v63
	v_sub_i16 v62, v64, v62 clamp
	v_or_b32_sdwa v62, v62, v63 dst_sel:DWORD dst_unused:UNUSED_PAD src0_sel:BYTE_1 src1_sel:DWORD
	v_and_b32_sdwa v63, v59, s33 dst_sel:DWORD dst_unused:UNUSED_PAD src0_sel:WORD_1 src1_sel:DWORD
	v_lshlrev_b16_sdwa v59, v34, v59 dst_sel:DWORD dst_unused:UNUSED_PAD src0_sel:DWORD src1_sel:WORD_1
	v_lshlrev_b16_e32 v60, 8, v60
	v_sub_i16 v59, v59, v60 clamp
	v_mov_b32_e32 v60, v9
	v_dot4c_i32_i8_e32 v60, v58, v5
	v_lshlrev_b32_sdwa v58, v33, v20 dst_sel:DWORD dst_unused:UNUSED_PAD src0_sel:DWORD src1_sel:BYTE_2
	global_load_dword v58, v58, s[24:25]
	v_lshlrev_b32_sdwa v20, v33, v20 dst_sel:DWORD dst_unused:UNUSED_PAD src0_sel:DWORD src1_sel:BYTE_3
	global_load_dword v20, v20, s[24:25]
	v_sub_i16 v61, v63, v61 clamp
	v_and_b32_e32 v61, 0xffffff00, v61
	v_or_b32_sdwa v59, v59, v61 dst_sel:WORD_1 dst_unused:UNUSED_PAD src0_sel:BYTE_1 src1_sel:DWORD
	s_nop 0
	v_or_b32_sdwa v59, v62, v59 dst_sel:DWORD dst_unused:UNUSED_PAD src0_sel:WORD_0 src1_sel:DWORD
	v_dot4c_i32_i8_e32 v60, v59, v6
	v_bfe_u32 v59, v15, 7, 8
	v_bcnt_u32_b32 v61, v59, 0
	v_and_b32_e32 v61, 1, v61
	v_lshlrev_b32_e32 v61, 7, v61
	v_xor_b32_e32 v59, v61, v59
	v_mul_lo_u32 v59, v59, s31
	v_and_b32_e32 v61, 0x8000000, v59
	v_lshrrev_b32_e32 v63, 8, v59
	v_lshrrev_b16_e32 v64, 1, v63
	v_cmp_ne_u16_sdwa s[34:35], v61, v9 src0_sel:BYTE_3 src1_sel:DWORD
	v_bfe_i32 v64, v64, 0, 1
	v_lshrrev_b32_e32 v65, 18, v59
	v_cndmask_b32_e64 v61, 0, -1, s[34:35]
	v_bfe_i32 v62, v15, 7, 1
	v_bfe_i32 v65, v65, 0, 1
	v_lshlrev_b16_e32 v61, 8, v61
	v_lshlrev_b16_e32 v64, 8, v64
	v_or_b32_sdwa v66, v65, v61 dst_sel:WORD_1 dst_unused:UNUSED_PAD src0_sel:BYTE_0 src1_sel:DWORD
	v_or_b32_sdwa v67, v62, v64 dst_sel:DWORD dst_unused:UNUSED_PAD src0_sel:BYTE_0 src1_sel:DWORD
	v_or_b32_sdwa v66, v67, v66 dst_sel:DWORD dst_unused:UNUSED_PAD src0_sel:WORD_0 src1_sel:DWORD
	v_lshlrev_b16_e32 v62, 8, v62
	v_lshrrev_b16_e32 v63, 5, v63
	v_bfe_i32 v63, v63, 0, 1
	v_lshlrev_b16_e32 v63, 8, v63
	s_waitcnt vmcnt(1)
	v_xor_b32_e32 v58, v58, v66
	v_and_b32_e32 v66, 0xffffff00, v58
	v_sub_i16 v64, v66, v64 clamp
	v_lshlrev_b16_e32 v66, 8, v58
	v_and_b32_e32 v64, 0xffffff00, v64
	v_sub_i16 v62, v66, v62 clamp
	v_or_b32_sdwa v62, v62, v64 dst_sel:DWORD dst_unused:UNUSED_PAD src0_sel:BYTE_1 src1_sel:DWORD
	v_and_b32_sdwa v64, v58, s33 dst_sel:DWORD dst_unused:UNUSED_PAD src0_sel:WORD_1 src1_sel:DWORD
	v_sub_i16 v61, v64, v61 clamp
	v_lshlrev_b16_sdwa v58, v34, v58 dst_sel:DWORD dst_unused:UNUSED_PAD src0_sel:DWORD src1_sel:WORD_1
	v_lshlrev_b16_e32 v64, 8, v65
	v_and_b32_e32 v61, 0xffffff00, v61
	v_sub_i16 v58, v58, v64 clamp
	v_or_b32_sdwa v58, v58, v61 dst_sel:WORD_1 dst_unused:UNUSED_PAD src0_sel:BYTE_1 src1_sel:DWORD
	v_and_b32_e32 v61, 0x80000000, v59
	v_cmp_ne_u16_sdwa s[34:35], v61, v9 src0_sel:BYTE_3 src1_sel:DWORD
	v_lshrrev_b32_e32 v59, 22, v59
	v_or_b32_sdwa v58, v62, v58 dst_sel:DWORD dst_unused:UNUSED_PAD src0_sel:WORD_0 src1_sel:DWORD
	v_cndmask_b32_e64 v61, 0, -1, s[34:35]
	v_bfe_i32 v62, v15, 11, 1
	v_bfe_i32 v59, v59, 0, 1
	v_lshlrev_b16_e32 v61, 8, v61
	v_or_b32_sdwa v64, v59, v61 dst_sel:WORD_1 dst_unused:UNUSED_PAD src0_sel:BYTE_0 src1_sel:DWORD
	v_or_b32_sdwa v65, v62, v63 dst_sel:DWORD dst_unused:UNUSED_PAD src0_sel:BYTE_0 src1_sel:DWORD
	v_or_b32_sdwa v64, v65, v64 dst_sel:DWORD dst_unused:UNUSED_PAD src0_sel:WORD_0 src1_sel:DWORD
	s_waitcnt vmcnt(0)
	v_xor_b32_e32 v20, v20, v64
	v_and_b32_e32 v64, 0xffffff00, v20
	v_sub_i16 v63, v64, v63 clamp
	v_lshlrev_b16_e32 v64, 8, v20
	v_lshlrev_b16_e32 v62, 8, v62
	v_and_b32_e32 v63, 0xffffff00, v63
	v_sub_i16 v62, v64, v62 clamp
	v_or_b32_sdwa v62, v62, v63 dst_sel:DWORD dst_unused:UNUSED_PAD src0_sel:BYTE_1 src1_sel:DWORD
	v_and_b32_sdwa v63, v20, s33 dst_sel:DWORD dst_unused:UNUSED_PAD src0_sel:WORD_1 src1_sel:DWORD
	v_sub_i16 v61, v63, v61 clamp
	v_lshlrev_b16_sdwa v20, v34, v20 dst_sel:DWORD dst_unused:UNUSED_PAD src0_sel:DWORD src1_sel:WORD_1
	v_lshlrev_b16_e32 v59, 8, v59
	v_and_b32_e32 v61, 0xffffff00, v61
	v_sub_i16 v20, v20, v59 clamp
	v_or_b32_sdwa v20, v20, v61 dst_sel:WORD_1 dst_unused:UNUSED_PAD src0_sel:BYTE_1 src1_sel:DWORD
	v_dot4c_i32_i8_e32 v60, v58, v7
	v_or_b32_sdwa v20, v62, v20 dst_sel:DWORD dst_unused:UNUSED_PAD src0_sel:WORD_0 src1_sel:DWORD
	v_dot4c_i32_i8_e32 v60, v20, v0
	v_lshlrev_b32_sdwa v20, v33, v21 dst_sel:DWORD dst_unused:UNUSED_PAD src0_sel:DWORD src1_sel:BYTE_0
	global_load_dword v20, v20, s[24:25]
	v_lshlrev_b32_sdwa v58, v33, v21 dst_sel:DWORD dst_unused:UNUSED_PAD src0_sel:DWORD src1_sel:BYTE_1
	global_load_dword v58, v58, s[24:25]
	v_bcnt_u32_b32 v59, v57, 0
	v_and_b32_e32 v59, 1, v59
	v_lshlrev_b32_e32 v59, 7, v59
	v_xor_b32_e32 v57, v59, v57
	v_mul_lo_u32 v57, v57, s31
	v_and_b32_e32 v59, 0x8000000, v57
	v_lshrrev_b32_e32 v62, 8, v57
	v_lshrrev_b16_e32 v63, 1, v62
	v_cmp_ne_u16_sdwa s[34:35], v59, v9 src0_sel:BYTE_3 src1_sel:DWORD
	v_bfe_i32 v63, v63, 0, 1
	v_lshrrev_b32_e32 v64, 18, v57
	v_cndmask_b32_e64 v59, 0, -1, s[34:35]
	v_bfe_i32 v61, v15, 14, 1
	v_bfe_i32 v64, v64, 0, 1
	v_lshlrev_b16_e32 v59, 8, v59
	v_lshlrev_b16_e32 v63, 8, v63
	v_or_b32_sdwa v65, v64, v59 dst_sel:WORD_1 dst_unused:UNUSED_PAD src0_sel:BYTE_0 src1_sel:DWORD
	v_or_b32_sdwa v66, v61, v63 dst_sel:DWORD dst_unused:UNUSED_PAD src0_sel:BYTE_0 src1_sel:DWORD
	v_or_b32_sdwa v65, v66, v65 dst_sel:DWORD dst_unused:UNUSED_PAD src0_sel:WORD_0 src1_sel:DWORD
	v_lshlrev_b16_e32 v61, 8, v61
	v_lshrrev_b16_e32 v62, 5, v62
	v_bfe_i32 v62, v62, 0, 1
	v_lshlrev_b16_e32 v62, 8, v62
	s_waitcnt vmcnt(1)
	v_xor_b32_e32 v20, v20, v65
	v_and_b32_e32 v65, 0xffffff00, v20
	v_sub_i16 v63, v65, v63 clamp
	v_lshlrev_b16_e32 v65, 8, v20
	v_and_b32_e32 v63, 0xffffff00, v63
	v_sub_i16 v61, v65, v61 clamp
	v_or_b32_sdwa v61, v61, v63 dst_sel:DWORD dst_unused:UNUSED_PAD src0_sel:BYTE_1 src1_sel:DWORD
	v_and_b32_sdwa v63, v20, s33 dst_sel:DWORD dst_unused:UNUSED_PAD src0_sel:WORD_1 src1_sel:DWORD
	v_sub_i16 v59, v63, v59 clamp
	v_lshlrev_b16_sdwa v20, v34, v20 dst_sel:DWORD dst_unused:UNUSED_PAD src0_sel:DWORD src1_sel:WORD_1
	v_lshlrev_b16_e32 v63, 8, v64
	v_and_b32_e32 v59, 0xffffff00, v59
	v_sub_i16 v20, v20, v63 clamp
	v_or_b32_sdwa v20, v20, v59 dst_sel:WORD_1 dst_unused:UNUSED_PAD src0_sel:BYTE_1 src1_sel:DWORD
	v_and_b32_e32 v59, 0x80000000, v57
	v_or_b32_sdwa v20, v61, v20 dst_sel:DWORD dst_unused:UNUSED_PAD src0_sel:WORD_0 src1_sel:DWORD
	v_dot4c_i32_i8_e32 v60, v20, v1
	v_lshlrev_b32_sdwa v20, v33, v21 dst_sel:DWORD dst_unused:UNUSED_PAD src0_sel:DWORD src1_sel:BYTE_2
	global_load_dword v20, v20, s[24:25]
	v_lshlrev_b32_sdwa v21, v33, v21 dst_sel:DWORD dst_unused:UNUSED_PAD src0_sel:DWORD src1_sel:BYTE_3
	global_load_dword v21, v21, s[24:25]
	v_cmp_ne_u16_sdwa s[34:35], v59, v9 src0_sel:BYTE_3 src1_sel:DWORD
	v_lshrrev_b32_e32 v57, 22, v57
	v_bfe_i32 v61, v56, 2, 1
	v_cndmask_b32_e64 v59, 0, -1, s[34:35]
	v_bfe_i32 v57, v57, 0, 1
	v_lshlrev_b16_e32 v59, 8, v59
	v_or_b32_sdwa v63, v57, v59 dst_sel:WORD_1 dst_unused:UNUSED_PAD src0_sel:BYTE_0 src1_sel:DWORD
	v_or_b32_sdwa v64, v61, v62 dst_sel:DWORD dst_unused:UNUSED_PAD src0_sel:BYTE_0 src1_sel:DWORD
	v_or_b32_sdwa v63, v64, v63 dst_sel:DWORD dst_unused:UNUSED_PAD src0_sel:WORD_0 src1_sel:DWORD
	s_waitcnt vmcnt(2)
	v_xor_b32_e32 v58, v58, v63
	v_and_b32_e32 v63, 0xffffff00, v58
	v_sub_i16 v62, v63, v62 clamp
	v_lshlrev_b16_e32 v63, 8, v58
	v_lshlrev_b16_e32 v61, 8, v61
	v_and_b32_e32 v62, 0xffffff00, v62
	v_sub_i16 v61, v63, v61 clamp
	v_or_b32_sdwa v61, v61, v62 dst_sel:DWORD dst_unused:UNUSED_PAD src0_sel:BYTE_1 src1_sel:DWORD
	v_and_b32_sdwa v62, v58, s33 dst_sel:DWORD dst_unused:UNUSED_PAD src0_sel:WORD_1 src1_sel:DWORD
	v_sub_i16 v59, v62, v59 clamp
	v_lshlrev_b16_sdwa v58, v34, v58 dst_sel:DWORD dst_unused:UNUSED_PAD src0_sel:DWORD src1_sel:WORD_1
	v_lshlrev_b16_e32 v57, 8, v57
	v_and_b32_e32 v59, 0xffffff00, v59
	v_sub_i16 v57, v58, v57 clamp
	v_or_b32_sdwa v57, v57, v59 dst_sel:WORD_1 dst_unused:UNUSED_PAD src0_sel:BYTE_1 src1_sel:DWORD
	v_bfe_i32 v59, v56, 5, 1
	v_or_b32_sdwa v57, v61, v57 dst_sel:DWORD dst_unused:UNUSED_PAD src0_sel:WORD_0 src1_sel:DWORD
	v_dot4c_i32_i8_e32 v60, v57, v2
	v_bfe_u32 v57, v15, 21, 8
	v_bcnt_u32_b32 v58, v57, 0
	v_and_b32_e32 v58, 1, v58
	v_lshlrev_b32_e32 v58, 7, v58
	v_xor_b32_e32 v57, v58, v57
	v_mul_lo_u32 v57, v57, s31
	v_and_b32_e32 v58, 0x8000000, v57
	v_lshrrev_b32_e32 v61, 8, v57
	v_lshrrev_b16_e32 v62, 1, v61
	v_cmp_ne_u16_sdwa s[24:25], v58, v9 src0_sel:BYTE_3 src1_sel:DWORD
	v_bfe_i32 v62, v62, 0, 1
	v_lshrrev_b32_e32 v63, 18, v57
	v_cndmask_b32_e64 v58, 0, -1, s[24:25]
	v_bfe_i32 v63, v63, 0, 1
	v_lshlrev_b16_e32 v58, 8, v58
	v_lshlrev_b16_e32 v62, 8, v62
	v_or_b32_sdwa v64, v63, v58 dst_sel:WORD_1 dst_unused:UNUSED_PAD src0_sel:BYTE_0 src1_sel:DWORD
	v_or_b32_sdwa v65, v59, v62 dst_sel:DWORD dst_unused:UNUSED_PAD src0_sel:BYTE_0 src1_sel:DWORD
	v_or_b32_sdwa v64, v65, v64 dst_sel:DWORD dst_unused:UNUSED_PAD src0_sel:WORD_0 src1_sel:DWORD
	v_lshlrev_b16_e32 v59, 8, v59
	v_bfe_i32 v56, v56, 9, 1
	v_lshrrev_b32_e32 v15, 28, v15
	s_waitcnt vmcnt(1)
	v_xor_b32_e32 v20, v20, v64
	v_and_b32_e32 v64, 0xffffff00, v20
	v_sub_i16 v62, v64, v62 clamp
	v_lshlrev_b16_e32 v64, 8, v20
	v_and_b32_e32 v62, 0xffffff00, v62
	v_sub_i16 v59, v64, v59 clamp
	v_or_b32_sdwa v59, v59, v62 dst_sel:DWORD dst_unused:UNUSED_PAD src0_sel:BYTE_1 src1_sel:DWORD
	v_and_b32_sdwa v62, v20, s33 dst_sel:DWORD dst_unused:UNUSED_PAD src0_sel:WORD_1 src1_sel:DWORD
	v_sub_i16 v58, v62, v58 clamp
	v_lshlrev_b16_sdwa v20, v34, v20 dst_sel:DWORD dst_unused:UNUSED_PAD src0_sel:DWORD src1_sel:WORD_1
	v_lshlrev_b16_e32 v62, 8, v63
	v_and_b32_e32 v58, 0xffffff00, v58
	v_sub_i16 v20, v20, v62 clamp
	v_or_b32_sdwa v20, v20, v58 dst_sel:WORD_1 dst_unused:UNUSED_PAD src0_sel:BYTE_1 src1_sel:DWORD
	v_and_b32_e32 v58, 0x80000000, v57
	v_or_b32_sdwa v20, v59, v20 dst_sel:DWORD dst_unused:UNUSED_PAD src0_sel:WORD_0 src1_sel:DWORD
	v_lshrrev_b16_e32 v59, 5, v61
	v_cmp_ne_u16_sdwa s[24:25], v58, v9 src0_sel:BYTE_3 src1_sel:DWORD
	v_bfe_i32 v59, v59, 0, 1
	v_lshrrev_b32_e32 v57, 22, v57
	v_cndmask_b32_e64 v58, 0, -1, s[24:25]
	v_bfe_i32 v57, v57, 0, 1
	v_lshlrev_b16_e32 v58, 8, v58
	v_lshlrev_b16_e32 v59, 8, v59
	v_or_b32_sdwa v61, v57, v58 dst_sel:WORD_1 dst_unused:UNUSED_PAD src0_sel:BYTE_0 src1_sel:DWORD
	v_or_b32_sdwa v62, v56, v59 dst_sel:DWORD dst_unused:UNUSED_PAD src0_sel:BYTE_0 src1_sel:DWORD
	v_or_b32_sdwa v61, v62, v61 dst_sel:DWORD dst_unused:UNUSED_PAD src0_sel:WORD_0 src1_sel:DWORD
	s_waitcnt vmcnt(0)
	v_xor_b32_e32 v21, v21, v61
	v_and_b32_e32 v61, 0xffffff00, v21
	v_sub_i16 v59, v61, v59 clamp
	v_lshlrev_b16_e32 v61, 8, v21
	v_lshlrev_b16_e32 v56, 8, v56
	v_and_b32_e32 v59, 0xffffff00, v59
	v_sub_i16 v56, v61, v56 clamp
	v_or_b32_sdwa v56, v56, v59 dst_sel:DWORD dst_unused:UNUSED_PAD src0_sel:BYTE_1 src1_sel:DWORD
	v_and_b32_sdwa v59, v21, s33 dst_sel:DWORD dst_unused:UNUSED_PAD src0_sel:WORD_1 src1_sel:DWORD
	v_sub_i16 v58, v59, v58 clamp
	v_lshlrev_b16_sdwa v21, v34, v21 dst_sel:DWORD dst_unused:UNUSED_PAD src0_sel:DWORD src1_sel:WORD_1
	v_lshlrev_b16_e32 v57, 8, v57
	v_and_b32_e32 v58, 0xffffff00, v58
	v_sub_i16 v21, v21, v57 clamp
	v_or_b32_sdwa v21, v21, v58 dst_sel:WORD_1 dst_unused:UNUSED_PAD src0_sel:BYTE_1 src1_sel:DWORD
	v_dot4c_i32_i8_e32 v60, v20, v3
	v_or_b32_sdwa v21, v56, v21 dst_sel:DWORD dst_unused:UNUSED_PAD src0_sel:WORD_0 src1_sel:DWORD
	v_dot4c_i32_i8_e32 v60, v21, v35
	s_nop 2
	v_lshrrev_b32_e32 v20, 31, v60
	v_add_u32_e32 v20, v60, v20
	v_ashrrev_i32_e32 v20, 1, v20
	v_mad_u64_u32 v[20:21], s[24:25], v60, v15, v[20:21]
	v_lshrrev_b32_e32 v15, 31, v20
	v_add_u32_e32 v15, v20, v15
	v_ashrrev_i32_e32 v15, 1, v15
	v_cvt_f32_i32_e32 v15, v15
	v_fmac_f32_e32 v30, v18, v15
	s_branch .LBB193_17
.LBB193_22:
	s_or_b64 exec, exec, s[12:13]
	ds_write2_b32 v26, v32, v29 offset1:1
	ds_write2_b32 v25, v31, v30 offset1:1
.LBB193_23:
	s_or_b64 exec, exec, s[0:1]
	s_load_dword s15, s[2:3], 0x30
	v_cmp_eq_u32_e64 s[0:1], 0, v27
	v_cmp_ne_u32_e32 vcc, 0, v27
	v_lshlrev_b32_e32 v0, 2, v22
	s_and_saveexec_b64 s[12:13], vcc
	s_cbranch_execz .LBB193_28
; %bb.24:
	v_add_u32_e32 v1, -1, v27
	v_lshl_or_b32 v1, v1, 9, v0
	s_mov_b64 s[16:17], -1
	s_and_b64 vcc, exec, s[22:23]
	ds_write_b32 v1, v32
	s_cbranch_vccz .LBB193_26
; %bb.25:
	ds_write_b32 v1, v29 offset:256
	s_mov_b64 s[16:17], 0
.LBB193_26:
	s_andn2_b64 vcc, exec, s[16:17]
	s_cbranch_vccnz .LBB193_28
; %bb.27:
	ds_write_b32 v1, v29 offset:256
	ds_write2st64_b32 v1, v31, v30 offset0:2 offset1:3
.LBB193_28:
	s_or_b64 exec, exec, s[12:13]
	s_waitcnt lgkmcnt(0)
	s_barrier
	s_and_saveexec_b64 s[12:13], s[0:1]
	s_cbranch_execz .LBB193_61
; %bb.29:
	ds_read_b32 v2, v0
	ds_read_b32 v3, v26
	s_and_b64 vcc, exec, s[10:11]
	s_cbranch_vccnz .LBB193_31
; %bb.30:
	ds_read_b32 v1, v0 offset:512
	ds_read_b32 v4, v25
	s_waitcnt lgkmcnt(0)
	v_add_f32_e32 v1, v1, v4
	ds_write_b32 v25, v1
.LBB193_31:
	v_mbcnt_lo_u32_b32 v1, -1, 0
	v_mbcnt_hi_u32_b32 v6, -1, v1
	v_and_b32_e32 v1, 64, v6
	v_add_u32_e32 v7, 64, v1
	v_xor_b32_e32 v1, 32, v6
	v_cmp_lt_i32_e32 vcc, v1, v7
	s_waitcnt lgkmcnt(0)
	v_add_f32_e32 v3, v2, v3
	v_xor_b32_e32 v2, 16, v6
	v_cndmask_b32_e32 v1, v6, v1, vcc
	v_lshlrev_b32_e32 v1, 2, v1
	ds_bpermute_b32 v4, v1, v3
	v_cmp_lt_i32_e32 vcc, v2, v7
	v_xor_b32_e32 v10, 1, v6
	s_waitcnt lgkmcnt(0)
	v_add_f32_e32 v4, v3, v4
	v_cndmask_b32_e32 v2, v6, v2, vcc
	v_lshlrev_b32_e32 v2, 2, v2
	ds_bpermute_b32 v5, v2, v4
	v_xor_b32_e32 v3, 8, v6
	v_cmp_lt_i32_e32 vcc, v3, v7
	s_waitcnt lgkmcnt(0)
	v_add_f32_e32 v5, v4, v5
	v_cndmask_b32_e32 v3, v6, v3, vcc
	v_lshlrev_b32_e32 v3, 2, v3
	ds_bpermute_b32 v8, v3, v5
	v_xor_b32_e32 v4, 4, v6
	v_cmp_lt_i32_e32 vcc, v4, v7
	;; [unrolled: 7-line block ×3, first 2 shown]
	s_waitcnt lgkmcnt(0)
	v_add_f32_e32 v8, v8, v9
	v_cndmask_b32_e32 v5, v6, v5, vcc
	v_lshlrev_b32_e32 v5, 2, v5
	ds_bpermute_b32 v9, v5, v8
	v_cmp_lt_i32_e32 vcc, v10, v7
	s_waitcnt lgkmcnt(0)
	v_add_f32_e32 v7, v8, v9
	v_cndmask_b32_e32 v6, v6, v10, vcc
	v_lshlrev_b32_e32 v6, 2, v6
	ds_bpermute_b32 v8, v6, v7
	s_and_b64 vcc, exec, s[10:11]
	s_waitcnt lgkmcnt(0)
	v_add_f32_e32 v7, v7, v8
	ds_write_b32 v26, v7
	s_cbranch_vccnz .LBB193_33
; %bb.32:
	ds_read_b32 v7, v25
	s_waitcnt lgkmcnt(0)
	ds_bpermute_b32 v8, v1, v7
	s_waitcnt lgkmcnt(0)
	v_add_f32_e32 v7, v7, v8
	ds_bpermute_b32 v8, v2, v7
	s_waitcnt lgkmcnt(0)
	v_add_f32_e32 v7, v7, v8
	;; [unrolled: 3-line block ×6, first 2 shown]
	ds_write_b32 v25, v7
.LBB193_33:
	ds_read_b32 v7, v0 offset:256
	ds_read_b32 v8, v26 offset:4
	s_and_b64 vcc, exec, s[10:11]
	s_cbranch_vccnz .LBB193_35
; %bb.34:
	ds_read_b32 v9, v0 offset:768
	ds_read_b32 v10, v25 offset:4
	s_waitcnt lgkmcnt(0)
	v_add_f32_e32 v9, v9, v10
	ds_write_b32 v25, v9 offset:4
.LBB193_35:
	s_waitcnt lgkmcnt(0)
	v_add_f32_e32 v7, v7, v8
	ds_bpermute_b32 v8, v1, v7
	s_and_b64 vcc, exec, s[10:11]
	s_waitcnt lgkmcnt(0)
	v_add_f32_e32 v7, v7, v8
	ds_bpermute_b32 v8, v2, v7
	s_waitcnt lgkmcnt(0)
	v_add_f32_e32 v7, v7, v8
	ds_bpermute_b32 v8, v3, v7
	;; [unrolled: 3-line block ×5, first 2 shown]
	s_waitcnt lgkmcnt(0)
	v_add_f32_e32 v7, v7, v8
	ds_write_b32 v26, v7 offset:4
	s_cbranch_vccnz .LBB193_37
; %bb.36:
	ds_read_b32 v7, v25 offset:4
	s_waitcnt lgkmcnt(0)
	ds_bpermute_b32 v1, v1, v7
	s_waitcnt lgkmcnt(0)
	v_add_f32_e32 v1, v7, v1
	ds_bpermute_b32 v2, v2, v1
	s_waitcnt lgkmcnt(0)
	v_add_f32_e32 v1, v1, v2
	;; [unrolled: 3-line block ×6, first 2 shown]
	ds_write_b32 v25, v1 offset:4
.LBB193_37:
	v_add_u32_e32 v1, s20, v22
	v_cmp_gt_u32_e32 vcc, 2, v22
	v_cmp_gt_u32_e64 s[0:1], s7, v1
	s_and_b64 s[0:1], vcc, s[0:1]
	s_and_b64 exec, exec, s[0:1]
	s_cbranch_execz .LBB193_61
; %bb.38:
	v_lshl_add_u32 v1, v22, 2, v26
	ds_read_b32 v1, v1
	s_and_b64 vcc, exec, s[10:11]
	s_waitcnt vmcnt(0) lgkmcnt(0)
	v_add_f32_e32 v2, v24, v1
	v_cndmask_b32_e64 v1, v2, v1, s[8:9]
	s_cbranch_vccnz .LBB193_60
; %bb.39:
	v_lshl_add_u32 v2, v22, 2, v25
	ds_read_b32 v2, v2
	s_cmp_lt_i32 s15, 2
	s_mov_b64 s[0:1], 0
	s_waitcnt lgkmcnt(0)
	v_add_f32_e32 v3, v23, v2
	v_cndmask_b32_e64 v2, v2, v3, s[4:5]
	s_cbranch_scc1 .LBB193_43
; %bb.40:
	s_cmp_gt_i32 s15, 2
	s_cbranch_scc0 .LBB193_44
; %bb.41:
	s_cmp_eq_u32 s15, 3
	s_cbranch_scc0 .LBB193_45
; %bb.42:
	v_max_f32_e32 v3, v2, v2
	v_min_f32_e32 v3, 0x40e00000, v3
	v_mul_f32_e32 v5, 0xbfd9db23, v3
	s_mov_b32 s4, 0x3fb8aa3b
	v_mul_f32_e32 v4, 0x3fb8aa3b, v5
	v_fma_f32 v6, v5, s4, -v4
	v_rndne_f32_e32 v7, v4
	v_fmamk_f32 v6, v5, 0x32a5705f, v6
	v_sub_f32_e32 v4, v4, v7
	v_add_f32_e32 v4, v4, v6
	v_exp_f32_e32 v6, v4
	v_cvt_i32_f32_e32 v7, v7
	s_mov_b32 s4, 0xc2ce8ed0
	v_max_f32_e32 v4, v1, v1
	v_cmp_ngt_f32_e32 vcc, s4, v5
	v_ldexp_f32 v6, v6, v7
	s_mov_b32 s4, 0x42b17218
	v_min_f32_e32 v4, 0x40e00000, v4
	v_cndmask_b32_e32 v6, 0, v6, vcc
	v_mov_b32_e32 v7, 0x7f800000
	v_cmp_nlt_f32_e32 vcc, s4, v5
	v_max_f32_e32 v4, 0xc0e00000, v4
	s_nop 0
	v_cndmask_b32_e32 v5, v7, v6, vcc
	v_pk_add_f32 v[4:5], v[4:5], 1.0 op_sel_hi:[1,0]
	s_nop 0
	v_div_scale_f32 v6, s[4:5], v5, v5, v3
	v_rcp_f32_e32 v7, v6
	s_mov_b64 s[4:5], 0
	v_fma_f32 v8, -v6, v7, 1.0
	v_fmac_f32_e32 v7, v8, v7
	v_div_scale_f32 v8, vcc, v3, v5, v3
	v_mul_f32_e32 v9, v8, v7
	v_fma_f32 v10, -v6, v9, v8
	v_fmac_f32_e32 v9, v10, v7
	v_fma_f32 v6, -v6, v9, v8
	v_div_fmas_f32 v6, v6, v7, v9
	v_div_fixup_f32 v3, v6, v5, v3
	v_mul_f32_e32 v3, v4, v3
	s_branch .LBB193_46
.LBB193_43:
                                        ; implicit-def: $vgpr3
	s_mov_b64 s[4:5], 0
	s_cbranch_execnz .LBB193_50
	s_branch .LBB193_51
.LBB193_44:
	s_mov_b64 s[8:9], -1
	s_mov_b64 s[4:5], 0
                                        ; implicit-def: $vgpr3
	s_branch .LBB193_47
.LBB193_45:
	s_mov_b64 s[4:5], -1
                                        ; implicit-def: $vgpr3
.LBB193_46:
	s_mov_b64 s[8:9], 0
.LBB193_47:
	s_and_b64 vcc, exec, s[8:9]
	s_cbranch_vccz .LBB193_49
; %bb.48:
	v_mul_f32_e32 v3, 0xbfb8aa3b, v2
	s_mov_b32 s7, 0xbfb8aa3b
	v_rndne_f32_e32 v4, v3
	v_sub_f32_e32 v5, v3, v4
	v_fma_f32 v3, v2, s7, -v3
	v_fmamk_f32 v3, v2, 0xb2a5705f, v3
	v_add_f32_e32 v3, v5, v3
	v_exp_f32_e32 v3, v3
	v_cvt_i32_f32_e32 v4, v4
	s_mov_b32 s7, 0x42ce8ed0
	v_cmp_nlt_f32_e32 vcc, s7, v2
	s_mov_b32 s7, 0xc2b17218
	v_ldexp_f32 v3, v3, v4
	v_cndmask_b32_e32 v3, 0, v3, vcc
	v_mov_b32_e32 v4, 0x7f800000
	v_cmp_ngt_f32_e32 vcc, s7, v2
	s_nop 1
	v_cndmask_b32_e32 v3, v4, v3, vcc
	v_add_f32_e32 v3, 1.0, v3
	v_div_scale_f32 v4, s[8:9], v3, v3, v2
	v_rcp_f32_e32 v5, v4
	s_nop 0
	v_fma_f32 v6, -v4, v5, 1.0
	v_fmac_f32_e32 v5, v6, v5
	v_div_scale_f32 v6, vcc, v2, v3, v2
	v_mul_f32_e32 v7, v6, v5
	v_fma_f32 v8, -v4, v7, v6
	v_fmac_f32_e32 v7, v8, v5
	v_fma_f32 v4, -v4, v7, v6
	v_div_fmas_f32 v4, v4, v5, v7
	v_div_fixup_f32 v3, v4, v3, v2
	v_mul_f32_e32 v3, v1, v3
.LBB193_49:
	s_branch .LBB193_51
.LBB193_50:
	s_cmp_lg_u32 s15, 1
	s_mov_b64 s[0:1], -1
	s_cselect_b64 s[4:5], -1, 0
                                        ; implicit-def: $vgpr3
.LBB193_51:
	s_andn2_b64 vcc, exec, s[4:5]
	s_cbranch_vccz .LBB193_53
; %bb.52:
	s_andn2_b64 vcc, exec, s[0:1]
	s_cbranch_vccz .LBB193_54
	s_branch .LBB193_59
.LBB193_53:
	v_mul_f32_e32 v3, v1, v2
	s_cbranch_execnz .LBB193_59
.LBB193_54:
	v_mul_f32_e32 v4, 0x3d372713, v2
	v_mul_f32_e32 v3, 0x3f4c422a, v2
	v_fma_f32 v4, v2, v4, 1.0
	v_mul_f32_e32 v3, v3, v4
	s_mov_b32 s0, 0x3f200000
	v_cmp_nlt_f32_e64 s[0:1], |v3|, s0
                                        ; implicit-def: $vgpr4
	s_and_saveexec_b64 s[4:5], s[0:1]
	s_xor_b64 s[0:1], exec, s[4:5]
	s_cbranch_execz .LBB193_56
; %bb.55:
	v_add_f32_e64 v4, |v3|, |v3|
	v_mul_f32_e32 v5, 0x3fb8aa3b, v4
	s_mov_b32 s4, 0x3fb8aa3b
	v_rndne_f32_e32 v6, v5
	v_sub_f32_e32 v7, v5, v6
	v_fma_f32 v5, v4, s4, -v5
	v_fmamk_f32 v5, v4, 0x32a5705f, v5
	v_add_f32_e32 v5, v7, v5
	v_exp_f32_e32 v5, v5
	v_cvt_i32_f32_e32 v6, v6
	s_mov_b32 s4, 0xc2ce8ed0
	v_cmp_ngt_f32_e32 vcc, s4, v4
	s_mov_b32 s4, 0x42b17218
	v_ldexp_f32 v5, v5, v6
	v_cndmask_b32_e32 v5, 0, v5, vcc
	v_mov_b32_e32 v6, 0x7f800000
	v_cmp_nlt_f32_e32 vcc, s4, v4
	s_nop 1
	v_cndmask_b32_e32 v4, v6, v5, vcc
	v_add_f32_e32 v4, 1.0, v4
	v_rcp_f32_e32 v4, v4
	s_nop 0
	v_fma_f32 v4, v4, -2.0, 1.0
.LBB193_56:
	s_andn2_saveexec_b64 s[0:1], s[0:1]
; %bb.57:
	v_mul_f32_e32 v4, v3, v3
	v_mov_b32_e32 v5, 0x3ca908c9
	v_fmac_f32_e32 v5, 0xbbbac73d, v4
	v_fmaak_f32 v5, v4, v5, 0xbd5c1c4e
	v_fmaak_f32 v5, v4, v5, 0x3e088382
	;; [unrolled: 1-line block ×3, first 2 shown]
	v_mul_f32_e64 v5, |v3|, v5
	v_fma_f32 v4, v4, v5, |v3|
; %bb.58:
	s_or_b64 exec, exec, s[0:1]
	s_brev_b32 s0, -2
	v_bfi_b32 v3, s0, v4, v3
	v_mul_f32_e32 v2, 0.5, v2
	v_add_f32_e32 v3, 1.0, v3
	v_mul_f32_e32 v2, v2, v3
	v_mul_f32_e32 v3, v1, v2
.LBB193_59:
	v_mov_b32_e32 v1, v3
.LBB193_60:
	s_load_dwordx2 s[0:1], s[2:3], 0x38
	s_mul_i32 s4, s14, s26
	s_mul_i32 s6, s6, s30
	s_add_i32 s2, s4, s20
	s_add_i32 s2, s2, s6
	s_mov_b32 s3, 0
	s_lshl_b64 s[2:3], s[2:3], 2
	s_waitcnt lgkmcnt(0)
	s_add_u32 s0, s0, s2
	s_addc_u32 s1, s1, s3
	global_store_dword v0, v1, s[0:1]
.LBB193_61:
	s_endpgm
	.section	.rodata,"a",@progbits
	.p2align	6, 0x0
	.amdhsa_kernel _ZL13mul_mat_vec_qIL9ggml_type18ELi1ELb1ELb1EEvPKvS2_PKi31ggml_cuda_mm_fusion_args_devicePfj15HIP_vector_typeIjLj3EEjjjS8_jjjS8_jjjj
		.amdhsa_group_segment_fixed_size 3072
		.amdhsa_private_segment_fixed_size 0
		.amdhsa_kernarg_size 144
		.amdhsa_user_sgpr_count 4
		.amdhsa_user_sgpr_dispatch_ptr 1
		.amdhsa_user_sgpr_queue_ptr 0
		.amdhsa_user_sgpr_kernarg_segment_ptr 1
		.amdhsa_user_sgpr_dispatch_id 0
		.amdhsa_user_sgpr_kernarg_preload_length 0
		.amdhsa_user_sgpr_kernarg_preload_offset 0
		.amdhsa_user_sgpr_private_segment_size 0
		.amdhsa_uses_dynamic_stack 0
		.amdhsa_enable_private_segment 0
		.amdhsa_system_sgpr_workgroup_id_x 1
		.amdhsa_system_sgpr_workgroup_id_y 1
		.amdhsa_system_sgpr_workgroup_id_z 1
		.amdhsa_system_sgpr_workgroup_info 0
		.amdhsa_system_vgpr_workitem_id 2
		.amdhsa_next_free_vgpr 68
		.amdhsa_next_free_sgpr 46
		.amdhsa_accum_offset 68
		.amdhsa_reserve_vcc 1
		.amdhsa_float_round_mode_32 0
		.amdhsa_float_round_mode_16_64 0
		.amdhsa_float_denorm_mode_32 3
		.amdhsa_float_denorm_mode_16_64 3
		.amdhsa_dx10_clamp 1
		.amdhsa_ieee_mode 1
		.amdhsa_fp16_overflow 0
		.amdhsa_tg_split 0
		.amdhsa_exception_fp_ieee_invalid_op 0
		.amdhsa_exception_fp_denorm_src 0
		.amdhsa_exception_fp_ieee_div_zero 0
		.amdhsa_exception_fp_ieee_overflow 0
		.amdhsa_exception_fp_ieee_underflow 0
		.amdhsa_exception_fp_ieee_inexact 0
		.amdhsa_exception_int_div_zero 0
	.end_amdhsa_kernel
	.section	.text._ZL13mul_mat_vec_qIL9ggml_type18ELi1ELb1ELb1EEvPKvS2_PKi31ggml_cuda_mm_fusion_args_devicePfj15HIP_vector_typeIjLj3EEjjjS8_jjjS8_jjjj,"axG",@progbits,_ZL13mul_mat_vec_qIL9ggml_type18ELi1ELb1ELb1EEvPKvS2_PKi31ggml_cuda_mm_fusion_args_devicePfj15HIP_vector_typeIjLj3EEjjjS8_jjjS8_jjjj,comdat
.Lfunc_end193:
	.size	_ZL13mul_mat_vec_qIL9ggml_type18ELi1ELb1ELb1EEvPKvS2_PKi31ggml_cuda_mm_fusion_args_devicePfj15HIP_vector_typeIjLj3EEjjjS8_jjjS8_jjjj, .Lfunc_end193-_ZL13mul_mat_vec_qIL9ggml_type18ELi1ELb1ELb1EEvPKvS2_PKi31ggml_cuda_mm_fusion_args_devicePfj15HIP_vector_typeIjLj3EEjjjS8_jjjS8_jjjj
                                        ; -- End function
	.section	.AMDGPU.csdata,"",@progbits
; Kernel info:
; codeLenInByte = 11188
; NumSgprs: 52
; NumVgprs: 68
; NumAgprs: 0
; TotalNumVgprs: 68
; ScratchSize: 0
; MemoryBound: 0
; FloatMode: 240
; IeeeMode: 1
; LDSByteSize: 3072 bytes/workgroup (compile time only)
; SGPRBlocks: 6
; VGPRBlocks: 8
; NumSGPRsForWavesPerEU: 52
; NumVGPRsForWavesPerEU: 68
; AccumOffset: 68
; Occupancy: 7
; WaveLimiterHint : 0
; COMPUTE_PGM_RSRC2:SCRATCH_EN: 0
; COMPUTE_PGM_RSRC2:USER_SGPR: 4
; COMPUTE_PGM_RSRC2:TRAP_HANDLER: 0
; COMPUTE_PGM_RSRC2:TGID_X_EN: 1
; COMPUTE_PGM_RSRC2:TGID_Y_EN: 1
; COMPUTE_PGM_RSRC2:TGID_Z_EN: 1
; COMPUTE_PGM_RSRC2:TIDIG_COMP_CNT: 2
; COMPUTE_PGM_RSRC3_GFX90A:ACCUM_OFFSET: 16
; COMPUTE_PGM_RSRC3_GFX90A:TG_SPLIT: 0
	.section	.text._ZL13mul_mat_vec_qIL9ggml_type18ELi1ELb0ELb1EEvPKvS2_PKi31ggml_cuda_mm_fusion_args_devicePfj15HIP_vector_typeIjLj3EEjjjS8_jjjS8_jjjj,"axG",@progbits,_ZL13mul_mat_vec_qIL9ggml_type18ELi1ELb0ELb1EEvPKvS2_PKi31ggml_cuda_mm_fusion_args_devicePfj15HIP_vector_typeIjLj3EEjjjS8_jjjS8_jjjj,comdat
	.globl	_ZL13mul_mat_vec_qIL9ggml_type18ELi1ELb0ELb1EEvPKvS2_PKi31ggml_cuda_mm_fusion_args_devicePfj15HIP_vector_typeIjLj3EEjjjS8_jjjS8_jjjj ; -- Begin function _ZL13mul_mat_vec_qIL9ggml_type18ELi1ELb0ELb1EEvPKvS2_PKi31ggml_cuda_mm_fusion_args_devicePfj15HIP_vector_typeIjLj3EEjjjS8_jjjS8_jjjj
	.p2align	8
	.type	_ZL13mul_mat_vec_qIL9ggml_type18ELi1ELb0ELb1EEvPKvS2_PKi31ggml_cuda_mm_fusion_args_devicePfj15HIP_vector_typeIjLj3EEjjjS8_jjjS8_jjjj,@function
_ZL13mul_mat_vec_qIL9ggml_type18ELi1ELb0ELb1EEvPKvS2_PKi31ggml_cuda_mm_fusion_args_devicePfj15HIP_vector_typeIjLj3EEjjjS8_jjjS8_jjjj: ; @_ZL13mul_mat_vec_qIL9ggml_type18ELi1ELb0ELb1EEvPKvS2_PKi31ggml_cuda_mm_fusion_args_devicePfj15HIP_vector_typeIjLj3EEjjjS8_jjjS8_jjjj
; %bb.0:
	s_load_dwordx2 s[8:9], s[2:3], 0x10
	s_load_dwordx4 s[16:19], s[2:3], 0x40
	s_mov_b32 s20, s5
	s_mov_b64 s[14:15], 0
	s_waitcnt lgkmcnt(0)
	s_cmp_lg_u64 s[8:9], 0
	s_cselect_b64 s[12:13], -1, 0
	s_cmp_eq_u64 s[8:9], 0
	s_cbranch_scc1 .LBB194_5
; %bb.1:
	s_mov_b32 s21, 0
	s_lshl_b64 s[10:11], s[20:21], 2
	s_add_u32 s8, s8, s10
	s_addc_u32 s9, s9, s11
	s_load_dword s21, s[8:9], 0x0
	s_nop 0
	s_load_dwordx4 s[8:11], s[2:3], 0x68
	s_load_dword s5, s[2:3], 0x50
	s_andn2_b64 vcc, exec, s[14:15]
	s_cbranch_vccnz .LBB194_3
.LBB194_2:
	s_load_dwordx2 s[14:15], s[2:3], 0x5c
	s_waitcnt lgkmcnt(0)
	s_mul_hi_u32 s7, s14, s20
	s_add_i32 s7, s20, s7
	s_lshr_b32 s21, s7, s15
.LBB194_3:
	s_load_dword s22, s[2:3], 0x78
	s_andn2_b64 vcc, exec, s[12:13]
	s_cbranch_vccnz .LBB194_6
; %bb.4:
	s_mul_hi_u32 s7, s17, s20
	s_add_i32 s7, s20, s7
	s_lshr_b32 s7, s7, s18
	s_mul_i32 s7, s7, s19
	s_sub_i32 s17, s20, s7
	s_branch .LBB194_7
.LBB194_5:
                                        ; implicit-def: $sgpr21
	s_load_dwordx4 s[8:11], s[2:3], 0x68
	s_load_dword s5, s[2:3], 0x50
	s_branch .LBB194_2
.LBB194_6:
	s_mov_b32 s17, s20
.LBB194_7:
	s_load_dwordx2 s[18:19], s[0:1], 0x4
	s_load_dwordx4 s[12:15], s[2:3], 0x80
	v_bfe_u32 v20, v0, 10, 10
	v_and_b32_e32 v19, 0x3ff, v0
	v_bfe_u32 v0, v0, 20, 10
	s_waitcnt lgkmcnt(0)
	s_lshr_b32 s0, s18, 16
	v_mul_u32_u24_e32 v1, s19, v20
	s_mul_i32 s0, s0, s19
	v_mad_u32_u24 v1, s0, v19, v1
	v_add_lshl_u32 v1, v1, v0, 3
	v_lshl_add_u32 v0, v20, 6, v19
	s_lshr_b32 s15, s16, 8
	v_lshrrev_b32_e32 v21, 3, v0
	v_add_u32_e32 v18, 0x200, v1
	s_lshl_b32 s7, s4, 1
	v_mov_b32_e32 v11, 0
	v_cmp_gt_u32_e32 vcc, s15, v21
	v_mov_b32_e32 v10, 0
	ds_write2_b32 v1, v11, v11 offset0:128 offset1:129
	s_and_saveexec_b64 s[0:1], vcc
	s_cbranch_execz .LBB194_11
; %bb.8:
	s_mul_i32 s4, s17, s9
	s_mul_hi_u32 s9, s11, s6
	s_add_i32 s9, s6, s9
	s_lshr_b32 s9, s9, s22
	s_mul_i32 s8, s21, s8
	s_mul_i32 s9, s9, s12
	s_add_i32 s16, s9, s8
	s_add_i32 s8, s7, 1
	s_mul_i32 s11, s7, s5
	s_mul_i32 s5, s5, s8
	s_load_dwordx4 s[24:27], s[2:3], 0x0
	v_lshlrev_b32_e32 v1, 1, v19
	s_add_i32 s11, s16, s11
	s_add_i32 s16, s16, s5
	s_mul_hi_u32 s5, s4, 36
	s_mul_i32 s4, s4, 36
	v_and_b32_e32 v2, 14, v1
	v_lshrrev_b32_e32 v5, 3, v0
	v_mov_b32_e32 v0, s4
	v_mov_b32_e32 v1, s5
	s_movk_i32 s4, 0x120
	s_mul_i32 s13, s6, s13
	v_mad_u64_u32 v[0:1], s[4:5], v5, s4, v[0:1]
	v_and_b32_e32 v3, 7, v19
	v_mad_u64_u32 v[0:1], s[4:5], s13, 36, v[0:1]
	v_mad_u64_u32 v[0:1], s[4:5], v3, 36, v[0:1]
	v_lshlrev_b32_e32 v4, 1, v2
	v_mov_b32_e32 v9, 0
	s_waitcnt lgkmcnt(0)
	v_lshl_add_u64 v[0:1], v[0:1], 0, s[26:27]
	v_lshl_add_u64 v[12:13], v[0:1], 0, 16
	s_mov_b64 s[4:5], 0
	s_movk_i32 s17, 0x62
	v_mov_b64_e32 v[14:15], s[24:25]
	v_lshlrev_b32_e32 v8, 1, v2
	v_lshlrev_b32_e32 v16, 1, v4
	s_mov_b32 s18, 0x1010101
	s_mov_b32 s19, 0xffff
	s_movk_i32 s21, 0xff00
	s_mov_b64 s[8:9], 0x1200
	v_mov_b32_e32 v17, v9
	v_mov_b32_e32 v22, 2
	;; [unrolled: 1-line block ×5, first 2 shown]
.LBB194_9:                              ; =>This Inner Loop Header: Depth=1
	v_add_u32_e32 v25, s11, v21
	v_mad_i64_i32 v[28:29], s[12:13], v25, s17, v[14:15]
	v_lshl_add_u64 v[32:33], v[28:29], 0, v[16:17]
	global_load_dword v24, v[12:13], off offset:16
	global_load_dwordx4 v[0:3], v[12:13], off
	global_load_dwordx4 v[4:7], v[12:13], off offset:-16
	v_lshl_add_u64 v[30:31], v[28:29], 0, v[8:9]
	global_load_dwordx2 v[34:35], v[32:33], off offset:2
	global_load_dword v26, v[30:31], off offset:66
	s_getpc_b64 s[12:13]
	s_add_u32 s12, s12, _ZL11iq3xxs_grid@rel32@lo+4
	s_addc_u32 s13, s13, _ZL11iq3xxs_grid@rel32@hi+12
	v_lshl_add_u64 v[12:13], v[12:13], 0, s[8:9]
	s_waitcnt vmcnt(2)
	v_cvt_f32_f16_e32 v4, v4
	s_waitcnt vmcnt(1)
	v_lshlrev_b32_sdwa v25, v22, v34 dst_sel:DWORD dst_unused:UNUSED_PAD src0_sel:DWORD src1_sel:BYTE_0
	global_load_dword v25, v25, s[12:13]
	v_lshlrev_b32_sdwa v27, v22, v34 dst_sel:DWORD dst_unused:UNUSED_PAD src0_sel:DWORD src1_sel:BYTE_1
	global_load_dword v27, v27, s[12:13]
	s_waitcnt vmcnt(2)
	v_and_b32_e32 v30, 0xff, v26
	v_bcnt_u32_b32 v31, v30, 0
	v_and_b32_e32 v31, 1, v31
	v_lshlrev_b32_e32 v31, 7, v31
	v_xor_b32_e32 v30, v31, v30
	v_mul_lo_u32 v30, v30, s18
	v_and_b32_e32 v31, 0x8000000, v30
	v_lshrrev_b32_e32 v33, 8, v30
	v_lshrrev_b16_e32 v36, 1, v33
	v_cmp_ne_u16_sdwa s[22:23], v31, v9 src0_sel:BYTE_3 src1_sel:DWORD
	v_and_b32_e32 v32, 1, v26
	v_bfe_i32 v36, v36, 0, 1
	v_lshrrev_b32_e32 v37, 18, v30
	v_cndmask_b32_e64 v31, 0, -1, s[22:23]
	v_sub_u16_e32 v32, 0, v32
	v_bfe_i32 v37, v37, 0, 1
	v_lshlrev_b16_e32 v31, 8, v31
	v_lshlrev_b16_e32 v36, 8, v36
	v_or_b32_sdwa v38, v37, v31 dst_sel:WORD_1 dst_unused:UNUSED_PAD src0_sel:BYTE_0 src1_sel:DWORD
	v_or_b32_sdwa v39, v32, v36 dst_sel:DWORD dst_unused:UNUSED_PAD src0_sel:BYTE_0 src1_sel:DWORD
	v_or_b32_sdwa v38, v39, v38 dst_sel:DWORD dst_unused:UNUSED_PAD src0_sel:WORD_0 src1_sel:DWORD
	v_lshlrev_b16_e32 v32, 8, v32
	v_lshrrev_b16_e32 v33, 5, v33
	v_bfe_i32 v33, v33, 0, 1
	v_lshlrev_b16_e32 v33, 8, v33
	v_bfe_i32 v46, v26, 7, 1
	v_bfe_i32 v49, v26, 14, 1
	s_waitcnt vmcnt(1)
	v_xor_b32_e32 v25, v25, v38
	v_and_b32_e32 v38, 0xffffff00, v25
	v_sub_i16 v36, v38, v36 clamp
	v_lshlrev_b16_e32 v38, 8, v25
	v_and_b32_e32 v36, 0xffffff00, v36
	v_sub_i16 v32, v38, v32 clamp
	v_or_b32_sdwa v32, v32, v36 dst_sel:DWORD dst_unused:UNUSED_PAD src0_sel:BYTE_1 src1_sel:DWORD
	v_and_b32_sdwa v36, v25, s21 dst_sel:DWORD dst_unused:UNUSED_PAD src0_sel:WORD_1 src1_sel:DWORD
	v_sub_i16 v31, v36, v31 clamp
	v_lshlrev_b16_sdwa v25, v23, v25 dst_sel:DWORD dst_unused:UNUSED_PAD src0_sel:DWORD src1_sel:WORD_1
	v_lshlrev_b16_e32 v36, 8, v37
	v_and_b32_e32 v31, 0xffffff00, v31
	v_sub_i16 v25, v25, v36 clamp
	v_or_b32_sdwa v25, v25, v31 dst_sel:WORD_1 dst_unused:UNUSED_PAD src0_sel:BYTE_1 src1_sel:DWORD
	v_and_b32_e32 v31, 0x80000000, v30
	v_cmp_ne_u16_sdwa s[22:23], v31, v9 src0_sel:BYTE_3 src1_sel:DWORD
	v_lshrrev_b32_e32 v30, 22, v30
	v_or_b32_sdwa v25, v32, v25 dst_sel:DWORD dst_unused:UNUSED_PAD src0_sel:WORD_0 src1_sel:DWORD
	v_cndmask_b32_e64 v31, 0, -1, s[22:23]
	v_bfe_i32 v32, v26, 4, 1
	v_bfe_i32 v30, v30, 0, 1
	v_lshlrev_b16_e32 v31, 8, v31
	v_or_b32_sdwa v36, v30, v31 dst_sel:WORD_1 dst_unused:UNUSED_PAD src0_sel:BYTE_0 src1_sel:DWORD
	v_or_b32_sdwa v37, v32, v33 dst_sel:DWORD dst_unused:UNUSED_PAD src0_sel:BYTE_0 src1_sel:DWORD
	v_or_b32_sdwa v36, v37, v36 dst_sel:DWORD dst_unused:UNUSED_PAD src0_sel:WORD_0 src1_sel:DWORD
	s_waitcnt vmcnt(0)
	v_xor_b32_e32 v27, v27, v36
	v_and_b32_e32 v36, 0xffffff00, v27
	v_sub_i16 v33, v36, v33 clamp
	v_lshlrev_b16_e32 v36, 8, v27
	v_lshlrev_b16_e32 v32, 8, v32
	v_and_b32_e32 v33, 0xffffff00, v33
	v_sub_i16 v32, v36, v32 clamp
	v_or_b32_sdwa v32, v32, v33 dst_sel:DWORD dst_unused:UNUSED_PAD src0_sel:BYTE_1 src1_sel:DWORD
	v_and_b32_sdwa v33, v27, s21 dst_sel:DWORD dst_unused:UNUSED_PAD src0_sel:WORD_1 src1_sel:DWORD
	v_sub_i16 v31, v33, v31 clamp
	v_lshlrev_b16_sdwa v27, v23, v27 dst_sel:DWORD dst_unused:UNUSED_PAD src0_sel:DWORD src1_sel:WORD_1
	v_lshlrev_b16_e32 v30, 8, v30
	v_and_b32_e32 v31, 0xffffff00, v31
	v_sub_i16 v27, v27, v30 clamp
	v_or_b32_sdwa v27, v27, v31 dst_sel:WORD_1 dst_unused:UNUSED_PAD src0_sel:BYTE_1 src1_sel:DWORD
	s_nop 0
	v_or_b32_sdwa v30, v32, v27 dst_sel:DWORD dst_unused:UNUSED_PAD src0_sel:WORD_0 src1_sel:DWORD
	v_mov_b32_e32 v27, 0
	v_dot4c_i32_i8_e32 v27, v25, v5
	v_lshlrev_b32_sdwa v25, v22, v34 dst_sel:DWORD dst_unused:UNUSED_PAD src0_sel:DWORD src1_sel:BYTE_2
	global_load_dword v44, v25, s[12:13]
	v_lshlrev_b32_sdwa v25, v22, v34 dst_sel:DWORD dst_unused:UNUSED_PAD src0_sel:DWORD src1_sel:BYTE_3
	global_load_dword v45, v25, s[12:13]
	v_lshlrev_b32_sdwa v25, v22, v35 dst_sel:DWORD dst_unused:UNUSED_PAD src0_sel:DWORD src1_sel:BYTE_0
	global_load_dword v47, v25, s[12:13]
	v_lshlrev_b32_sdwa v25, v22, v35 dst_sel:DWORD dst_unused:UNUSED_PAD src0_sel:DWORD src1_sel:BYTE_1
	v_dot4c_i32_i8_e32 v27, v30, v6
	global_load_dword v48, v25, s[12:13]
	v_lshlrev_b32_sdwa v25, v22, v35 dst_sel:DWORD dst_unused:UNUSED_PAD src0_sel:DWORD src1_sel:BYTE_2
	v_lshlrev_b32_sdwa v30, v22, v35 dst_sel:DWORD dst_unused:UNUSED_PAD src0_sel:DWORD src1_sel:BYTE_3
	global_load_dword v36, v25, s[12:13]
	global_load_dword v33, v30, s[12:13]
	s_nop 0
	global_load_ushort v25, v[28:29], off
	v_add_u32_e32 v28, s16, v21
	v_mad_i64_i32 v[40:41], s[22:23], v28, s17, v[14:15]
	v_lshl_add_u64 v[34:35], v[40:41], 0, v[16:17]
	v_lshl_add_u64 v[30:31], v[40:41], 0, v[8:9]
	global_load_dwordx2 v[42:43], v[34:35], off offset:2
	global_load_dword v28, v[30:31], off offset:66
	v_add_u32_e32 v21, 16, v21
	v_cmp_le_u32_e32 vcc, s15, v21
	s_or_b64 s[4:5], vcc, s[4:5]
	s_waitcnt vmcnt(1)
	v_lshlrev_b32_sdwa v29, v22, v42 dst_sel:DWORD dst_unused:UNUSED_PAD src0_sel:DWORD src1_sel:BYTE_0
	global_load_dword v29, v29, s[12:13]
	v_lshlrev_b32_sdwa v30, v22, v42 dst_sel:DWORD dst_unused:UNUSED_PAD src0_sel:DWORD src1_sel:BYTE_1
	global_load_dword v30, v30, s[12:13]
	s_waitcnt vmcnt(2)
	v_and_b32_e32 v31, 0xff, v28
	v_bcnt_u32_b32 v32, v31, 0
	v_and_b32_e32 v32, 1, v32
	v_lshlrev_b32_e32 v32, 7, v32
	v_xor_b32_e32 v31, v32, v31
	v_mul_lo_u32 v31, v31, s18
	v_and_b32_e32 v32, 0x8000000, v31
	v_lshrrev_b32_e32 v35, 8, v31
	v_lshrrev_b16_e32 v37, 1, v35
	v_cmp_ne_u16_sdwa s[22:23], v32, v9 src0_sel:BYTE_3 src1_sel:DWORD
	v_and_b32_e32 v34, 1, v28
	v_bfe_i32 v37, v37, 0, 1
	v_lshrrev_b32_e32 v38, 18, v31
	v_cndmask_b32_e64 v32, 0, -1, s[22:23]
	v_sub_u16_e32 v34, 0, v34
	v_bfe_i32 v38, v38, 0, 1
	v_lshlrev_b16_e32 v32, 8, v32
	v_lshlrev_b16_e32 v37, 8, v37
	v_or_b32_sdwa v39, v38, v32 dst_sel:WORD_1 dst_unused:UNUSED_PAD src0_sel:BYTE_0 src1_sel:DWORD
	v_or_b32_sdwa v50, v34, v37 dst_sel:DWORD dst_unused:UNUSED_PAD src0_sel:BYTE_0 src1_sel:DWORD
	v_or_b32_sdwa v39, v50, v39 dst_sel:DWORD dst_unused:UNUSED_PAD src0_sel:WORD_0 src1_sel:DWORD
	v_lshlrev_b16_e32 v34, 8, v34
	v_lshrrev_b16_e32 v35, 5, v35
	v_bfe_i32 v35, v35, 0, 1
	v_lshlrev_b16_e32 v35, 8, v35
	s_waitcnt vmcnt(1)
	v_xor_b32_e32 v29, v29, v39
	v_and_b32_e32 v39, 0xffffff00, v29
	v_sub_i16 v37, v39, v37 clamp
	v_lshlrev_b16_e32 v39, 8, v29
	v_and_b32_e32 v37, 0xffffff00, v37
	v_sub_i16 v34, v39, v34 clamp
	v_or_b32_sdwa v34, v34, v37 dst_sel:DWORD dst_unused:UNUSED_PAD src0_sel:BYTE_1 src1_sel:DWORD
	v_and_b32_sdwa v37, v29, s21 dst_sel:DWORD dst_unused:UNUSED_PAD src0_sel:WORD_1 src1_sel:DWORD
	v_sub_i16 v32, v37, v32 clamp
	v_lshlrev_b16_sdwa v29, v23, v29 dst_sel:DWORD dst_unused:UNUSED_PAD src0_sel:DWORD src1_sel:WORD_1
	v_lshlrev_b16_e32 v37, 8, v38
	v_and_b32_e32 v32, 0xffffff00, v32
	v_sub_i16 v29, v29, v37 clamp
	v_or_b32_sdwa v29, v29, v32 dst_sel:WORD_1 dst_unused:UNUSED_PAD src0_sel:BYTE_1 src1_sel:DWORD
	s_nop 0
	v_or_b32_sdwa v32, v34, v29 dst_sel:DWORD dst_unused:UNUSED_PAD src0_sel:WORD_0 src1_sel:DWORD
	v_and_b32_e32 v29, 0x80000000, v31
	v_cmp_ne_u16_sdwa s[22:23], v29, v9 src0_sel:BYTE_3 src1_sel:DWORD
	v_lshrrev_b32_e32 v31, 22, v31
	v_bfe_i32 v34, v28, 4, 1
	v_cndmask_b32_e64 v29, 0, -1, s[22:23]
	v_bfe_i32 v31, v31, 0, 1
	v_lshlrev_b16_e32 v29, 8, v29
	v_or_b32_sdwa v37, v31, v29 dst_sel:WORD_1 dst_unused:UNUSED_PAD src0_sel:BYTE_0 src1_sel:DWORD
	v_or_b32_sdwa v38, v34, v35 dst_sel:DWORD dst_unused:UNUSED_PAD src0_sel:BYTE_0 src1_sel:DWORD
	v_or_b32_sdwa v37, v38, v37 dst_sel:DWORD dst_unused:UNUSED_PAD src0_sel:WORD_0 src1_sel:DWORD
	s_waitcnt vmcnt(0)
	v_xor_b32_e32 v30, v30, v37
	v_and_b32_e32 v37, 0xffffff00, v30
	v_sub_i16 v35, v37, v35 clamp
	v_lshlrev_b16_e32 v37, 8, v30
	v_lshlrev_b16_e32 v34, 8, v34
	v_and_b32_e32 v35, 0xffffff00, v35
	v_sub_i16 v34, v37, v34 clamp
	v_or_b32_sdwa v34, v34, v35 dst_sel:DWORD dst_unused:UNUSED_PAD src0_sel:BYTE_1 src1_sel:DWORD
	v_and_b32_sdwa v35, v30, s21 dst_sel:DWORD dst_unused:UNUSED_PAD src0_sel:WORD_1 src1_sel:DWORD
	v_sub_i16 v29, v35, v29 clamp
	v_lshlrev_b16_sdwa v30, v23, v30 dst_sel:DWORD dst_unused:UNUSED_PAD src0_sel:DWORD src1_sel:WORD_1
	v_lshlrev_b16_e32 v31, 8, v31
	v_and_b32_e32 v29, 0xffffff00, v29
	v_sub_i16 v30, v30, v31 clamp
	v_or_b32_sdwa v29, v30, v29 dst_sel:WORD_1 dst_unused:UNUSED_PAD src0_sel:BYTE_1 src1_sel:DWORD
	v_lshlrev_b32_sdwa v31, v22, v43 dst_sel:DWORD dst_unused:UNUSED_PAD src0_sel:DWORD src1_sel:BYTE_3
	v_or_b32_sdwa v30, v34, v29 dst_sel:DWORD dst_unused:UNUSED_PAD src0_sel:WORD_0 src1_sel:DWORD
	v_mov_b32_e32 v29, 0
	v_dot4c_i32_i8_e32 v29, v32, v5
	v_lshlrev_b32_sdwa v5, v22, v42 dst_sel:DWORD dst_unused:UNUSED_PAD src0_sel:DWORD src1_sel:BYTE_2
	global_load_dword v39, v5, s[12:13]
	v_lshlrev_b32_sdwa v5, v22, v42 dst_sel:DWORD dst_unused:UNUSED_PAD src0_sel:DWORD src1_sel:BYTE_3
	global_load_dword v37, v5, s[12:13]
	v_lshlrev_b32_sdwa v5, v22, v43 dst_sel:DWORD dst_unused:UNUSED_PAD src0_sel:DWORD src1_sel:BYTE_0
	global_load_dword v35, v5, s[12:13]
	v_lshlrev_b32_sdwa v5, v22, v43 dst_sel:DWORD dst_unused:UNUSED_PAD src0_sel:DWORD src1_sel:BYTE_1
	v_bfe_u32 v42, v26, 7, 8
	global_load_dword v32, v5, s[12:13]
	v_lshlrev_b32_sdwa v5, v22, v43 dst_sel:DWORD dst_unused:UNUSED_PAD src0_sel:DWORD src1_sel:BYTE_2
	v_bcnt_u32_b32 v43, v42, 0
	v_and_b32_e32 v43, 1, v43
	v_lshlrev_b32_e32 v43, 7, v43
	v_xor_b32_e32 v42, v43, v42
	v_mul_lo_u32 v42, v42, s18
	v_and_b32_e32 v43, 0x8000000, v42
	v_lshrrev_b32_e32 v50, 8, v42
	v_dot4c_i32_i8_e32 v29, v30, v6
	global_load_dword v30, v5, s[12:13]
	global_load_dword v6, v31, s[12:13]
	s_nop 0
	global_load_ushort v5, v[40:41], off
	v_lshrrev_b16_e32 v51, 1, v50
	v_cmp_ne_u16_sdwa s[12:13], v43, v9 src0_sel:BYTE_3 src1_sel:DWORD
	v_bfe_i32 v51, v51, 0, 1
	v_lshrrev_b32_e32 v52, 18, v42
	v_cndmask_b32_e64 v43, 0, -1, s[12:13]
	v_bfe_i32 v52, v52, 0, 1
	v_lshlrev_b16_e32 v43, 8, v43
	v_lshlrev_b16_e32 v51, 8, v51
	v_or_b32_sdwa v53, v52, v43 dst_sel:WORD_1 dst_unused:UNUSED_PAD src0_sel:BYTE_0 src1_sel:DWORD
	v_or_b32_sdwa v54, v46, v51 dst_sel:DWORD dst_unused:UNUSED_PAD src0_sel:BYTE_0 src1_sel:DWORD
	v_or_b32_sdwa v53, v54, v53 dst_sel:DWORD dst_unused:UNUSED_PAD src0_sel:WORD_0 src1_sel:DWORD
	v_xor_b32_e32 v44, v44, v53
	v_and_b32_e32 v53, 0xffffff00, v44
	v_sub_i16 v51, v53, v51 clamp
	v_lshlrev_b16_e32 v53, 8, v44
	v_lshlrev_b16_e32 v46, 8, v46
	v_and_b32_e32 v51, 0xffffff00, v51
	v_sub_i16 v46, v53, v46 clamp
	v_or_b32_sdwa v46, v46, v51 dst_sel:DWORD dst_unused:UNUSED_PAD src0_sel:BYTE_1 src1_sel:DWORD
	v_and_b32_sdwa v51, v44, s21 dst_sel:DWORD dst_unused:UNUSED_PAD src0_sel:WORD_1 src1_sel:DWORD
	v_sub_i16 v43, v51, v43 clamp
	v_lshlrev_b16_sdwa v44, v23, v44 dst_sel:DWORD dst_unused:UNUSED_PAD src0_sel:DWORD src1_sel:WORD_1
	v_lshlrev_b16_e32 v51, 8, v52
	v_and_b32_e32 v43, 0xffffff00, v43
	v_sub_i16 v44, v44, v51 clamp
	v_or_b32_sdwa v43, v44, v43 dst_sel:WORD_1 dst_unused:UNUSED_PAD src0_sel:BYTE_1 src1_sel:DWORD
	v_and_b32_e32 v44, 0x80000000, v42
	v_lshrrev_b16_e32 v50, 5, v50
	v_cmp_ne_u16_sdwa s[12:13], v44, v9 src0_sel:BYTE_3 src1_sel:DWORD
	v_bfe_i32 v50, v50, 0, 1
	v_lshrrev_b32_e32 v42, 22, v42
	v_cndmask_b32_e64 v44, 0, -1, s[12:13]
	v_or_b32_sdwa v43, v46, v43 dst_sel:DWORD dst_unused:UNUSED_PAD src0_sel:WORD_0 src1_sel:DWORD
	v_bfe_i32 v46, v26, 11, 1
	v_bfe_i32 v42, v42, 0, 1
	v_lshlrev_b16_e32 v44, 8, v44
	v_lshlrev_b16_e32 v50, 8, v50
	v_or_b32_sdwa v51, v42, v44 dst_sel:WORD_1 dst_unused:UNUSED_PAD src0_sel:BYTE_0 src1_sel:DWORD
	v_or_b32_sdwa v52, v46, v50 dst_sel:DWORD dst_unused:UNUSED_PAD src0_sel:BYTE_0 src1_sel:DWORD
	v_or_b32_sdwa v51, v52, v51 dst_sel:DWORD dst_unused:UNUSED_PAD src0_sel:WORD_0 src1_sel:DWORD
	v_xor_b32_e32 v45, v45, v51
	v_and_b32_e32 v51, 0xffffff00, v45
	v_sub_i16 v50, v51, v50 clamp
	v_lshlrev_b16_e32 v51, 8, v45
	v_lshlrev_b16_e32 v46, 8, v46
	v_and_b32_e32 v50, 0xffffff00, v50
	v_sub_i16 v46, v51, v46 clamp
	v_or_b32_sdwa v46, v46, v50 dst_sel:DWORD dst_unused:UNUSED_PAD src0_sel:BYTE_1 src1_sel:DWORD
	v_and_b32_sdwa v50, v45, s21 dst_sel:DWORD dst_unused:UNUSED_PAD src0_sel:WORD_1 src1_sel:DWORD
	v_sub_i16 v44, v50, v44 clamp
	v_lshlrev_b16_sdwa v45, v23, v45 dst_sel:DWORD dst_unused:UNUSED_PAD src0_sel:DWORD src1_sel:WORD_1
	v_lshlrev_b16_e32 v42, 8, v42
	v_and_b32_e32 v41, 0xffff0000, v26
	v_and_b32_e32 v44, 0xffffff00, v44
	v_sub_i16 v42, v45, v42 clamp
	v_and_or_b32 v41, v26, s19, v41
	v_or_b32_sdwa v42, v42, v44 dst_sel:WORD_1 dst_unused:UNUSED_PAD src0_sel:BYTE_1 src1_sel:DWORD
	v_dot4c_i32_i8_e32 v27, v43, v7
	v_or_b32_sdwa v42, v46, v42 dst_sel:DWORD dst_unused:UNUSED_PAD src0_sel:WORD_0 src1_sel:DWORD
	v_bfe_u32 v41, v41, 14, 8
	v_dot4c_i32_i8_e32 v27, v42, v0
	v_bcnt_u32_b32 v42, v41, 0
	v_and_b32_e32 v42, 1, v42
	v_lshlrev_b32_e32 v42, 7, v42
	v_xor_b32_e32 v41, v42, v41
	v_mul_lo_u32 v41, v41, s18
	v_and_b32_e32 v42, 0x8000000, v41
	v_lshrrev_b32_e32 v43, 8, v41
	v_lshrrev_b16_e32 v44, 1, v43
	v_cmp_ne_u16_sdwa s[12:13], v42, v9 src0_sel:BYTE_3 src1_sel:DWORD
	v_bfe_i32 v44, v44, 0, 1
	v_lshrrev_b32_e32 v45, 18, v41
	v_cndmask_b32_e64 v42, 0, -1, s[12:13]
	v_bfe_i32 v45, v45, 0, 1
	v_lshlrev_b16_e32 v42, 8, v42
	v_lshlrev_b16_e32 v44, 8, v44
	v_or_b32_sdwa v46, v45, v42 dst_sel:WORD_1 dst_unused:UNUSED_PAD src0_sel:BYTE_0 src1_sel:DWORD
	v_or_b32_sdwa v50, v49, v44 dst_sel:DWORD dst_unused:UNUSED_PAD src0_sel:BYTE_0 src1_sel:DWORD
	v_or_b32_sdwa v46, v50, v46 dst_sel:DWORD dst_unused:UNUSED_PAD src0_sel:WORD_0 src1_sel:DWORD
	v_xor_b32_e32 v46, v47, v46
	v_and_b32_e32 v47, 0xffffff00, v46
	v_sub_i16 v44, v47, v44 clamp
	v_lshlrev_b16_e32 v47, 8, v46
	v_lshlrev_b16_e32 v49, 8, v49
	v_and_b32_e32 v44, 0xffffff00, v44
	v_sub_i16 v47, v47, v49 clamp
	v_or_b32_sdwa v44, v47, v44 dst_sel:DWORD dst_unused:UNUSED_PAD src0_sel:BYTE_1 src1_sel:DWORD
	v_and_b32_sdwa v47, v46, s21 dst_sel:DWORD dst_unused:UNUSED_PAD src0_sel:WORD_1 src1_sel:DWORD
	v_sub_i16 v42, v47, v42 clamp
	v_lshlrev_b16_sdwa v46, v23, v46 dst_sel:DWORD dst_unused:UNUSED_PAD src0_sel:DWORD src1_sel:WORD_1
	v_lshlrev_b16_e32 v45, 8, v45
	v_and_b32_e32 v42, 0xffffff00, v42
	v_sub_i16 v45, v46, v45 clamp
	v_or_b32_sdwa v42, v45, v42 dst_sel:WORD_1 dst_unused:UNUSED_PAD src0_sel:BYTE_1 src1_sel:DWORD
	v_lshrrev_b16_e32 v43, 5, v43
	v_or_b32_sdwa v42, v44, v42 dst_sel:DWORD dst_unused:UNUSED_PAD src0_sel:WORD_0 src1_sel:DWORD
	v_and_b32_e32 v44, 0x80000000, v41
	v_cmp_ne_u16_sdwa s[12:13], v44, v9 src0_sel:BYTE_3 src1_sel:DWORD
	v_lshrrev_b32_e32 v40, 16, v26
	v_bfe_i32 v43, v43, 0, 1
	v_lshrrev_b32_e32 v41, 22, v41
	v_cndmask_b32_e64 v44, 0, -1, s[12:13]
	v_bfe_i32 v45, v40, 2, 1
	v_bfe_i32 v41, v41, 0, 1
	v_lshlrev_b16_e32 v44, 8, v44
	v_lshlrev_b16_e32 v43, 8, v43
	v_or_b32_sdwa v46, v41, v44 dst_sel:WORD_1 dst_unused:UNUSED_PAD src0_sel:BYTE_0 src1_sel:DWORD
	v_or_b32_sdwa v47, v45, v43 dst_sel:DWORD dst_unused:UNUSED_PAD src0_sel:BYTE_0 src1_sel:DWORD
	v_or_b32_sdwa v46, v47, v46 dst_sel:DWORD dst_unused:UNUSED_PAD src0_sel:WORD_0 src1_sel:DWORD
	v_xor_b32_e32 v46, v48, v46
	v_and_b32_e32 v47, 0xffffff00, v46
	v_sub_i16 v43, v47, v43 clamp
	v_lshlrev_b16_e32 v47, 8, v46
	v_lshlrev_b16_e32 v45, 8, v45
	v_and_b32_e32 v43, 0xffffff00, v43
	v_sub_i16 v45, v47, v45 clamp
	v_or_b32_sdwa v43, v45, v43 dst_sel:DWORD dst_unused:UNUSED_PAD src0_sel:BYTE_1 src1_sel:DWORD
	v_and_b32_sdwa v45, v46, s21 dst_sel:DWORD dst_unused:UNUSED_PAD src0_sel:WORD_1 src1_sel:DWORD
	v_sub_i16 v44, v45, v44 clamp
	v_lshlrev_b16_sdwa v45, v23, v46 dst_sel:DWORD dst_unused:UNUSED_PAD src0_sel:DWORD src1_sel:WORD_1
	v_lshlrev_b16_e32 v41, 8, v41
	v_and_b32_e32 v44, 0xffffff00, v44
	v_sub_i16 v41, v45, v41 clamp
	v_or_b32_sdwa v41, v41, v44 dst_sel:WORD_1 dst_unused:UNUSED_PAD src0_sel:BYTE_1 src1_sel:DWORD
	v_dot4c_i32_i8_e32 v27, v42, v1
	v_or_b32_sdwa v41, v43, v41 dst_sel:DWORD dst_unused:UNUSED_PAD src0_sel:WORD_0 src1_sel:DWORD
	v_dot4c_i32_i8_e32 v27, v41, v2
	v_bfe_u32 v41, v26, 21, 8
	v_bcnt_u32_b32 v42, v41, 0
	v_and_b32_e32 v42, 1, v42
	v_lshlrev_b32_e32 v42, 7, v42
	v_xor_b32_e32 v41, v42, v41
	v_mul_lo_u32 v41, v41, s18
	v_and_b32_e32 v42, 0x8000000, v41
	v_lshrrev_b32_e32 v44, 8, v41
	v_lshrrev_b16_e32 v45, 1, v44
	v_cmp_ne_u16_sdwa s[12:13], v42, v9 src0_sel:BYTE_3 src1_sel:DWORD
	v_bfe_i32 v45, v45, 0, 1
	v_lshrrev_b32_e32 v46, 18, v41
	v_cndmask_b32_e64 v42, 0, -1, s[12:13]
	v_bfe_i32 v43, v40, 5, 1
	v_bfe_i32 v46, v46, 0, 1
	v_lshlrev_b16_e32 v42, 8, v42
	v_lshlrev_b16_e32 v45, 8, v45
	v_or_b32_sdwa v47, v46, v42 dst_sel:WORD_1 dst_unused:UNUSED_PAD src0_sel:BYTE_0 src1_sel:DWORD
	v_or_b32_sdwa v48, v43, v45 dst_sel:DWORD dst_unused:UNUSED_PAD src0_sel:BYTE_0 src1_sel:DWORD
	v_or_b32_sdwa v47, v48, v47 dst_sel:DWORD dst_unused:UNUSED_PAD src0_sel:WORD_0 src1_sel:DWORD
	v_xor_b32_e32 v36, v36, v47
	v_and_b32_e32 v47, 0xffffff00, v36
	v_sub_i16 v45, v47, v45 clamp
	v_lshlrev_b16_e32 v47, 8, v36
	v_lshlrev_b16_e32 v43, 8, v43
	v_and_b32_e32 v45, 0xffffff00, v45
	v_sub_i16 v43, v47, v43 clamp
	v_or_b32_sdwa v43, v43, v45 dst_sel:DWORD dst_unused:UNUSED_PAD src0_sel:BYTE_1 src1_sel:DWORD
	v_and_b32_sdwa v45, v36, s21 dst_sel:DWORD dst_unused:UNUSED_PAD src0_sel:WORD_1 src1_sel:DWORD
	v_sub_i16 v42, v45, v42 clamp
	v_lshlrev_b16_sdwa v36, v23, v36 dst_sel:DWORD dst_unused:UNUSED_PAD src0_sel:DWORD src1_sel:WORD_1
	v_lshlrev_b16_e32 v45, 8, v46
	v_and_b32_e32 v42, 0xffffff00, v42
	v_sub_i16 v36, v36, v45 clamp
	v_or_b32_sdwa v36, v36, v42 dst_sel:WORD_1 dst_unused:UNUSED_PAD src0_sel:BYTE_1 src1_sel:DWORD
	v_and_b32_e32 v42, 0x80000000, v41
	v_or_b32_sdwa v36, v43, v36 dst_sel:DWORD dst_unused:UNUSED_PAD src0_sel:WORD_0 src1_sel:DWORD
	v_lshrrev_b16_e32 v43, 5, v44
	v_cmp_ne_u16_sdwa s[12:13], v42, v9 src0_sel:BYTE_3 src1_sel:DWORD
	v_bfe_i32 v43, v43, 0, 1
	v_lshrrev_b32_e32 v41, 22, v41
	v_cndmask_b32_e64 v42, 0, -1, s[12:13]
	v_bfe_i32 v40, v40, 9, 1
	v_bfe_i32 v41, v41, 0, 1
	v_lshlrev_b16_e32 v42, 8, v42
	v_lshlrev_b16_e32 v43, 8, v43
	v_or_b32_sdwa v44, v41, v42 dst_sel:WORD_1 dst_unused:UNUSED_PAD src0_sel:BYTE_0 src1_sel:DWORD
	v_or_b32_sdwa v45, v40, v43 dst_sel:DWORD dst_unused:UNUSED_PAD src0_sel:BYTE_0 src1_sel:DWORD
	v_or_b32_sdwa v44, v45, v44 dst_sel:DWORD dst_unused:UNUSED_PAD src0_sel:WORD_0 src1_sel:DWORD
	v_xor_b32_e32 v33, v33, v44
	v_and_b32_e32 v44, 0xffffff00, v33
	v_sub_i16 v43, v44, v43 clamp
	v_lshlrev_b16_e32 v44, 8, v33
	v_lshlrev_b16_e32 v40, 8, v40
	v_and_b32_e32 v43, 0xffffff00, v43
	v_sub_i16 v40, v44, v40 clamp
	v_or_b32_sdwa v40, v40, v43 dst_sel:DWORD dst_unused:UNUSED_PAD src0_sel:BYTE_1 src1_sel:DWORD
	v_and_b32_sdwa v43, v33, s21 dst_sel:DWORD dst_unused:UNUSED_PAD src0_sel:WORD_1 src1_sel:DWORD
	v_sub_i16 v42, v43, v42 clamp
	v_lshlrev_b16_sdwa v33, v23, v33 dst_sel:DWORD dst_unused:UNUSED_PAD src0_sel:DWORD src1_sel:WORD_1
	v_lshlrev_b16_e32 v41, 8, v41
	v_and_b32_e32 v42, 0xffffff00, v42
	v_sub_i16 v33, v33, v41 clamp
	v_or_b32_sdwa v33, v33, v42 dst_sel:WORD_1 dst_unused:UNUSED_PAD src0_sel:BYTE_1 src1_sel:DWORD
	v_dot4c_i32_i8_e32 v27, v36, v3
	v_bfe_u32 v36, v28, 7, 8
	v_or_b32_sdwa v33, v40, v33 dst_sel:DWORD dst_unused:UNUSED_PAD src0_sel:WORD_0 src1_sel:DWORD
	v_bcnt_u32_b32 v40, v36, 0
	v_and_b32_e32 v40, 1, v40
	v_lshlrev_b32_e32 v40, 7, v40
	v_xor_b32_e32 v36, v40, v36
	v_mul_lo_u32 v36, v36, s18
	v_and_b32_e32 v40, 0x8000000, v36
	v_lshrrev_b32_e32 v41, 8, v36
	v_lshrrev_b16_e32 v42, 1, v41
	v_cmp_ne_u16_sdwa s[12:13], v40, v9 src0_sel:BYTE_3 src1_sel:DWORD
	v_bfe_i32 v42, v42, 0, 1
	v_lshrrev_b32_e32 v43, 18, v36
	v_cndmask_b32_e64 v40, 0, -1, s[12:13]
	v_bfe_i32 v38, v28, 7, 1
	v_bfe_i32 v43, v43, 0, 1
	v_lshlrev_b16_e32 v40, 8, v40
	v_lshlrev_b16_e32 v42, 8, v42
	v_or_b32_sdwa v44, v43, v40 dst_sel:WORD_1 dst_unused:UNUSED_PAD src0_sel:BYTE_0 src1_sel:DWORD
	v_or_b32_sdwa v45, v38, v42 dst_sel:DWORD dst_unused:UNUSED_PAD src0_sel:BYTE_0 src1_sel:DWORD
	v_or_b32_sdwa v44, v45, v44 dst_sel:DWORD dst_unused:UNUSED_PAD src0_sel:WORD_0 src1_sel:DWORD
	s_waitcnt vmcnt(6)
	v_xor_b32_e32 v39, v39, v44
	v_and_b32_e32 v44, 0xffffff00, v39
	v_sub_i16 v42, v44, v42 clamp
	v_lshlrev_b16_e32 v44, 8, v39
	v_lshlrev_b16_e32 v38, 8, v38
	v_and_b32_e32 v42, 0xffffff00, v42
	v_sub_i16 v38, v44, v38 clamp
	v_or_b32_sdwa v38, v38, v42 dst_sel:DWORD dst_unused:UNUSED_PAD src0_sel:BYTE_1 src1_sel:DWORD
	v_and_b32_sdwa v42, v39, s21 dst_sel:DWORD dst_unused:UNUSED_PAD src0_sel:WORD_1 src1_sel:DWORD
	v_sub_i16 v40, v42, v40 clamp
	v_lshlrev_b16_sdwa v39, v23, v39 dst_sel:DWORD dst_unused:UNUSED_PAD src0_sel:DWORD src1_sel:WORD_1
	v_lshlrev_b16_e32 v42, 8, v43
	v_and_b32_e32 v40, 0xffffff00, v40
	v_sub_i16 v39, v39, v42 clamp
	v_or_b32_sdwa v39, v39, v40 dst_sel:WORD_1 dst_unused:UNUSED_PAD src0_sel:BYTE_1 src1_sel:DWORD
	v_lshrrev_b16_e32 v41, 5, v41
	v_or_b32_sdwa v38, v38, v39 dst_sel:DWORD dst_unused:UNUSED_PAD src0_sel:WORD_0 src1_sel:DWORD
	v_and_b32_e32 v39, 0x80000000, v36
	v_cmp_ne_u16_sdwa s[12:13], v39, v9 src0_sel:BYTE_3 src1_sel:DWORD
	v_bfe_i32 v41, v41, 0, 1
	v_lshrrev_b32_e32 v36, 22, v36
	v_cndmask_b32_e64 v39, 0, -1, s[12:13]
	v_bfe_i32 v40, v28, 11, 1
	v_bfe_i32 v36, v36, 0, 1
	v_lshlrev_b16_e32 v39, 8, v39
	v_lshlrev_b16_e32 v41, 8, v41
	v_or_b32_sdwa v42, v36, v39 dst_sel:WORD_1 dst_unused:UNUSED_PAD src0_sel:BYTE_0 src1_sel:DWORD
	v_or_b32_sdwa v43, v40, v41 dst_sel:DWORD dst_unused:UNUSED_PAD src0_sel:BYTE_0 src1_sel:DWORD
	v_or_b32_sdwa v42, v43, v42 dst_sel:DWORD dst_unused:UNUSED_PAD src0_sel:WORD_0 src1_sel:DWORD
	s_waitcnt vmcnt(5)
	v_xor_b32_e32 v37, v37, v42
	v_and_b32_e32 v42, 0xffffff00, v37
	v_sub_i16 v41, v42, v41 clamp
	v_lshlrev_b16_e32 v42, 8, v37
	v_lshlrev_b16_e32 v40, 8, v40
	v_and_b32_e32 v41, 0xffffff00, v41
	v_sub_i16 v40, v42, v40 clamp
	v_or_b32_sdwa v40, v40, v41 dst_sel:DWORD dst_unused:UNUSED_PAD src0_sel:BYTE_1 src1_sel:DWORD
	v_and_b32_sdwa v41, v37, s21 dst_sel:DWORD dst_unused:UNUSED_PAD src0_sel:WORD_1 src1_sel:DWORD
	v_sub_i16 v39, v41, v39 clamp
	v_lshlrev_b16_sdwa v37, v23, v37 dst_sel:DWORD dst_unused:UNUSED_PAD src0_sel:DWORD src1_sel:WORD_1
	v_lshlrev_b16_e32 v36, 8, v36
	v_and_b32_e32 v39, 0xffffff00, v39
	v_sub_i16 v36, v37, v36 clamp
	v_dot4c_i32_i8_e32 v27, v33, v24
	v_and_b32_e32 v33, 0xffff0000, v28
	v_or_b32_sdwa v36, v36, v39 dst_sel:WORD_1 dst_unused:UNUSED_PAD src0_sel:BYTE_1 src1_sel:DWORD
	v_and_or_b32 v33, v28, s19, v33
	v_or_b32_sdwa v36, v40, v36 dst_sel:DWORD dst_unused:UNUSED_PAD src0_sel:WORD_0 src1_sel:DWORD
	v_dot4c_i32_i8_e32 v29, v38, v7
	v_dot4c_i32_i8_e32 v29, v36, v0
	v_bfe_u32 v0, v33, 14, 8
	v_bcnt_u32_b32 v7, v0, 0
	v_and_b32_e32 v7, 1, v7
	v_lshlrev_b32_e32 v7, 7, v7
	v_xor_b32_e32 v0, v7, v0
	v_mul_lo_u32 v0, v0, s18
	v_and_b32_e32 v7, 0x8000000, v0
	v_lshrrev_b32_e32 v33, 8, v0
	v_lshrrev_b16_e32 v36, 1, v33
	v_cmp_ne_u16_sdwa s[12:13], v7, v9 src0_sel:BYTE_3 src1_sel:DWORD
	v_bfe_i32 v36, v36, 0, 1
	v_lshrrev_b32_e32 v37, 18, v0
	v_cndmask_b32_e64 v7, 0, -1, s[12:13]
	v_bfe_i32 v34, v28, 14, 1
	v_bfe_i32 v37, v37, 0, 1
	v_lshlrev_b16_e32 v7, 8, v7
	v_lshlrev_b16_e32 v36, 8, v36
	v_or_b32_sdwa v38, v37, v7 dst_sel:WORD_1 dst_unused:UNUSED_PAD src0_sel:BYTE_0 src1_sel:DWORD
	v_or_b32_sdwa v39, v34, v36 dst_sel:DWORD dst_unused:UNUSED_PAD src0_sel:BYTE_0 src1_sel:DWORD
	v_or_b32_sdwa v38, v39, v38 dst_sel:DWORD dst_unused:UNUSED_PAD src0_sel:WORD_0 src1_sel:DWORD
	s_waitcnt vmcnt(4)
	v_xor_b32_e32 v35, v35, v38
	v_and_b32_e32 v38, 0xffffff00, v35
	v_sub_i16 v36, v38, v36 clamp
	v_lshlrev_b16_e32 v38, 8, v35
	v_lshlrev_b16_e32 v34, 8, v34
	v_and_b32_e32 v36, 0xffffff00, v36
	v_sub_i16 v34, v38, v34 clamp
	v_or_b32_sdwa v34, v34, v36 dst_sel:DWORD dst_unused:UNUSED_PAD src0_sel:BYTE_1 src1_sel:DWORD
	v_and_b32_sdwa v36, v35, s21 dst_sel:DWORD dst_unused:UNUSED_PAD src0_sel:WORD_1 src1_sel:DWORD
	v_sub_i16 v7, v36, v7 clamp
	v_lshlrev_b16_sdwa v35, v23, v35 dst_sel:DWORD dst_unused:UNUSED_PAD src0_sel:DWORD src1_sel:WORD_1
	v_lshlrev_b16_e32 v36, 8, v37
	v_and_b32_e32 v7, 0xffffff00, v7
	v_sub_i16 v35, v35, v36 clamp
	v_or_b32_sdwa v7, v35, v7 dst_sel:WORD_1 dst_unused:UNUSED_PAD src0_sel:BYTE_1 src1_sel:DWORD
	v_lshrrev_b16_e32 v33, 5, v33
	v_or_b32_sdwa v7, v34, v7 dst_sel:DWORD dst_unused:UNUSED_PAD src0_sel:WORD_0 src1_sel:DWORD
	v_and_b32_e32 v34, 0x80000000, v0
	v_cmp_ne_u16_sdwa s[12:13], v34, v9 src0_sel:BYTE_3 src1_sel:DWORD
	v_lshrrev_b32_e32 v31, 16, v28
	v_bfe_i32 v33, v33, 0, 1
	v_lshrrev_b32_e32 v0, 22, v0
	v_cndmask_b32_e64 v34, 0, -1, s[12:13]
	v_bfe_i32 v35, v31, 2, 1
	v_bfe_i32 v0, v0, 0, 1
	v_lshlrev_b16_e32 v34, 8, v34
	v_lshlrev_b16_e32 v33, 8, v33
	v_or_b32_sdwa v36, v0, v34 dst_sel:WORD_1 dst_unused:UNUSED_PAD src0_sel:BYTE_0 src1_sel:DWORD
	v_or_b32_sdwa v37, v35, v33 dst_sel:DWORD dst_unused:UNUSED_PAD src0_sel:BYTE_0 src1_sel:DWORD
	v_or_b32_sdwa v36, v37, v36 dst_sel:DWORD dst_unused:UNUSED_PAD src0_sel:WORD_0 src1_sel:DWORD
	s_waitcnt vmcnt(3)
	v_xor_b32_e32 v32, v32, v36
	v_and_b32_e32 v36, 0xffffff00, v32
	v_sub_i16 v33, v36, v33 clamp
	v_lshlrev_b16_e32 v36, 8, v32
	v_lshlrev_b16_e32 v35, 8, v35
	v_and_b32_e32 v33, 0xffffff00, v33
	v_sub_i16 v35, v36, v35 clamp
	v_or_b32_sdwa v33, v35, v33 dst_sel:DWORD dst_unused:UNUSED_PAD src0_sel:BYTE_1 src1_sel:DWORD
	v_and_b32_sdwa v35, v32, s21 dst_sel:DWORD dst_unused:UNUSED_PAD src0_sel:WORD_1 src1_sel:DWORD
	v_sub_i16 v34, v35, v34 clamp
	v_lshlrev_b16_sdwa v32, v23, v32 dst_sel:DWORD dst_unused:UNUSED_PAD src0_sel:DWORD src1_sel:WORD_1
	v_lshlrev_b16_e32 v0, 8, v0
	v_and_b32_e32 v34, 0xffffff00, v34
	v_sub_i16 v0, v32, v0 clamp
	v_or_b32_sdwa v0, v0, v34 dst_sel:WORD_1 dst_unused:UNUSED_PAD src0_sel:BYTE_1 src1_sel:DWORD
	v_dot4c_i32_i8_e32 v29, v7, v1
	v_or_b32_sdwa v0, v33, v0 dst_sel:DWORD dst_unused:UNUSED_PAD src0_sel:WORD_0 src1_sel:DWORD
	v_dot4c_i32_i8_e32 v29, v0, v2
	v_bfe_u32 v0, v28, 21, 8
	v_bcnt_u32_b32 v1, v0, 0
	v_and_b32_e32 v1, 1, v1
	v_lshlrev_b32_e32 v1, 7, v1
	v_xor_b32_e32 v0, v1, v0
	v_mul_lo_u32 v0, v0, s18
	v_and_b32_e32 v1, 0x8000000, v0
	v_lshrrev_b32_e32 v7, 8, v0
	v_lshrrev_b16_e32 v32, 1, v7
	v_cmp_ne_u16_sdwa s[12:13], v1, v9 src0_sel:BYTE_3 src1_sel:DWORD
	v_bfe_i32 v32, v32, 0, 1
	v_lshrrev_b32_e32 v33, 18, v0
	v_cndmask_b32_e64 v1, 0, -1, s[12:13]
	v_bfe_i32 v2, v31, 5, 1
	v_bfe_i32 v33, v33, 0, 1
	v_lshlrev_b16_e32 v1, 8, v1
	v_lshlrev_b16_e32 v32, 8, v32
	v_or_b32_sdwa v34, v33, v1 dst_sel:WORD_1 dst_unused:UNUSED_PAD src0_sel:BYTE_0 src1_sel:DWORD
	v_or_b32_sdwa v35, v2, v32 dst_sel:DWORD dst_unused:UNUSED_PAD src0_sel:BYTE_0 src1_sel:DWORD
	v_or_b32_sdwa v34, v35, v34 dst_sel:DWORD dst_unused:UNUSED_PAD src0_sel:WORD_0 src1_sel:DWORD
	s_waitcnt vmcnt(2)
	v_xor_b32_e32 v30, v30, v34
	v_and_b32_e32 v34, 0xffffff00, v30
	v_sub_i16 v32, v34, v32 clamp
	v_lshlrev_b16_e32 v34, 8, v30
	v_lshlrev_b16_e32 v2, 8, v2
	v_and_b32_e32 v32, 0xffffff00, v32
	v_sub_i16 v2, v34, v2 clamp
	v_or_b32_sdwa v2, v2, v32 dst_sel:DWORD dst_unused:UNUSED_PAD src0_sel:BYTE_1 src1_sel:DWORD
	v_and_b32_sdwa v32, v30, s21 dst_sel:DWORD dst_unused:UNUSED_PAD src0_sel:WORD_1 src1_sel:DWORD
	v_sub_i16 v1, v32, v1 clamp
	v_lshlrev_b16_sdwa v30, v23, v30 dst_sel:DWORD dst_unused:UNUSED_PAD src0_sel:DWORD src1_sel:WORD_1
	v_lshlrev_b16_e32 v32, 8, v33
	v_and_b32_e32 v1, 0xffffff00, v1
	v_sub_i16 v30, v30, v32 clamp
	v_or_b32_sdwa v1, v30, v1 dst_sel:WORD_1 dst_unused:UNUSED_PAD src0_sel:BYTE_1 src1_sel:DWORD
	v_lshrrev_b16_e32 v7, 5, v7
	v_or_b32_sdwa v1, v2, v1 dst_sel:DWORD dst_unused:UNUSED_PAD src0_sel:WORD_0 src1_sel:DWORD
	v_and_b32_e32 v2, 0x80000000, v0
	v_cmp_ne_u16_sdwa s[12:13], v2, v9 src0_sel:BYTE_3 src1_sel:DWORD
	v_bfe_i32 v7, v7, 0, 1
	v_lshrrev_b32_e32 v0, 22, v0
	v_cndmask_b32_e64 v2, 0, -1, s[12:13]
	v_bfe_i32 v30, v31, 9, 1
	v_bfe_i32 v0, v0, 0, 1
	v_lshlrev_b16_e32 v2, 8, v2
	v_lshlrev_b16_e32 v7, 8, v7
	v_or_b32_sdwa v31, v0, v2 dst_sel:WORD_1 dst_unused:UNUSED_PAD src0_sel:BYTE_0 src1_sel:DWORD
	v_or_b32_sdwa v32, v30, v7 dst_sel:DWORD dst_unused:UNUSED_PAD src0_sel:BYTE_0 src1_sel:DWORD
	v_or_b32_sdwa v31, v32, v31 dst_sel:DWORD dst_unused:UNUSED_PAD src0_sel:WORD_0 src1_sel:DWORD
	s_waitcnt vmcnt(1)
	v_xor_b32_e32 v6, v6, v31
	v_and_b32_e32 v31, 0xffffff00, v6
	v_sub_i16 v7, v31, v7 clamp
	v_lshlrev_b16_e32 v31, 8, v6
	v_lshlrev_b16_e32 v30, 8, v30
	v_and_b32_e32 v7, 0xffffff00, v7
	v_sub_i16 v30, v31, v30 clamp
	v_or_b32_sdwa v7, v30, v7 dst_sel:DWORD dst_unused:UNUSED_PAD src0_sel:BYTE_1 src1_sel:DWORD
	v_and_b32_sdwa v30, v6, s21 dst_sel:DWORD dst_unused:UNUSED_PAD src0_sel:WORD_1 src1_sel:DWORD
	v_sub_i16 v2, v30, v2 clamp
	v_lshlrev_b16_sdwa v6, v23, v6 dst_sel:DWORD dst_unused:UNUSED_PAD src0_sel:DWORD src1_sel:WORD_1
	v_lshlrev_b16_e32 v0, 8, v0
	v_and_b32_e32 v2, 0xffffff00, v2
	v_sub_i16 v0, v6, v0 clamp
	v_or_b32_sdwa v0, v0, v2 dst_sel:WORD_1 dst_unused:UNUSED_PAD src0_sel:BYTE_1 src1_sel:DWORD
	v_dot4c_i32_i8_e32 v29, v1, v3
	v_or_b32_sdwa v0, v7, v0 dst_sel:DWORD dst_unused:UNUSED_PAD src0_sel:WORD_0 src1_sel:DWORD
	v_dot4c_i32_i8_e32 v29, v0, v24
	v_lshrrev_b32_e32 v0, 31, v27
	v_add_u32_e32 v0, v27, v0
	v_lshrrev_b32_e32 v1, 28, v26
	v_ashrrev_i32_e32 v0, 1, v0
	v_lshrrev_b32_e32 v2, 31, v29
	v_add_u32_e32 v2, v29, v2
	v_mad_u64_u32 v[0:1], s[12:13], v27, v1, v[0:1]
	v_lshrrev_b32_e32 v3, 28, v28
	v_ashrrev_i32_e32 v2, 1, v2
	v_lshrrev_b32_e32 v1, 31, v0
	v_mad_u64_u32 v[2:3], s[12:13], v29, v3, v[2:3]
	v_add_u32_e32 v0, v0, v1
	v_ashrrev_i32_e32 v6, 1, v0
	v_lshrrev_b32_e32 v0, 31, v2
	v_add_u32_e32 v0, v2, v0
	v_ashrrev_i32_e32 v2, 1, v0
	s_waitcnt vmcnt(0)
	v_cvt_f32_f16_e32 v1, v5
	v_cvt_f32_f16_e32 v0, v25
	v_cvt_f32_i32_e32 v3, v2
	v_cvt_f32_i32_e32 v2, v6
	v_pk_mul_f32 v[0:1], v[4:5], v[0:1] op_sel_hi:[0,1]
	v_pk_fma_f32 v[10:11], v[0:1], v[2:3], v[10:11]
	s_andn2_b64 exec, exec, s[4:5]
	s_cbranch_execnz .LBB194_9
; %bb.10:
	s_or_b64 exec, exec, s[4:5]
	ds_write2_b32 v18, v10, v11 offset1:1
.LBB194_11:
	s_or_b64 exec, exec, s[0:1]
	v_cmp_eq_u32_e32 vcc, 0, v20
	v_cmp_ne_u32_e64 s[0:1], 0, v20
	v_lshlrev_b32_e32 v0, 2, v19
	s_and_saveexec_b64 s[4:5], s[0:1]
	s_cbranch_execz .LBB194_13
; %bb.12:
	v_lshl_or_b32 v1, v20, 9, v0
	v_add_u32_e32 v1, 0xfffffe00, v1
	ds_write2st64_b32 v1, v10, v11 offset1:1
.LBB194_13:
	s_or_b64 exec, exec, s[4:5]
	s_waitcnt lgkmcnt(0)
	s_barrier
	s_and_saveexec_b64 s[0:1], vcc
	s_cbranch_execz .LBB194_16
; %bb.14:
	v_mbcnt_lo_u32_b32 v1, -1, 0
	v_mbcnt_hi_u32_b32 v1, -1, v1
	v_and_b32_e32 v2, 64, v1
	v_add_u32_e32 v6, 64, v2
	ds_read2st64_b32 v[2:3], v0 offset1:1
	ds_read2_b32 v[4:5], v18 offset1:1
	v_xor_b32_e32 v7, 32, v1
	v_cmp_lt_i32_e32 vcc, v7, v6
	s_load_dword s0, s[2:3], 0x58
	s_mov_b32 s5, 0
	v_cndmask_b32_e32 v7, v1, v7, vcc
	v_lshlrev_b32_e32 v7, 2, v7
	s_waitcnt lgkmcnt(0)
	v_pk_add_f32 v[2:3], v[2:3], v[4:5]
	ds_bpermute_b32 v4, v7, v2
	ds_bpermute_b32 v5, v7, v3
	v_xor_b32_e32 v7, 16, v1
	v_cmp_lt_i32_e32 vcc, v7, v6
	s_waitcnt lgkmcnt(0)
	v_pk_add_f32 v[2:3], v[2:3], v[4:5]
	v_cndmask_b32_e32 v7, v1, v7, vcc
	v_lshlrev_b32_e32 v7, 2, v7
	ds_bpermute_b32 v4, v7, v2
	ds_bpermute_b32 v5, v7, v3
	v_xor_b32_e32 v7, 8, v1
	v_cmp_lt_i32_e32 vcc, v7, v6
	s_waitcnt lgkmcnt(0)
	v_pk_add_f32 v[2:3], v[2:3], v[4:5]
	v_cndmask_b32_e32 v7, v1, v7, vcc
	v_lshlrev_b32_e32 v7, 2, v7
	;; [unrolled: 8-line block ×5, first 2 shown]
	ds_bpermute_b32 v4, v1, v2
	ds_bpermute_b32 v5, v1, v3
	v_or_b32_e32 v1, s7, v19
	v_cmp_gt_u32_e32 vcc, 2, v19
	v_cmp_gt_u32_e64 s[0:1], s0, v1
	s_and_b64 s[0:1], vcc, s[0:1]
	s_waitcnt lgkmcnt(0)
	v_pk_add_f32 v[2:3], v[2:3], v[4:5]
	ds_write2_b32 v18, v2, v3 offset1:1
	s_and_b64 exec, exec, s[0:1]
	s_cbranch_execz .LBB194_16
; %bb.15:
	s_load_dwordx2 s[0:1], s[2:3], 0x38
	s_mul_i32 s2, s20, s10
	v_add_u32_e32 v1, v18, v0
	s_add_i32 s2, s2, s7
	s_mul_i32 s6, s6, s14
	ds_read_b32 v1, v1
	s_add_i32 s4, s2, s6
	s_lshl_b64 s[2:3], s[4:5], 2
	s_waitcnt lgkmcnt(0)
	s_add_u32 s0, s0, s2
	s_addc_u32 s1, s1, s3
	global_store_dword v0, v1, s[0:1]
.LBB194_16:
	s_endpgm
	.section	.rodata,"a",@progbits
	.p2align	6, 0x0
	.amdhsa_kernel _ZL13mul_mat_vec_qIL9ggml_type18ELi1ELb0ELb1EEvPKvS2_PKi31ggml_cuda_mm_fusion_args_devicePfj15HIP_vector_typeIjLj3EEjjjS8_jjjS8_jjjj
		.amdhsa_group_segment_fixed_size 1536
		.amdhsa_private_segment_fixed_size 0
		.amdhsa_kernarg_size 144
		.amdhsa_user_sgpr_count 4
		.amdhsa_user_sgpr_dispatch_ptr 1
		.amdhsa_user_sgpr_queue_ptr 0
		.amdhsa_user_sgpr_kernarg_segment_ptr 1
		.amdhsa_user_sgpr_dispatch_id 0
		.amdhsa_user_sgpr_kernarg_preload_length 0
		.amdhsa_user_sgpr_kernarg_preload_offset 0
		.amdhsa_user_sgpr_private_segment_size 0
		.amdhsa_uses_dynamic_stack 0
		.amdhsa_enable_private_segment 0
		.amdhsa_system_sgpr_workgroup_id_x 1
		.amdhsa_system_sgpr_workgroup_id_y 1
		.amdhsa_system_sgpr_workgroup_id_z 1
		.amdhsa_system_sgpr_workgroup_info 0
		.amdhsa_system_vgpr_workitem_id 2
		.amdhsa_next_free_vgpr 55
		.amdhsa_next_free_sgpr 28
		.amdhsa_accum_offset 56
		.amdhsa_reserve_vcc 1
		.amdhsa_float_round_mode_32 0
		.amdhsa_float_round_mode_16_64 0
		.amdhsa_float_denorm_mode_32 3
		.amdhsa_float_denorm_mode_16_64 3
		.amdhsa_dx10_clamp 1
		.amdhsa_ieee_mode 1
		.amdhsa_fp16_overflow 0
		.amdhsa_tg_split 0
		.amdhsa_exception_fp_ieee_invalid_op 0
		.amdhsa_exception_fp_denorm_src 0
		.amdhsa_exception_fp_ieee_div_zero 0
		.amdhsa_exception_fp_ieee_overflow 0
		.amdhsa_exception_fp_ieee_underflow 0
		.amdhsa_exception_fp_ieee_inexact 0
		.amdhsa_exception_int_div_zero 0
	.end_amdhsa_kernel
	.section	.text._ZL13mul_mat_vec_qIL9ggml_type18ELi1ELb0ELb1EEvPKvS2_PKi31ggml_cuda_mm_fusion_args_devicePfj15HIP_vector_typeIjLj3EEjjjS8_jjjS8_jjjj,"axG",@progbits,_ZL13mul_mat_vec_qIL9ggml_type18ELi1ELb0ELb1EEvPKvS2_PKi31ggml_cuda_mm_fusion_args_devicePfj15HIP_vector_typeIjLj3EEjjjS8_jjjS8_jjjj,comdat
.Lfunc_end194:
	.size	_ZL13mul_mat_vec_qIL9ggml_type18ELi1ELb0ELb1EEvPKvS2_PKi31ggml_cuda_mm_fusion_args_devicePfj15HIP_vector_typeIjLj3EEjjjS8_jjjS8_jjjj, .Lfunc_end194-_ZL13mul_mat_vec_qIL9ggml_type18ELi1ELb0ELb1EEvPKvS2_PKi31ggml_cuda_mm_fusion_args_devicePfj15HIP_vector_typeIjLj3EEjjjS8_jjjS8_jjjj
                                        ; -- End function
	.section	.AMDGPU.csdata,"",@progbits
; Kernel info:
; codeLenInByte = 5292
; NumSgprs: 34
; NumVgprs: 55
; NumAgprs: 0
; TotalNumVgprs: 55
; ScratchSize: 0
; MemoryBound: 0
; FloatMode: 240
; IeeeMode: 1
; LDSByteSize: 1536 bytes/workgroup (compile time only)
; SGPRBlocks: 4
; VGPRBlocks: 6
; NumSGPRsForWavesPerEU: 34
; NumVGPRsForWavesPerEU: 55
; AccumOffset: 56
; Occupancy: 8
; WaveLimiterHint : 0
; COMPUTE_PGM_RSRC2:SCRATCH_EN: 0
; COMPUTE_PGM_RSRC2:USER_SGPR: 4
; COMPUTE_PGM_RSRC2:TRAP_HANDLER: 0
; COMPUTE_PGM_RSRC2:TGID_X_EN: 1
; COMPUTE_PGM_RSRC2:TGID_Y_EN: 1
; COMPUTE_PGM_RSRC2:TGID_Z_EN: 1
; COMPUTE_PGM_RSRC2:TIDIG_COMP_CNT: 2
; COMPUTE_PGM_RSRC3_GFX90A:ACCUM_OFFSET: 13
; COMPUTE_PGM_RSRC3_GFX90A:TG_SPLIT: 0
	.section	.text._ZL13mul_mat_vec_qIL9ggml_type18ELi1ELb1ELb0EEvPKvS2_PKi31ggml_cuda_mm_fusion_args_devicePfj15HIP_vector_typeIjLj3EEjjjS8_jjjS8_jjjj,"axG",@progbits,_ZL13mul_mat_vec_qIL9ggml_type18ELi1ELb1ELb0EEvPKvS2_PKi31ggml_cuda_mm_fusion_args_devicePfj15HIP_vector_typeIjLj3EEjjjS8_jjjS8_jjjj,comdat
	.globl	_ZL13mul_mat_vec_qIL9ggml_type18ELi1ELb1ELb0EEvPKvS2_PKi31ggml_cuda_mm_fusion_args_devicePfj15HIP_vector_typeIjLj3EEjjjS8_jjjS8_jjjj ; -- Begin function _ZL13mul_mat_vec_qIL9ggml_type18ELi1ELb1ELb0EEvPKvS2_PKi31ggml_cuda_mm_fusion_args_devicePfj15HIP_vector_typeIjLj3EEjjjS8_jjjS8_jjjj
	.p2align	8
	.type	_ZL13mul_mat_vec_qIL9ggml_type18ELi1ELb1ELb0EEvPKvS2_PKi31ggml_cuda_mm_fusion_args_devicePfj15HIP_vector_typeIjLj3EEjjjS8_jjjS8_jjjj,@function
_ZL13mul_mat_vec_qIL9ggml_type18ELi1ELb1ELb0EEvPKvS2_PKi31ggml_cuda_mm_fusion_args_devicePfj15HIP_vector_typeIjLj3EEjjjS8_jjjS8_jjjj: ; @_ZL13mul_mat_vec_qIL9ggml_type18ELi1ELb1ELb0EEvPKvS2_PKi31ggml_cuda_mm_fusion_args_devicePfj15HIP_vector_typeIjLj3EEjjjS8_jjjS8_jjjj
; %bb.0:
	s_load_dwordx8 s[16:23], s[0:1], 0x0
	s_load_dwordx4 s[36:39], s[0:1], 0x20
	s_load_dwordx4 s[8:11], s[0:1], 0x40
	;; [unrolled: 1-line block ×3, first 2 shown]
	s_mov_b32 s14, s3
	s_waitcnt lgkmcnt(0)
	s_cmp_lg_u64 s[20:21], 0
	s_cselect_b64 s[6:7], -1, 0
	s_cmp_eq_u64 s[20:21], 0
	s_mov_b64 s[12:13], 0
	s_cbranch_scc1 .LBB195_5
; %bb.1:
	s_mov_b32 s15, 0
	s_lshl_b64 s[28:29], s[14:15], 2
	s_add_u32 s20, s20, s28
	s_addc_u32 s21, s21, s29
	s_load_dword s5, s[20:21], 0x0
	s_load_dword s15, s[0:1], 0x50
	;; [unrolled: 1-line block ×3, first 2 shown]
	s_andn2_b64 vcc, exec, s[12:13]
	s_cbranch_vccnz .LBB195_3
.LBB195_2:
	s_load_dwordx2 s[12:13], s[0:1], 0x5c
	s_waitcnt lgkmcnt(0)
	s_mul_hi_u32 s3, s12, s14
	s_add_i32 s3, s14, s3
	s_lshr_b32 s5, s3, s13
.LBB195_3:
	s_andn2_b64 vcc, exec, s[6:7]
	s_cbranch_vccnz .LBB195_6
; %bb.4:
	s_mul_hi_u32 s3, s9, s14
	s_add_i32 s3, s14, s3
	s_lshr_b32 s3, s3, s10
	s_mul_i32 s3, s3, s11
	s_sub_i32 s34, s14, s3
	s_waitcnt lgkmcnt(0)
	s_mov_b32 s3, s5
	s_branch .LBB195_7
.LBB195_5:
                                        ; implicit-def: $sgpr5
	s_load_dword s15, s[0:1], 0x50
	s_load_dword s33, s[0:1], 0x78
	s_branch .LBB195_2
.LBB195_6:
	s_mov_b32 s3, s14
	s_mov_b32 s34, s14
.LBB195_7:
	s_load_dwordx4 s[28:31], s[0:1], 0x80
	v_bfe_u32 v24, v0, 10, 10
	v_and_b32_e32 v21, 0x3ff, v0
	s_cmp_lg_u64 s[22:23], 0
	v_or_b32_e32 v0, v24, v21
	s_cselect_b64 s[12:13], -1, 0
	v_cmp_eq_u32_e32 vcc, 0, v0
	s_mov_b32 s21, 0
	s_and_b64 s[40:41], vcc, s[12:13]
	v_mov_b32_e32 v22, 0
	s_mul_i32 s10, s3, s26
	v_lshlrev_b32_e32 v20, 2, v21
	v_mov_b32_e32 v23, 0
	s_and_saveexec_b64 s[6:7], s[40:41]
	s_cbranch_execz .LBB195_9
; %bb.8:
	s_waitcnt lgkmcnt(0)
	s_mul_i32 s20, s4, s30
	s_lshl_b64 s[40:41], s[20:21], 2
	s_add_u32 s3, s22, s40
	s_mov_b32 s11, s21
	s_addc_u32 s9, s23, s41
	s_lshl_b64 s[20:21], s[10:11], 2
	s_add_u32 s11, s3, s20
	s_addc_u32 s9, s9, s21
	s_ashr_i32 s3, s2, 31
	s_lshl_b64 s[20:21], s[2:3], 2
	s_add_u32 s20, s11, s20
	s_addc_u32 s21, s9, s21
	global_load_dword v23, v20, s[20:21]
.LBB195_9:
	s_or_b64 exec, exec, s[6:7]
	s_cmp_lg_u64 s[36:37], 0
	s_cselect_b64 s[20:21], -1, 0
	s_cmp_lg_u64 s[38:39], 0
	s_cselect_b64 s[6:7], -1, 0
	s_and_b64 s[22:23], s[6:7], s[20:21]
	s_and_b64 s[40:41], vcc, s[22:23]
	s_and_saveexec_b64 s[22:23], s[40:41]
	s_cbranch_execz .LBB195_11
; %bb.10:
	s_waitcnt lgkmcnt(0)
	s_mul_i32 s40, s4, s30
	s_mov_b32 s41, 0
	s_lshl_b64 s[42:43], s[40:41], 2
	s_add_u32 s3, s38, s42
	s_mov_b32 s11, s41
	s_addc_u32 s9, s39, s43
	s_lshl_b64 s[10:11], s[10:11], 2
	s_add_u32 s31, s3, s10
	s_addc_u32 s9, s9, s11
	s_ashr_i32 s3, s2, 31
	s_lshl_b64 s[10:11], s[2:3], 2
	s_add_u32 s10, s31, s10
	s_addc_u32 s11, s9, s11
	global_load_dword v22, v20, s[10:11]
.LBB195_11:
	s_or_b64 exec, exec, s[22:23]
	v_lshl_add_u32 v0, v24, 6, v21
	s_lshr_b32 s3, s8, 8
	v_lshrrev_b32_e32 v26, 3, v0
	v_cndmask_b32_e64 v1, 0, 1, s[20:21]
	v_cmp_gt_u32_e32 vcc, s3, v26
	v_mov_b32_e32 v27, 0
	v_cmp_ne_u32_e64 s[8:9], 1, v1
	v_mov_b32_e32 v25, 0
	s_and_saveexec_b64 s[10:11], vcc
	s_cbranch_execz .LBB195_17
; %bb.12:
	s_mul_hi_u32 s21, s27, s4
	s_add_i32 s21, s4, s21
	s_waitcnt lgkmcnt(0)
	s_lshr_b32 s21, s21, s33
	s_mul_i32 s5, s5, s24
	s_mul_i32 s21, s21, s28
	;; [unrolled: 1-line block ×4, first 2 shown]
	s_add_i32 s5, s21, s5
	v_lshlrev_b32_e32 v1, 1, v21
	s_add_i32 s5, s5, s15
	s_mul_hi_u32 s15, s20, 36
	s_mul_i32 s20, s20, 36
	v_and_b32_e32 v2, 14, v1
	v_lshrrev_b32_e32 v5, 3, v0
	v_mov_b32_e32 v0, s20
	v_mov_b32_e32 v1, s15
	s_movk_i32 s15, 0x120
	s_mul_i32 s22, s4, s29
	v_mad_u64_u32 v[0:1], s[20:21], v5, s15, v[0:1]
	v_and_b32_e32 v3, 7, v21
	v_mad_u64_u32 v[0:1], s[20:21], s22, 36, v[0:1]
	v_mad_u64_u32 v[0:1], s[20:21], v3, 36, v[0:1]
	v_lshlrev_b32_e32 v4, 1, v2
	v_mov_b32_e32 v9, 0
	v_lshl_add_u64 v[0:1], v[0:1], 0, s[18:19]
	v_lshl_add_u64 v[10:11], v[0:1], 0, 16
	s_mov_b64 s[18:19], 0
	s_movk_i32 s15, 0x62
	v_mov_b64_e32 v[12:13], s[16:17]
	v_lshlrev_b32_e32 v8, 1, v2
	v_lshlrev_b32_e32 v14, 1, v4
	s_mov_b32 s22, 0xffff
	s_mov_b32 s23, 0x1010101
	s_movk_i32 s24, 0xff00
	s_mov_b64 s[16:17], 0x1200
	v_mov_b32_e32 v15, v9
	v_mov_b32_e32 v28, 2
	;; [unrolled: 1-line block ×5, first 2 shown]
	s_branch .LBB195_14
.LBB195_13:                             ;   in Loop: Header=BB195_14 Depth=1
	s_waitcnt vmcnt(9)
	v_and_b32_e32 v18, 0xff, v31
	v_bcnt_u32_b32 v19, v18, 0
	v_and_b32_e32 v19, 1, v19
	v_lshlrev_b32_e32 v19, 7, v19
	v_xor_b32_e32 v18, v19, v18
	v_mul_lo_u32 v18, v18, s23
	v_and_b32_e32 v19, 0x8000000, v18
	v_lshrrev_b32_e32 v42, 8, v18
	v_lshrrev_b16_e32 v43, 1, v42
	v_cmp_ne_u16_sdwa s[20:21], v19, v9 src0_sel:BYTE_3 src1_sel:DWORD
	v_and_b32_e32 v41, 1, v31
	v_bfe_i32 v43, v43, 0, 1
	v_lshrrev_b32_e32 v44, 18, v18
	v_cndmask_b32_e64 v19, 0, -1, s[20:21]
	v_sub_u16_e32 v41, 0, v41
	v_bfe_i32 v44, v44, 0, 1
	v_lshlrev_b16_e32 v19, 8, v19
	v_lshlrev_b16_e32 v43, 8, v43
	v_or_b32_sdwa v45, v44, v19 dst_sel:WORD_1 dst_unused:UNUSED_PAD src0_sel:BYTE_0 src1_sel:DWORD
	v_or_b32_sdwa v46, v41, v43 dst_sel:DWORD dst_unused:UNUSED_PAD src0_sel:BYTE_0 src1_sel:DWORD
	v_or_b32_sdwa v45, v46, v45 dst_sel:DWORD dst_unused:UNUSED_PAD src0_sel:WORD_0 src1_sel:DWORD
	s_waitcnt vmcnt(8)
	v_xor_b32_e32 v40, v40, v45
	v_and_b32_e32 v45, 0xffffff00, v40
	v_sub_i16 v43, v45, v43 clamp
	v_lshlrev_b16_e32 v45, 8, v40
	v_lshlrev_b16_e32 v41, 8, v41
	v_and_b32_e32 v43, 0xffffff00, v43
	v_sub_i16 v41, v45, v41 clamp
	v_or_b32_sdwa v41, v41, v43 dst_sel:DWORD dst_unused:UNUSED_PAD src0_sel:BYTE_1 src1_sel:DWORD
	v_and_b32_sdwa v43, v40, s24 dst_sel:DWORD dst_unused:UNUSED_PAD src0_sel:WORD_1 src1_sel:DWORD
	v_sub_i16 v19, v43, v19 clamp
	v_lshlrev_b16_sdwa v40, v29, v40 dst_sel:DWORD dst_unused:UNUSED_PAD src0_sel:DWORD src1_sel:WORD_1
	v_lshlrev_b16_e32 v43, 8, v44
	v_and_b32_e32 v19, 0xffffff00, v19
	v_sub_i16 v40, v40, v43 clamp
	v_or_b32_sdwa v19, v40, v19 dst_sel:WORD_1 dst_unused:UNUSED_PAD src0_sel:BYTE_1 src1_sel:DWORD
	v_and_b32_e32 v40, 0x80000000, v18
	v_lshrrev_b16_e32 v42, 5, v42
	v_cmp_ne_u16_sdwa s[20:21], v40, v9 src0_sel:BYTE_3 src1_sel:DWORD
	v_bfe_i32 v42, v42, 0, 1
	v_lshrrev_b32_e32 v18, 22, v18
	v_cndmask_b32_e64 v40, 0, -1, s[20:21]
	v_or_b32_sdwa v19, v41, v19 dst_sel:DWORD dst_unused:UNUSED_PAD src0_sel:WORD_0 src1_sel:DWORD
	v_bfe_i32 v41, v31, 4, 1
	v_bfe_i32 v18, v18, 0, 1
	v_lshlrev_b16_e32 v40, 8, v40
	v_lshlrev_b16_e32 v42, 8, v42
	v_or_b32_sdwa v43, v18, v40 dst_sel:WORD_1 dst_unused:UNUSED_PAD src0_sel:BYTE_0 src1_sel:DWORD
	v_or_b32_sdwa v44, v41, v42 dst_sel:DWORD dst_unused:UNUSED_PAD src0_sel:BYTE_0 src1_sel:DWORD
	v_or_b32_sdwa v43, v44, v43 dst_sel:DWORD dst_unused:UNUSED_PAD src0_sel:WORD_0 src1_sel:DWORD
	s_waitcnt vmcnt(7)
	v_xor_b32_e32 v39, v39, v43
	v_and_b32_e32 v43, 0xffffff00, v39
	v_sub_i16 v42, v43, v42 clamp
	v_lshlrev_b16_e32 v43, 8, v39
	v_lshlrev_b16_e32 v41, 8, v41
	v_and_b32_e32 v42, 0xffffff00, v42
	v_sub_i16 v41, v43, v41 clamp
	v_or_b32_sdwa v41, v41, v42 dst_sel:DWORD dst_unused:UNUSED_PAD src0_sel:BYTE_1 src1_sel:DWORD
	v_and_b32_sdwa v42, v39, s24 dst_sel:DWORD dst_unused:UNUSED_PAD src0_sel:WORD_1 src1_sel:DWORD
	v_sub_i16 v40, v42, v40 clamp
	v_lshlrev_b16_sdwa v39, v29, v39 dst_sel:DWORD dst_unused:UNUSED_PAD src0_sel:DWORD src1_sel:WORD_1
	v_lshlrev_b16_e32 v18, 8, v18
	v_and_b32_e32 v40, 0xffffff00, v40
	v_sub_i16 v18, v39, v18 clamp
	v_or_b32_sdwa v18, v18, v40 dst_sel:WORD_1 dst_unused:UNUSED_PAD src0_sel:BYTE_1 src1_sel:DWORD
	v_mov_b32_e32 v39, 0
	v_or_b32_sdwa v18, v41, v18 dst_sel:DWORD dst_unused:UNUSED_PAD src0_sel:WORD_0 src1_sel:DWORD
	v_dot4c_i32_i8_e32 v39, v19, v5
	v_bfe_u32 v5, v31, 7, 8
	v_dot4c_i32_i8_e32 v39, v18, v6
	v_bcnt_u32_b32 v6, v5, 0
	v_and_b32_e32 v6, 1, v6
	v_lshlrev_b32_e32 v6, 7, v6
	v_xor_b32_e32 v5, v6, v5
	v_mul_lo_u32 v5, v5, s23
	v_and_b32_e32 v6, 0x8000000, v5
	v_lshrrev_b32_e32 v19, 8, v5
	v_lshrrev_b16_e32 v40, 1, v19
	v_cmp_ne_u16_sdwa s[20:21], v6, v9 src0_sel:BYTE_3 src1_sel:DWORD
	v_bfe_i32 v40, v40, 0, 1
	v_lshrrev_b32_e32 v41, 18, v5
	v_cndmask_b32_e64 v6, 0, -1, s[20:21]
	v_bfe_i32 v18, v31, 7, 1
	v_bfe_i32 v41, v41, 0, 1
	v_lshlrev_b16_e32 v40, 8, v40
	v_lshlrev_b16_e32 v6, 8, v6
	v_or_b32_sdwa v42, v18, v40 dst_sel:DWORD dst_unused:UNUSED_PAD src0_sel:BYTE_0 src1_sel:DWORD
	v_or_b32_sdwa v43, v41, v6 dst_sel:WORD_1 dst_unused:UNUSED_PAD src0_sel:BYTE_0 src1_sel:DWORD
	v_lshlrev_b16_e32 v18, 8, v18
	v_or_b32_sdwa v42, v42, v43 dst_sel:DWORD dst_unused:UNUSED_PAD src0_sel:WORD_0 src1_sel:DWORD
	s_waitcnt vmcnt(6)
	v_xor_b32_e32 v38, v38, v42
	v_and_b32_e32 v42, 0xffffff00, v38
	v_sub_i16 v40, v42, v40 clamp
	v_lshlrev_b16_e32 v42, 8, v38
	v_and_b32_e32 v40, 0xffffff00, v40
	v_sub_i16 v18, v42, v18 clamp
	v_or_b32_sdwa v18, v18, v40 dst_sel:DWORD dst_unused:UNUSED_PAD src0_sel:BYTE_1 src1_sel:DWORD
	v_and_b32_sdwa v40, v38, s24 dst_sel:DWORD dst_unused:UNUSED_PAD src0_sel:WORD_1 src1_sel:DWORD
	v_sub_i16 v6, v40, v6 clamp
	v_lshlrev_b16_sdwa v38, v29, v38 dst_sel:DWORD dst_unused:UNUSED_PAD src0_sel:DWORD src1_sel:WORD_1
	v_lshlrev_b16_e32 v40, 8, v41
	v_and_b32_e32 v6, 0xffffff00, v6
	v_sub_i16 v38, v38, v40 clamp
	v_or_b32_sdwa v6, v38, v6 dst_sel:WORD_1 dst_unused:UNUSED_PAD src0_sel:BYTE_1 src1_sel:DWORD
	v_lshrrev_b16_e32 v19, 5, v19
	v_or_b32_sdwa v6, v18, v6 dst_sel:DWORD dst_unused:UNUSED_PAD src0_sel:WORD_0 src1_sel:DWORD
	v_and_b32_e32 v18, 0x80000000, v5
	v_cmp_ne_u16_sdwa s[20:21], v18, v9 src0_sel:BYTE_3 src1_sel:DWORD
	v_bfe_i32 v19, v19, 0, 1
	v_lshrrev_b32_e32 v5, 22, v5
	v_cndmask_b32_e64 v18, 0, -1, s[20:21]
	v_bfe_i32 v38, v31, 11, 1
	v_bfe_i32 v5, v5, 0, 1
	v_lshlrev_b16_e32 v19, 8, v19
	v_lshlrev_b16_e32 v18, 8, v18
	v_or_b32_sdwa v40, v38, v19 dst_sel:DWORD dst_unused:UNUSED_PAD src0_sel:BYTE_0 src1_sel:DWORD
	v_or_b32_sdwa v41, v5, v18 dst_sel:WORD_1 dst_unused:UNUSED_PAD src0_sel:BYTE_0 src1_sel:DWORD
	v_lshlrev_b16_e32 v38, 8, v38
	v_or_b32_sdwa v40, v40, v41 dst_sel:DWORD dst_unused:UNUSED_PAD src0_sel:WORD_0 src1_sel:DWORD
	s_waitcnt vmcnt(5)
	v_xor_b32_e32 v37, v37, v40
	v_and_b32_e32 v40, 0xffffff00, v37
	v_sub_i16 v19, v40, v19 clamp
	v_lshlrev_b16_e32 v40, 8, v37
	v_and_b32_e32 v19, 0xffffff00, v19
	v_sub_i16 v38, v40, v38 clamp
	v_or_b32_sdwa v19, v38, v19 dst_sel:DWORD dst_unused:UNUSED_PAD src0_sel:BYTE_1 src1_sel:DWORD
	v_and_b32_sdwa v38, v37, s24 dst_sel:DWORD dst_unused:UNUSED_PAD src0_sel:WORD_1 src1_sel:DWORD
	v_sub_i16 v18, v38, v18 clamp
	v_lshlrev_b16_sdwa v37, v29, v37 dst_sel:DWORD dst_unused:UNUSED_PAD src0_sel:DWORD src1_sel:WORD_1
	v_lshlrev_b16_e32 v5, 8, v5
	v_and_b32_e32 v18, 0xffffff00, v18
	v_sub_i16 v5, v37, v5 clamp
	v_and_b32_e32 v17, 0xffff0000, v31
	v_or_b32_sdwa v5, v5, v18 dst_sel:WORD_1 dst_unused:UNUSED_PAD src0_sel:BYTE_1 src1_sel:DWORD
	v_and_or_b32 v17, v31, s22, v17
	v_or_b32_sdwa v5, v19, v5 dst_sel:DWORD dst_unused:UNUSED_PAD src0_sel:WORD_0 src1_sel:DWORD
	v_dot4c_i32_i8_e32 v39, v6, v7
	v_dot4c_i32_i8_e32 v39, v5, v0
	v_bfe_u32 v0, v17, 14, 8
	v_bcnt_u32_b32 v5, v0, 0
	v_and_b32_e32 v5, 1, v5
	v_lshlrev_b32_e32 v5, 7, v5
	v_xor_b32_e32 v0, v5, v0
	v_mul_lo_u32 v0, v0, s23
	v_and_b32_e32 v5, 0x8000000, v0
	v_lshrrev_b32_e32 v7, 8, v0
	v_lshrrev_b16_e32 v17, 1, v7
	v_cmp_ne_u16_sdwa s[20:21], v5, v9 src0_sel:BYTE_3 src1_sel:DWORD
	v_bfe_i32 v17, v17, 0, 1
	v_lshrrev_b32_e32 v18, 18, v0
	v_cndmask_b32_e64 v5, 0, -1, s[20:21]
	v_bfe_i32 v6, v31, 14, 1
	v_bfe_i32 v18, v18, 0, 1
	v_lshlrev_b16_e32 v5, 8, v5
	v_lshlrev_b16_e32 v17, 8, v17
	v_or_b32_sdwa v19, v18, v5 dst_sel:WORD_1 dst_unused:UNUSED_PAD src0_sel:BYTE_0 src1_sel:DWORD
	v_or_b32_sdwa v37, v6, v17 dst_sel:DWORD dst_unused:UNUSED_PAD src0_sel:BYTE_0 src1_sel:DWORD
	v_or_b32_sdwa v19, v37, v19 dst_sel:DWORD dst_unused:UNUSED_PAD src0_sel:WORD_0 src1_sel:DWORD
	s_waitcnt vmcnt(4)
	v_xor_b32_e32 v19, v36, v19
	v_and_b32_e32 v36, 0xffffff00, v19
	v_sub_i16 v17, v36, v17 clamp
	v_lshlrev_b16_e32 v36, 8, v19
	v_lshlrev_b16_e32 v6, 8, v6
	v_and_b32_e32 v17, 0xffffff00, v17
	v_sub_i16 v6, v36, v6 clamp
	v_or_b32_sdwa v6, v6, v17 dst_sel:DWORD dst_unused:UNUSED_PAD src0_sel:BYTE_1 src1_sel:DWORD
	v_and_b32_sdwa v17, v19, s24 dst_sel:DWORD dst_unused:UNUSED_PAD src0_sel:WORD_1 src1_sel:DWORD
	v_sub_i16 v5, v17, v5 clamp
	v_lshlrev_b16_sdwa v17, v29, v19 dst_sel:DWORD dst_unused:UNUSED_PAD src0_sel:DWORD src1_sel:WORD_1
	v_lshlrev_b16_e32 v18, 8, v18
	v_and_b32_e32 v5, 0xffffff00, v5
	v_sub_i16 v17, v17, v18 clamp
	v_or_b32_sdwa v5, v17, v5 dst_sel:WORD_1 dst_unused:UNUSED_PAD src0_sel:BYTE_1 src1_sel:DWORD
	v_lshrrev_b16_e32 v7, 5, v7
	v_or_b32_sdwa v5, v6, v5 dst_sel:DWORD dst_unused:UNUSED_PAD src0_sel:WORD_0 src1_sel:DWORD
	v_and_b32_e32 v6, 0x80000000, v0
	v_cmp_ne_u16_sdwa s[20:21], v6, v9 src0_sel:BYTE_3 src1_sel:DWORD
	v_lshrrev_b32_e32 v16, 16, v31
	v_bfe_i32 v7, v7, 0, 1
	v_lshrrev_b32_e32 v0, 22, v0
	v_cndmask_b32_e64 v6, 0, -1, s[20:21]
	v_bfe_i32 v17, v16, 2, 1
	v_bfe_i32 v0, v0, 0, 1
	v_lshlrev_b16_e32 v6, 8, v6
	v_lshlrev_b16_e32 v7, 8, v7
	v_or_b32_sdwa v18, v0, v6 dst_sel:WORD_1 dst_unused:UNUSED_PAD src0_sel:BYTE_0 src1_sel:DWORD
	v_or_b32_sdwa v19, v17, v7 dst_sel:DWORD dst_unused:UNUSED_PAD src0_sel:BYTE_0 src1_sel:DWORD
	v_or_b32_sdwa v18, v19, v18 dst_sel:DWORD dst_unused:UNUSED_PAD src0_sel:WORD_0 src1_sel:DWORD
	s_waitcnt vmcnt(3)
	v_xor_b32_e32 v18, v35, v18
	v_and_b32_e32 v19, 0xffffff00, v18
	v_sub_i16 v7, v19, v7 clamp
	v_lshlrev_b16_e32 v19, 8, v18
	v_lshlrev_b16_e32 v17, 8, v17
	v_and_b32_e32 v7, 0xffffff00, v7
	v_sub_i16 v17, v19, v17 clamp
	v_or_b32_sdwa v7, v17, v7 dst_sel:DWORD dst_unused:UNUSED_PAD src0_sel:BYTE_1 src1_sel:DWORD
	v_and_b32_sdwa v17, v18, s24 dst_sel:DWORD dst_unused:UNUSED_PAD src0_sel:WORD_1 src1_sel:DWORD
	v_sub_i16 v6, v17, v6 clamp
	v_lshlrev_b16_sdwa v17, v29, v18 dst_sel:DWORD dst_unused:UNUSED_PAD src0_sel:DWORD src1_sel:WORD_1
	v_lshlrev_b16_e32 v0, 8, v0
	v_and_b32_e32 v6, 0xffffff00, v6
	v_sub_i16 v0, v17, v0 clamp
	v_or_b32_sdwa v0, v0, v6 dst_sel:WORD_1 dst_unused:UNUSED_PAD src0_sel:BYTE_1 src1_sel:DWORD
	v_dot4c_i32_i8_e32 v39, v5, v1
	v_or_b32_sdwa v0, v7, v0 dst_sel:DWORD dst_unused:UNUSED_PAD src0_sel:WORD_0 src1_sel:DWORD
	v_dot4c_i32_i8_e32 v39, v0, v2
	v_bfe_u32 v0, v31, 21, 8
	v_bcnt_u32_b32 v1, v0, 0
	v_and_b32_e32 v1, 1, v1
	v_lshlrev_b32_e32 v1, 7, v1
	v_xor_b32_e32 v0, v1, v0
	v_mul_lo_u32 v0, v0, s23
	v_and_b32_e32 v1, 0x8000000, v0
	v_lshrrev_b32_e32 v5, 8, v0
	v_lshrrev_b16_e32 v6, 1, v5
	v_cmp_ne_u16_sdwa s[20:21], v1, v9 src0_sel:BYTE_3 src1_sel:DWORD
	v_bfe_i32 v6, v6, 0, 1
	v_lshrrev_b32_e32 v7, 18, v0
	v_cndmask_b32_e64 v1, 0, -1, s[20:21]
	v_bfe_i32 v2, v16, 5, 1
	v_bfe_i32 v7, v7, 0, 1
	v_lshlrev_b16_e32 v6, 8, v6
	v_lshlrev_b16_e32 v1, 8, v1
	v_or_b32_sdwa v17, v2, v6 dst_sel:DWORD dst_unused:UNUSED_PAD src0_sel:BYTE_0 src1_sel:DWORD
	v_or_b32_sdwa v18, v7, v1 dst_sel:WORD_1 dst_unused:UNUSED_PAD src0_sel:BYTE_0 src1_sel:DWORD
	v_lshlrev_b16_e32 v2, 8, v2
	v_or_b32_sdwa v17, v17, v18 dst_sel:DWORD dst_unused:UNUSED_PAD src0_sel:WORD_0 src1_sel:DWORD
	s_waitcnt vmcnt(2)
	v_xor_b32_e32 v17, v34, v17
	v_and_b32_e32 v18, 0xffffff00, v17
	v_sub_i16 v6, v18, v6 clamp
	v_lshlrev_b16_e32 v18, 8, v17
	v_and_b32_e32 v6, 0xffffff00, v6
	v_sub_i16 v2, v18, v2 clamp
	v_or_b32_sdwa v2, v2, v6 dst_sel:DWORD dst_unused:UNUSED_PAD src0_sel:BYTE_1 src1_sel:DWORD
	v_and_b32_sdwa v6, v17, s24 dst_sel:DWORD dst_unused:UNUSED_PAD src0_sel:WORD_1 src1_sel:DWORD
	v_sub_i16 v1, v6, v1 clamp
	v_lshlrev_b16_sdwa v6, v29, v17 dst_sel:DWORD dst_unused:UNUSED_PAD src0_sel:DWORD src1_sel:WORD_1
	v_lshlrev_b16_e32 v7, 8, v7
	v_and_b32_e32 v1, 0xffffff00, v1
	v_sub_i16 v6, v6, v7 clamp
	v_or_b32_sdwa v1, v6, v1 dst_sel:WORD_1 dst_unused:UNUSED_PAD src0_sel:BYTE_1 src1_sel:DWORD
	v_lshrrev_b16_e32 v5, 5, v5
	v_or_b32_sdwa v1, v2, v1 dst_sel:DWORD dst_unused:UNUSED_PAD src0_sel:WORD_0 src1_sel:DWORD
	v_and_b32_e32 v2, 0x80000000, v0
	v_cmp_ne_u16_sdwa s[20:21], v2, v9 src0_sel:BYTE_3 src1_sel:DWORD
	v_bfe_i32 v5, v5, 0, 1
	v_lshrrev_b32_e32 v0, 22, v0
	v_cndmask_b32_e64 v2, 0, -1, s[20:21]
	v_bfe_i32 v6, v16, 9, 1
	v_bfe_i32 v0, v0, 0, 1
	v_lshlrev_b16_e32 v5, 8, v5
	v_lshlrev_b16_e32 v2, 8, v2
	v_or_b32_sdwa v7, v6, v5 dst_sel:DWORD dst_unused:UNUSED_PAD src0_sel:BYTE_0 src1_sel:DWORD
	v_or_b32_sdwa v16, v0, v2 dst_sel:WORD_1 dst_unused:UNUSED_PAD src0_sel:BYTE_0 src1_sel:DWORD
	v_lshlrev_b16_e32 v6, 8, v6
	v_or_b32_sdwa v7, v7, v16 dst_sel:DWORD dst_unused:UNUSED_PAD src0_sel:WORD_0 src1_sel:DWORD
	s_waitcnt vmcnt(1)
	v_xor_b32_e32 v7, v33, v7
	v_and_b32_e32 v16, 0xffffff00, v7
	v_sub_i16 v5, v16, v5 clamp
	v_lshlrev_b16_e32 v16, 8, v7
	v_and_b32_e32 v5, 0xffffff00, v5
	v_sub_i16 v6, v16, v6 clamp
	v_or_b32_sdwa v5, v6, v5 dst_sel:DWORD dst_unused:UNUSED_PAD src0_sel:BYTE_1 src1_sel:DWORD
	v_and_b32_sdwa v6, v7, s24 dst_sel:DWORD dst_unused:UNUSED_PAD src0_sel:WORD_1 src1_sel:DWORD
	v_sub_i16 v2, v6, v2 clamp
	v_lshlrev_b16_sdwa v6, v29, v7 dst_sel:DWORD dst_unused:UNUSED_PAD src0_sel:DWORD src1_sel:WORD_1
	v_lshlrev_b16_e32 v0, 8, v0
	v_and_b32_e32 v2, 0xffffff00, v2
	v_sub_i16 v0, v6, v0 clamp
	v_or_b32_sdwa v0, v0, v2 dst_sel:WORD_1 dst_unused:UNUSED_PAD src0_sel:BYTE_1 src1_sel:DWORD
	v_dot4c_i32_i8_e32 v39, v1, v3
	v_or_b32_sdwa v0, v5, v0 dst_sel:DWORD dst_unused:UNUSED_PAD src0_sel:WORD_0 src1_sel:DWORD
	v_dot4c_i32_i8_e32 v39, v0, v30
	v_lshrrev_b32_e32 v1, 28, v31
	v_add_u32_e32 v26, 16, v26
	v_cmp_le_u32_e32 vcc, s3, v26
	v_lshrrev_b32_e32 v0, 31, v39
	v_add_u32_e32 v0, v39, v0
	v_ashrrev_i32_e32 v0, 1, v0
	v_mad_u64_u32 v[0:1], s[20:21], v39, v1, v[0:1]
	v_lshrrev_b32_e32 v1, 31, v0
	v_add_u32_e32 v0, v0, v1
	v_ashrrev_i32_e32 v0, 1, v0
	s_waitcnt vmcnt(0)
	v_cvt_f32_f16_e32 v1, v32
	v_cvt_f32_i32_e32 v0, v0
	s_or_b64 s[18:19], vcc, s[18:19]
	v_lshl_add_u64 v[10:11], v[10:11], 0, s[16:17]
	v_mul_f32_e32 v1, v1, v4
	v_fmac_f32_e32 v27, v1, v0
	s_andn2_b64 exec, exec, s[18:19]
	s_cbranch_execz .LBB195_16
.LBB195_14:                             ; =>This Inner Loop Header: Depth=1
	v_add_u32_e32 v16, s5, v26
	v_mad_i64_i32 v[18:19], s[20:21], v16, s15, v[12:13]
	v_lshl_add_u64 v[0:1], v[18:19], 0, v[14:15]
	global_load_dwordx2 v[32:33], v[0:1], off offset:2
	s_getpc_b64 s[20:21]
	s_add_u32 s20, s20, _ZL11iq3xxs_grid@rel32@lo+4
	s_addc_u32 s21, s21, _ZL11iq3xxs_grid@rel32@hi+12
	v_lshl_add_u64 v[34:35], v[18:19], 0, v[8:9]
	global_load_dwordx4 v[4:7], v[10:11], off offset:-16
	global_load_dwordx4 v[0:3], v[10:11], off
	global_load_dword v30, v[10:11], off offset:16
	global_load_dword v31, v[34:35], off offset:66
	s_and_b64 vcc, exec, s[8:9]
	s_waitcnt vmcnt(4)
	v_lshlrev_b32_sdwa v17, v28, v32 dst_sel:DWORD dst_unused:UNUSED_PAD src0_sel:DWORD src1_sel:BYTE_0
	v_lshlrev_b32_sdwa v41, v28, v32 dst_sel:DWORD dst_unused:UNUSED_PAD src0_sel:DWORD src1_sel:BYTE_1
	v_lshlrev_b32_sdwa v42, v28, v32 dst_sel:DWORD dst_unused:UNUSED_PAD src0_sel:DWORD src1_sel:BYTE_2
	v_lshlrev_b32_sdwa v43, v28, v32 dst_sel:DWORD dst_unused:UNUSED_PAD src0_sel:DWORD src1_sel:BYTE_3
	v_lshlrev_b32_sdwa v44, v28, v33 dst_sel:DWORD dst_unused:UNUSED_PAD src0_sel:DWORD src1_sel:BYTE_0
	v_lshlrev_b32_sdwa v45, v28, v33 dst_sel:DWORD dst_unused:UNUSED_PAD src0_sel:DWORD src1_sel:BYTE_1
	v_lshlrev_b32_sdwa v46, v28, v33 dst_sel:DWORD dst_unused:UNUSED_PAD src0_sel:DWORD src1_sel:BYTE_2
	v_lshlrev_b32_sdwa v47, v28, v33 dst_sel:DWORD dst_unused:UNUSED_PAD src0_sel:DWORD src1_sel:BYTE_3
	global_load_dword v40, v17, s[20:21]
	global_load_dword v39, v41, s[20:21]
	;; [unrolled: 1-line block ×8, first 2 shown]
	global_load_ushort v32, v[18:19], off
	s_waitcnt vmcnt(12)
	v_cvt_f32_f16_e32 v4, v4
	s_cbranch_vccnz .LBB195_13
; %bb.15:                               ;   in Loop: Header=BB195_14 Depth=1
	v_mov_b64_e32 v[18:19], s[36:37]
	v_mad_i64_i32 v[16:17], s[28:29], v16, s15, v[18:19]
	v_lshl_add_u64 v[44:45], v[16:17], 0, v[14:15]
	v_lshl_add_u64 v[42:43], v[16:17], 0, v[8:9]
	global_load_dwordx2 v[18:19], v[44:45], off offset:2
	global_load_dword v41, v[42:43], off offset:66
	s_waitcnt vmcnt(1)
	v_lshlrev_b32_sdwa v44, v28, v18 dst_sel:DWORD dst_unused:UNUSED_PAD src0_sel:DWORD src1_sel:BYTE_0
	global_load_dword v44, v44, s[20:21]
	v_lshlrev_b32_sdwa v45, v28, v18 dst_sel:DWORD dst_unused:UNUSED_PAD src0_sel:DWORD src1_sel:BYTE_1
	global_load_dword v45, v45, s[20:21]
	s_waitcnt vmcnt(2)
	v_and_b32_e32 v46, 0xff, v41
	v_bcnt_u32_b32 v47, v46, 0
	v_and_b32_e32 v47, 1, v47
	v_lshlrev_b32_e32 v47, 7, v47
	v_xor_b32_e32 v46, v47, v46
	v_mul_lo_u32 v46, v46, s23
	v_and_b32_e32 v47, 0x8000000, v46
	v_lshrrev_b32_e32 v49, 8, v46
	v_lshrrev_b16_e32 v50, 1, v49
	v_cmp_ne_u16_sdwa s[28:29], v47, v9 src0_sel:BYTE_3 src1_sel:DWORD
	v_and_b32_e32 v48, 1, v41
	v_bfe_i32 v50, v50, 0, 1
	v_lshrrev_b32_e32 v51, 18, v46
	v_cndmask_b32_e64 v47, 0, -1, s[28:29]
	v_sub_u16_e32 v48, 0, v48
	v_bfe_i32 v51, v51, 0, 1
	v_lshlrev_b16_e32 v47, 8, v47
	v_lshlrev_b16_e32 v50, 8, v50
	v_or_b32_sdwa v52, v51, v47 dst_sel:WORD_1 dst_unused:UNUSED_PAD src0_sel:BYTE_0 src1_sel:DWORD
	v_or_b32_sdwa v53, v48, v50 dst_sel:DWORD dst_unused:UNUSED_PAD src0_sel:BYTE_0 src1_sel:DWORD
	v_or_b32_sdwa v52, v53, v52 dst_sel:DWORD dst_unused:UNUSED_PAD src0_sel:WORD_0 src1_sel:DWORD
	v_lshlrev_b16_e32 v48, 8, v48
	v_lshrrev_b16_e32 v49, 5, v49
	v_bfe_i32 v49, v49, 0, 1
	v_lshlrev_b16_e32 v49, 8, v49
	v_and_b32_e32 v43, 0xffff0000, v41
	v_and_or_b32 v43, v41, s22, v43
	v_bfe_u32 v43, v43, 14, 8
	global_load_ushort v16, v[16:17], off
	v_lshrrev_b32_e32 v42, 16, v41
	s_waitcnt vmcnt(2)
	v_xor_b32_e32 v44, v44, v52
	v_and_b32_e32 v52, 0xffffff00, v44
	v_sub_i16 v50, v52, v50 clamp
	v_lshlrev_b16_e32 v52, 8, v44
	v_and_b32_e32 v50, 0xffffff00, v50
	v_sub_i16 v48, v52, v48 clamp
	v_or_b32_sdwa v48, v48, v50 dst_sel:DWORD dst_unused:UNUSED_PAD src0_sel:BYTE_1 src1_sel:DWORD
	v_and_b32_sdwa v50, v44, s24 dst_sel:DWORD dst_unused:UNUSED_PAD src0_sel:WORD_1 src1_sel:DWORD
	v_sub_i16 v47, v50, v47 clamp
	v_lshlrev_b16_sdwa v44, v29, v44 dst_sel:DWORD dst_unused:UNUSED_PAD src0_sel:DWORD src1_sel:WORD_1
	v_lshlrev_b16_e32 v50, 8, v51
	v_and_b32_e32 v47, 0xffffff00, v47
	v_sub_i16 v44, v44, v50 clamp
	v_or_b32_sdwa v44, v44, v47 dst_sel:WORD_1 dst_unused:UNUSED_PAD src0_sel:BYTE_1 src1_sel:DWORD
	v_and_b32_e32 v47, 0x80000000, v46
	v_cmp_ne_u16_sdwa s[28:29], v47, v9 src0_sel:BYTE_3 src1_sel:DWORD
	v_lshrrev_b32_e32 v46, 22, v46
	v_or_b32_sdwa v44, v48, v44 dst_sel:DWORD dst_unused:UNUSED_PAD src0_sel:WORD_0 src1_sel:DWORD
	v_cndmask_b32_e64 v47, 0, -1, s[28:29]
	v_bfe_i32 v48, v41, 4, 1
	v_bfe_i32 v46, v46, 0, 1
	v_lshlrev_b16_e32 v47, 8, v47
	v_or_b32_sdwa v50, v46, v47 dst_sel:WORD_1 dst_unused:UNUSED_PAD src0_sel:BYTE_0 src1_sel:DWORD
	v_or_b32_sdwa v51, v48, v49 dst_sel:DWORD dst_unused:UNUSED_PAD src0_sel:BYTE_0 src1_sel:DWORD
	v_or_b32_sdwa v50, v51, v50 dst_sel:DWORD dst_unused:UNUSED_PAD src0_sel:WORD_0 src1_sel:DWORD
	s_waitcnt vmcnt(1)
	v_xor_b32_e32 v45, v45, v50
	v_and_b32_e32 v50, 0xffffff00, v45
	v_sub_i16 v49, v50, v49 clamp
	v_lshlrev_b16_e32 v50, 8, v45
	v_lshlrev_b16_e32 v48, 8, v48
	v_and_b32_e32 v49, 0xffffff00, v49
	v_sub_i16 v48, v50, v48 clamp
	v_or_b32_sdwa v48, v48, v49 dst_sel:DWORD dst_unused:UNUSED_PAD src0_sel:BYTE_1 src1_sel:DWORD
	v_and_b32_sdwa v49, v45, s24 dst_sel:DWORD dst_unused:UNUSED_PAD src0_sel:WORD_1 src1_sel:DWORD
	v_lshlrev_b16_sdwa v45, v29, v45 dst_sel:DWORD dst_unused:UNUSED_PAD src0_sel:DWORD src1_sel:WORD_1
	v_lshlrev_b16_e32 v46, 8, v46
	v_sub_i16 v45, v45, v46 clamp
	v_mov_b32_e32 v46, 0
	v_dot4c_i32_i8_e32 v46, v44, v5
	v_lshlrev_b32_sdwa v44, v28, v18 dst_sel:DWORD dst_unused:UNUSED_PAD src0_sel:DWORD src1_sel:BYTE_2
	global_load_dword v44, v44, s[20:21]
	v_lshlrev_b32_sdwa v18, v28, v18 dst_sel:DWORD dst_unused:UNUSED_PAD src0_sel:DWORD src1_sel:BYTE_3
	global_load_dword v18, v18, s[20:21]
	v_sub_i16 v47, v49, v47 clamp
	v_and_b32_e32 v47, 0xffffff00, v47
	v_or_b32_sdwa v45, v45, v47 dst_sel:WORD_1 dst_unused:UNUSED_PAD src0_sel:BYTE_1 src1_sel:DWORD
	s_waitcnt vmcnt(2)
	v_cvt_f32_f16_e32 v16, v16
	v_or_b32_sdwa v45, v48, v45 dst_sel:DWORD dst_unused:UNUSED_PAD src0_sel:WORD_0 src1_sel:DWORD
	v_dot4c_i32_i8_e32 v46, v45, v6
	v_bfe_u32 v45, v41, 7, 8
	v_bcnt_u32_b32 v47, v45, 0
	v_and_b32_e32 v47, 1, v47
	v_lshlrev_b32_e32 v47, 7, v47
	v_xor_b32_e32 v45, v47, v45
	v_mul_lo_u32 v45, v45, s23
	v_and_b32_e32 v47, 0x8000000, v45
	v_lshrrev_b32_e32 v49, 8, v45
	v_lshrrev_b16_e32 v50, 1, v49
	v_cmp_ne_u16_sdwa s[28:29], v47, v9 src0_sel:BYTE_3 src1_sel:DWORD
	v_bfe_i32 v50, v50, 0, 1
	v_lshrrev_b32_e32 v51, 18, v45
	v_cndmask_b32_e64 v47, 0, -1, s[28:29]
	v_bfe_i32 v48, v41, 7, 1
	v_bfe_i32 v51, v51, 0, 1
	v_lshlrev_b16_e32 v47, 8, v47
	v_lshlrev_b16_e32 v50, 8, v50
	v_or_b32_sdwa v52, v51, v47 dst_sel:WORD_1 dst_unused:UNUSED_PAD src0_sel:BYTE_0 src1_sel:DWORD
	v_or_b32_sdwa v53, v48, v50 dst_sel:DWORD dst_unused:UNUSED_PAD src0_sel:BYTE_0 src1_sel:DWORD
	v_or_b32_sdwa v52, v53, v52 dst_sel:DWORD dst_unused:UNUSED_PAD src0_sel:WORD_0 src1_sel:DWORD
	v_lshlrev_b16_e32 v48, 8, v48
	v_lshrrev_b16_e32 v49, 5, v49
	v_bfe_i32 v49, v49, 0, 1
	v_lshlrev_b16_e32 v49, 8, v49
	v_mul_f32_e32 v16, v4, v16
	s_waitcnt vmcnt(1)
	v_xor_b32_e32 v44, v44, v52
	v_and_b32_e32 v52, 0xffffff00, v44
	v_sub_i16 v50, v52, v50 clamp
	v_lshlrev_b16_e32 v52, 8, v44
	v_and_b32_e32 v50, 0xffffff00, v50
	v_sub_i16 v48, v52, v48 clamp
	v_or_b32_sdwa v48, v48, v50 dst_sel:DWORD dst_unused:UNUSED_PAD src0_sel:BYTE_1 src1_sel:DWORD
	v_and_b32_sdwa v50, v44, s24 dst_sel:DWORD dst_unused:UNUSED_PAD src0_sel:WORD_1 src1_sel:DWORD
	v_sub_i16 v47, v50, v47 clamp
	v_lshlrev_b16_sdwa v44, v29, v44 dst_sel:DWORD dst_unused:UNUSED_PAD src0_sel:DWORD src1_sel:WORD_1
	v_lshlrev_b16_e32 v50, 8, v51
	v_and_b32_e32 v47, 0xffffff00, v47
	v_sub_i16 v44, v44, v50 clamp
	v_or_b32_sdwa v44, v44, v47 dst_sel:WORD_1 dst_unused:UNUSED_PAD src0_sel:BYTE_1 src1_sel:DWORD
	v_and_b32_e32 v47, 0x80000000, v45
	v_cmp_ne_u16_sdwa s[28:29], v47, v9 src0_sel:BYTE_3 src1_sel:DWORD
	v_lshrrev_b32_e32 v45, 22, v45
	v_or_b32_sdwa v44, v48, v44 dst_sel:DWORD dst_unused:UNUSED_PAD src0_sel:WORD_0 src1_sel:DWORD
	v_cndmask_b32_e64 v47, 0, -1, s[28:29]
	v_bfe_i32 v48, v41, 11, 1
	v_bfe_i32 v45, v45, 0, 1
	v_lshlrev_b16_e32 v47, 8, v47
	v_or_b32_sdwa v50, v45, v47 dst_sel:WORD_1 dst_unused:UNUSED_PAD src0_sel:BYTE_0 src1_sel:DWORD
	v_or_b32_sdwa v51, v48, v49 dst_sel:DWORD dst_unused:UNUSED_PAD src0_sel:BYTE_0 src1_sel:DWORD
	v_or_b32_sdwa v50, v51, v50 dst_sel:DWORD dst_unused:UNUSED_PAD src0_sel:WORD_0 src1_sel:DWORD
	s_waitcnt vmcnt(0)
	v_xor_b32_e32 v18, v18, v50
	v_and_b32_e32 v50, 0xffffff00, v18
	v_sub_i16 v49, v50, v49 clamp
	v_lshlrev_b16_e32 v50, 8, v18
	v_lshlrev_b16_e32 v48, 8, v48
	v_and_b32_e32 v49, 0xffffff00, v49
	v_sub_i16 v48, v50, v48 clamp
	v_or_b32_sdwa v48, v48, v49 dst_sel:DWORD dst_unused:UNUSED_PAD src0_sel:BYTE_1 src1_sel:DWORD
	v_and_b32_sdwa v49, v18, s24 dst_sel:DWORD dst_unused:UNUSED_PAD src0_sel:WORD_1 src1_sel:DWORD
	v_sub_i16 v47, v49, v47 clamp
	v_lshlrev_b16_sdwa v18, v29, v18 dst_sel:DWORD dst_unused:UNUSED_PAD src0_sel:DWORD src1_sel:WORD_1
	v_lshlrev_b16_e32 v45, 8, v45
	v_and_b32_e32 v47, 0xffffff00, v47
	v_sub_i16 v18, v18, v45 clamp
	v_or_b32_sdwa v18, v18, v47 dst_sel:WORD_1 dst_unused:UNUSED_PAD src0_sel:BYTE_1 src1_sel:DWORD
	v_dot4c_i32_i8_e32 v46, v44, v7
	v_or_b32_sdwa v18, v48, v18 dst_sel:DWORD dst_unused:UNUSED_PAD src0_sel:WORD_0 src1_sel:DWORD
	v_dot4c_i32_i8_e32 v46, v18, v0
	v_lshlrev_b32_sdwa v18, v28, v19 dst_sel:DWORD dst_unused:UNUSED_PAD src0_sel:DWORD src1_sel:BYTE_0
	global_load_dword v18, v18, s[20:21]
	v_lshlrev_b32_sdwa v44, v28, v19 dst_sel:DWORD dst_unused:UNUSED_PAD src0_sel:DWORD src1_sel:BYTE_1
	global_load_dword v44, v44, s[20:21]
	v_bcnt_u32_b32 v45, v43, 0
	v_and_b32_e32 v45, 1, v45
	v_lshlrev_b32_e32 v45, 7, v45
	v_xor_b32_e32 v43, v45, v43
	v_mul_lo_u32 v43, v43, s23
	v_and_b32_e32 v45, 0x8000000, v43
	v_lshrrev_b32_e32 v48, 8, v43
	v_lshrrev_b16_e32 v49, 1, v48
	v_cmp_ne_u16_sdwa s[28:29], v45, v9 src0_sel:BYTE_3 src1_sel:DWORD
	v_bfe_i32 v49, v49, 0, 1
	v_lshrrev_b32_e32 v50, 18, v43
	v_cndmask_b32_e64 v45, 0, -1, s[28:29]
	v_bfe_i32 v47, v41, 14, 1
	v_bfe_i32 v50, v50, 0, 1
	v_lshlrev_b16_e32 v45, 8, v45
	v_lshlrev_b16_e32 v49, 8, v49
	v_or_b32_sdwa v51, v50, v45 dst_sel:WORD_1 dst_unused:UNUSED_PAD src0_sel:BYTE_0 src1_sel:DWORD
	v_or_b32_sdwa v52, v47, v49 dst_sel:DWORD dst_unused:UNUSED_PAD src0_sel:BYTE_0 src1_sel:DWORD
	v_or_b32_sdwa v51, v52, v51 dst_sel:DWORD dst_unused:UNUSED_PAD src0_sel:WORD_0 src1_sel:DWORD
	v_lshlrev_b16_e32 v47, 8, v47
	v_lshrrev_b16_e32 v48, 5, v48
	v_bfe_i32 v48, v48, 0, 1
	v_lshlrev_b16_e32 v48, 8, v48
	s_waitcnt vmcnt(1)
	v_xor_b32_e32 v18, v18, v51
	v_and_b32_e32 v51, 0xffffff00, v18
	v_sub_i16 v49, v51, v49 clamp
	v_lshlrev_b16_e32 v51, 8, v18
	v_and_b32_e32 v49, 0xffffff00, v49
	v_sub_i16 v47, v51, v47 clamp
	v_or_b32_sdwa v47, v47, v49 dst_sel:DWORD dst_unused:UNUSED_PAD src0_sel:BYTE_1 src1_sel:DWORD
	v_and_b32_sdwa v49, v18, s24 dst_sel:DWORD dst_unused:UNUSED_PAD src0_sel:WORD_1 src1_sel:DWORD
	v_sub_i16 v45, v49, v45 clamp
	v_lshlrev_b16_sdwa v18, v29, v18 dst_sel:DWORD dst_unused:UNUSED_PAD src0_sel:DWORD src1_sel:WORD_1
	v_lshlrev_b16_e32 v49, 8, v50
	v_and_b32_e32 v45, 0xffffff00, v45
	v_sub_i16 v18, v18, v49 clamp
	v_or_b32_sdwa v18, v18, v45 dst_sel:WORD_1 dst_unused:UNUSED_PAD src0_sel:BYTE_1 src1_sel:DWORD
	v_and_b32_e32 v45, 0x80000000, v43
	v_or_b32_sdwa v18, v47, v18 dst_sel:DWORD dst_unused:UNUSED_PAD src0_sel:WORD_0 src1_sel:DWORD
	v_dot4c_i32_i8_e32 v46, v18, v1
	v_lshlrev_b32_sdwa v18, v28, v19 dst_sel:DWORD dst_unused:UNUSED_PAD src0_sel:DWORD src1_sel:BYTE_2
	global_load_dword v18, v18, s[20:21]
	v_lshlrev_b32_sdwa v19, v28, v19 dst_sel:DWORD dst_unused:UNUSED_PAD src0_sel:DWORD src1_sel:BYTE_3
	global_load_dword v19, v19, s[20:21]
	v_cmp_ne_u16_sdwa s[28:29], v45, v9 src0_sel:BYTE_3 src1_sel:DWORD
	v_lshrrev_b32_e32 v43, 22, v43
	v_bfe_i32 v47, v42, 2, 1
	v_cndmask_b32_e64 v45, 0, -1, s[28:29]
	v_bfe_i32 v43, v43, 0, 1
	v_lshlrev_b16_e32 v45, 8, v45
	v_or_b32_sdwa v49, v43, v45 dst_sel:WORD_1 dst_unused:UNUSED_PAD src0_sel:BYTE_0 src1_sel:DWORD
	v_or_b32_sdwa v50, v47, v48 dst_sel:DWORD dst_unused:UNUSED_PAD src0_sel:BYTE_0 src1_sel:DWORD
	v_or_b32_sdwa v49, v50, v49 dst_sel:DWORD dst_unused:UNUSED_PAD src0_sel:WORD_0 src1_sel:DWORD
	s_waitcnt vmcnt(2)
	v_xor_b32_e32 v44, v44, v49
	v_and_b32_e32 v49, 0xffffff00, v44
	v_sub_i16 v48, v49, v48 clamp
	v_lshlrev_b16_e32 v49, 8, v44
	v_lshlrev_b16_e32 v47, 8, v47
	v_and_b32_e32 v48, 0xffffff00, v48
	v_sub_i16 v47, v49, v47 clamp
	v_or_b32_sdwa v47, v47, v48 dst_sel:DWORD dst_unused:UNUSED_PAD src0_sel:BYTE_1 src1_sel:DWORD
	v_and_b32_sdwa v48, v44, s24 dst_sel:DWORD dst_unused:UNUSED_PAD src0_sel:WORD_1 src1_sel:DWORD
	v_sub_i16 v45, v48, v45 clamp
	v_lshlrev_b16_sdwa v44, v29, v44 dst_sel:DWORD dst_unused:UNUSED_PAD src0_sel:DWORD src1_sel:WORD_1
	v_lshlrev_b16_e32 v43, 8, v43
	v_and_b32_e32 v45, 0xffffff00, v45
	v_sub_i16 v43, v44, v43 clamp
	v_or_b32_sdwa v43, v43, v45 dst_sel:WORD_1 dst_unused:UNUSED_PAD src0_sel:BYTE_1 src1_sel:DWORD
	v_bfe_i32 v45, v42, 5, 1
	v_or_b32_sdwa v43, v47, v43 dst_sel:DWORD dst_unused:UNUSED_PAD src0_sel:WORD_0 src1_sel:DWORD
	v_dot4c_i32_i8_e32 v46, v43, v2
	v_bfe_u32 v43, v41, 21, 8
	v_bcnt_u32_b32 v44, v43, 0
	v_and_b32_e32 v44, 1, v44
	v_lshlrev_b32_e32 v44, 7, v44
	v_xor_b32_e32 v43, v44, v43
	v_mul_lo_u32 v43, v43, s23
	v_and_b32_e32 v44, 0x8000000, v43
	v_lshrrev_b32_e32 v47, 8, v43
	v_lshrrev_b16_e32 v48, 1, v47
	v_cmp_ne_u16_sdwa s[20:21], v44, v9 src0_sel:BYTE_3 src1_sel:DWORD
	v_bfe_i32 v48, v48, 0, 1
	v_lshrrev_b32_e32 v49, 18, v43
	v_cndmask_b32_e64 v44, 0, -1, s[20:21]
	v_bfe_i32 v49, v49, 0, 1
	v_lshlrev_b16_e32 v44, 8, v44
	v_lshlrev_b16_e32 v48, 8, v48
	v_or_b32_sdwa v50, v49, v44 dst_sel:WORD_1 dst_unused:UNUSED_PAD src0_sel:BYTE_0 src1_sel:DWORD
	v_or_b32_sdwa v51, v45, v48 dst_sel:DWORD dst_unused:UNUSED_PAD src0_sel:BYTE_0 src1_sel:DWORD
	v_or_b32_sdwa v50, v51, v50 dst_sel:DWORD dst_unused:UNUSED_PAD src0_sel:WORD_0 src1_sel:DWORD
	v_lshlrev_b16_e32 v45, 8, v45
	v_bfe_i32 v42, v42, 9, 1
	s_waitcnt vmcnt(1)
	v_xor_b32_e32 v18, v18, v50
	v_and_b32_e32 v50, 0xffffff00, v18
	v_sub_i16 v48, v50, v48 clamp
	v_lshlrev_b16_e32 v50, 8, v18
	v_and_b32_e32 v48, 0xffffff00, v48
	v_sub_i16 v45, v50, v45 clamp
	v_or_b32_sdwa v45, v45, v48 dst_sel:DWORD dst_unused:UNUSED_PAD src0_sel:BYTE_1 src1_sel:DWORD
	v_and_b32_sdwa v48, v18, s24 dst_sel:DWORD dst_unused:UNUSED_PAD src0_sel:WORD_1 src1_sel:DWORD
	v_sub_i16 v44, v48, v44 clamp
	v_lshlrev_b16_sdwa v18, v29, v18 dst_sel:DWORD dst_unused:UNUSED_PAD src0_sel:DWORD src1_sel:WORD_1
	v_lshlrev_b16_e32 v48, 8, v49
	v_and_b32_e32 v44, 0xffffff00, v44
	v_sub_i16 v18, v18, v48 clamp
	v_or_b32_sdwa v18, v18, v44 dst_sel:WORD_1 dst_unused:UNUSED_PAD src0_sel:BYTE_1 src1_sel:DWORD
	v_and_b32_e32 v44, 0x80000000, v43
	v_or_b32_sdwa v18, v45, v18 dst_sel:DWORD dst_unused:UNUSED_PAD src0_sel:WORD_0 src1_sel:DWORD
	v_lshrrev_b16_e32 v45, 5, v47
	v_cmp_ne_u16_sdwa s[20:21], v44, v9 src0_sel:BYTE_3 src1_sel:DWORD
	v_bfe_i32 v45, v45, 0, 1
	v_lshrrev_b32_e32 v43, 22, v43
	v_cndmask_b32_e64 v44, 0, -1, s[20:21]
	v_bfe_i32 v43, v43, 0, 1
	v_lshlrev_b16_e32 v44, 8, v44
	v_lshlrev_b16_e32 v45, 8, v45
	v_or_b32_sdwa v47, v43, v44 dst_sel:WORD_1 dst_unused:UNUSED_PAD src0_sel:BYTE_0 src1_sel:DWORD
	v_or_b32_sdwa v48, v42, v45 dst_sel:DWORD dst_unused:UNUSED_PAD src0_sel:BYTE_0 src1_sel:DWORD
	v_or_b32_sdwa v47, v48, v47 dst_sel:DWORD dst_unused:UNUSED_PAD src0_sel:WORD_0 src1_sel:DWORD
	s_waitcnt vmcnt(0)
	v_xor_b32_e32 v19, v19, v47
	v_and_b32_e32 v47, 0xffffff00, v19
	v_sub_i16 v45, v47, v45 clamp
	v_lshlrev_b16_e32 v47, 8, v19
	v_lshlrev_b16_e32 v42, 8, v42
	v_and_b32_e32 v45, 0xffffff00, v45
	v_sub_i16 v42, v47, v42 clamp
	v_or_b32_sdwa v42, v42, v45 dst_sel:DWORD dst_unused:UNUSED_PAD src0_sel:BYTE_1 src1_sel:DWORD
	v_and_b32_sdwa v45, v19, s24 dst_sel:DWORD dst_unused:UNUSED_PAD src0_sel:WORD_1 src1_sel:DWORD
	v_sub_i16 v44, v45, v44 clamp
	v_lshlrev_b16_sdwa v19, v29, v19 dst_sel:DWORD dst_unused:UNUSED_PAD src0_sel:DWORD src1_sel:WORD_1
	v_lshlrev_b16_e32 v43, 8, v43
	v_and_b32_e32 v44, 0xffffff00, v44
	v_sub_i16 v19, v19, v43 clamp
	v_or_b32_sdwa v19, v19, v44 dst_sel:WORD_1 dst_unused:UNUSED_PAD src0_sel:BYTE_1 src1_sel:DWORD
	v_dot4c_i32_i8_e32 v46, v18, v3
	v_or_b32_sdwa v19, v42, v19 dst_sel:DWORD dst_unused:UNUSED_PAD src0_sel:WORD_0 src1_sel:DWORD
	v_dot4c_i32_i8_e32 v46, v19, v30
	v_lshrrev_b32_e32 v19, 28, v41
	s_nop 1
	v_lshrrev_b32_e32 v18, 31, v46
	v_add_u32_e32 v18, v46, v18
	v_ashrrev_i32_e32 v18, 1, v18
	v_mad_u64_u32 v[18:19], s[20:21], v46, v19, v[18:19]
	v_lshrrev_b32_e32 v19, 31, v18
	v_add_u32_e32 v18, v18, v19
	v_ashrrev_i32_e32 v18, 1, v18
	v_cvt_f32_i32_e32 v17, v18
	v_fmac_f32_e32 v25, v16, v17
	s_branch .LBB195_13
.LBB195_16:
	s_or_b64 exec, exec, s[18:19]
.LBB195_17:
	s_or_b64 exec, exec, s[10:11]
	s_load_dword s3, s[0:1], 0x30
	v_cmp_eq_u32_e64 s[10:11], 0, v24
	v_cmp_ne_u32_e32 vcc, 0, v24
	s_and_saveexec_b64 s[16:17], vcc
	s_cbranch_execz .LBB195_20
; %bb.18:
	v_add_u32_e32 v0, -1, v24
	v_lshl_add_u32 v0, v0, 8, v20
	s_and_b64 vcc, exec, s[8:9]
	ds_write_b32 v0, v27
	s_cbranch_vccnz .LBB195_20
; %bb.19:
	ds_write_b32 v0, v25 offset:256
.LBB195_20:
	s_or_b64 exec, exec, s[16:17]
	s_waitcnt lgkmcnt(0)
	s_barrier
	s_and_saveexec_b64 s[16:17], s[10:11]
	s_cbranch_execz .LBB195_49
; %bb.21:
	ds_read_b32 v0, v20
	s_and_b64 vcc, exec, s[8:9]
	s_cbranch_vccnz .LBB195_23
; %bb.22:
	ds_read_b32 v1, v20 offset:256
	s_waitcnt lgkmcnt(0)
	v_add_f32_e32 v25, v25, v1
.LBB195_23:
	s_waitcnt lgkmcnt(0)
	v_add_f32_e32 v1, v27, v0
	v_mbcnt_lo_u32_b32 v0, -1, 0
	v_mbcnt_hi_u32_b32 v4, -1, v0
	v_and_b32_e32 v0, 64, v4
	v_add_u32_e32 v7, 64, v0
	v_xor_b32_e32 v0, 32, v4
	v_cmp_lt_i32_e32 vcc, v0, v7
	v_xor_b32_e32 v3, 16, v4
	v_xor_b32_e32 v5, 8, v4
	v_cndmask_b32_e32 v0, v4, v0, vcc
	v_lshlrev_b32_e32 v0, 2, v0
	ds_bpermute_b32 v2, v0, v1
	v_cmp_lt_i32_e32 vcc, v3, v7
	v_xor_b32_e32 v6, 4, v4
	v_xor_b32_e32 v8, 2, v4
	;; [unrolled: 1-line block ×3, first 2 shown]
	s_waitcnt lgkmcnt(0)
	v_add_f32_e32 v2, v1, v2
	v_cndmask_b32_e32 v1, v4, v3, vcc
	v_lshlrev_b32_e32 v1, 2, v1
	ds_bpermute_b32 v3, v1, v2
	v_cmp_lt_i32_e32 vcc, v5, v7
	s_waitcnt lgkmcnt(0)
	v_add_f32_e32 v2, v2, v3
	v_cndmask_b32_e32 v3, v4, v5, vcc
	v_lshlrev_b32_e32 v3, 2, v3
	ds_bpermute_b32 v5, v3, v2
	v_cmp_lt_i32_e32 vcc, v6, v7
	;; [unrolled: 6-line block ×4, first 2 shown]
	s_waitcnt lgkmcnt(0)
	v_add_f32_e32 v2, v2, v8
	v_cndmask_b32_e32 v4, v4, v9, vcc
	v_lshlrev_b32_e32 v7, 2, v4
	ds_bpermute_b32 v4, v7, v2
	s_and_b64 vcc, exec, s[8:9]
	s_cbranch_vccnz .LBB195_25
; %bb.24:
	ds_bpermute_b32 v0, v0, v25
	s_waitcnt lgkmcnt(0)
	v_add_f32_e32 v0, v25, v0
	ds_bpermute_b32 v1, v1, v0
	s_waitcnt lgkmcnt(0)
	v_add_f32_e32 v0, v0, v1
	ds_bpermute_b32 v1, v3, v0
	s_waitcnt lgkmcnt(0)
	v_add_f32_e32 v0, v0, v1
	ds_bpermute_b32 v1, v5, v0
	s_waitcnt lgkmcnt(0)
	v_add_f32_e32 v0, v0, v1
	ds_bpermute_b32 v1, v6, v0
	s_waitcnt lgkmcnt(0)
	v_add_f32_e32 v0, v0, v1
	ds_bpermute_b32 v1, v7, v0
	s_waitcnt lgkmcnt(0)
	v_add_f32_e32 v25, v0, v1
.LBB195_25:
	v_cmp_eq_u32_e32 vcc, 0, v21
	s_and_b64 exec, exec, vcc
	s_cbranch_execz .LBB195_49
; %bb.26:
	s_waitcnt lgkmcnt(0)
	v_add_f32_e32 v0, v2, v4
	s_waitcnt vmcnt(0)
	v_add_f32_e32 v1, v23, v0
	s_and_b64 vcc, exec, s[8:9]
	v_cndmask_b32_e64 v0, v0, v1, s[12:13]
	s_cbranch_vccnz .LBB195_48
; %bb.27:
	v_add_f32_e32 v1, v22, v25
	v_cndmask_b32_e64 v1, v25, v1, s[6:7]
	s_cmp_lt_i32 s3, 2
	s_mov_b64 s[6:7], 0
	s_cbranch_scc1 .LBB195_31
; %bb.28:
	s_cmp_gt_i32 s3, 2
	s_cbranch_scc0 .LBB195_32
; %bb.29:
	s_cmp_eq_u32 s3, 3
	s_cbranch_scc0 .LBB195_33
; %bb.30:
	v_max_f32_e32 v2, v1, v1
	v_min_f32_e32 v4, 0x40e00000, v2
	v_mul_f32_e32 v3, 0xbfd9db23, v4
	s_mov_b32 s5, 0x3fb8aa3b
	v_mul_f32_e32 v2, 0x3fb8aa3b, v3
	v_fma_f32 v5, v3, s5, -v2
	v_rndne_f32_e32 v6, v2
	v_fmamk_f32 v5, v3, 0x32a5705f, v5
	v_sub_f32_e32 v2, v2, v6
	v_add_f32_e32 v2, v2, v5
	v_exp_f32_e32 v5, v2
	v_cvt_i32_f32_e32 v6, v6
	s_mov_b32 s5, 0xc2ce8ed0
	v_max_f32_e32 v2, v0, v0
	v_cmp_ngt_f32_e32 vcc, s5, v3
	v_ldexp_f32 v5, v5, v6
	s_mov_b32 s5, 0x42b17218
	v_min_f32_e32 v2, 0x40e00000, v2
	v_cndmask_b32_e32 v5, 0, v5, vcc
	v_mov_b32_e32 v6, 0x7f800000
	v_cmp_nlt_f32_e32 vcc, s5, v3
	v_max_f32_e32 v2, 0xc0e00000, v2
	s_nop 0
	v_cndmask_b32_e32 v3, v6, v5, vcc
	v_pk_add_f32 v[2:3], v[2:3], 1.0 op_sel_hi:[1,0]
	s_nop 0
	v_div_scale_f32 v5, s[8:9], v3, v3, v4
	v_rcp_f32_e32 v6, v5
	s_mov_b64 s[8:9], 0
	v_fma_f32 v7, -v5, v6, 1.0
	v_fmac_f32_e32 v6, v7, v6
	v_div_scale_f32 v7, vcc, v4, v3, v4
	v_mul_f32_e32 v8, v7, v6
	v_fma_f32 v9, -v5, v8, v7
	v_fmac_f32_e32 v8, v9, v6
	v_fma_f32 v5, -v5, v8, v7
	v_div_fmas_f32 v5, v5, v6, v8
	v_div_fixup_f32 v3, v5, v3, v4
	v_mul_f32_e32 v2, v2, v3
	s_branch .LBB195_34
.LBB195_31:
                                        ; implicit-def: $vgpr2
	s_mov_b64 s[8:9], 0
	s_cbranch_execnz .LBB195_38
	s_branch .LBB195_39
.LBB195_32:
	s_mov_b64 s[10:11], -1
	s_mov_b64 s[8:9], 0
                                        ; implicit-def: $vgpr2
	s_branch .LBB195_35
.LBB195_33:
	s_mov_b64 s[8:9], -1
                                        ; implicit-def: $vgpr2
.LBB195_34:
	s_mov_b64 s[10:11], 0
.LBB195_35:
	s_and_b64 vcc, exec, s[10:11]
	s_cbranch_vccz .LBB195_37
; %bb.36:
	v_mul_f32_e32 v2, 0xbfb8aa3b, v1
	s_mov_b32 s5, 0xbfb8aa3b
	v_rndne_f32_e32 v3, v2
	v_sub_f32_e32 v4, v2, v3
	v_fma_f32 v2, v1, s5, -v2
	v_fmamk_f32 v2, v1, 0xb2a5705f, v2
	v_add_f32_e32 v2, v4, v2
	v_exp_f32_e32 v2, v2
	v_cvt_i32_f32_e32 v3, v3
	s_mov_b32 s5, 0x42ce8ed0
	v_cmp_nlt_f32_e32 vcc, s5, v1
	s_mov_b32 s5, 0xc2b17218
	v_ldexp_f32 v2, v2, v3
	v_cndmask_b32_e32 v2, 0, v2, vcc
	v_mov_b32_e32 v3, 0x7f800000
	v_cmp_ngt_f32_e32 vcc, s5, v1
	s_nop 1
	v_cndmask_b32_e32 v2, v3, v2, vcc
	v_add_f32_e32 v2, 1.0, v2
	v_div_scale_f32 v3, s[10:11], v2, v2, v1
	v_rcp_f32_e32 v4, v3
	s_nop 0
	v_fma_f32 v5, -v3, v4, 1.0
	v_fmac_f32_e32 v4, v5, v4
	v_div_scale_f32 v5, vcc, v1, v2, v1
	v_mul_f32_e32 v6, v5, v4
	v_fma_f32 v7, -v3, v6, v5
	v_fmac_f32_e32 v6, v7, v4
	v_fma_f32 v3, -v3, v6, v5
	v_div_fmas_f32 v3, v3, v4, v6
	v_div_fixup_f32 v2, v3, v2, v1
	v_mul_f32_e32 v2, v0, v2
.LBB195_37:
	s_branch .LBB195_39
.LBB195_38:
	s_cmp_lg_u32 s3, 1
	s_mov_b64 s[6:7], -1
	s_cselect_b64 s[8:9], -1, 0
                                        ; implicit-def: $vgpr2
.LBB195_39:
	s_andn2_b64 vcc, exec, s[8:9]
	s_cbranch_vccz .LBB195_41
; %bb.40:
	s_andn2_b64 vcc, exec, s[6:7]
	s_cbranch_vccz .LBB195_42
	s_branch .LBB195_47
.LBB195_41:
	v_mul_f32_e32 v2, v0, v1
	s_cbranch_execnz .LBB195_47
.LBB195_42:
	v_mul_f32_e32 v3, 0x3d372713, v1
	v_mul_f32_e32 v2, 0x3f4c422a, v1
	v_fma_f32 v3, v1, v3, 1.0
	v_mul_f32_e32 v2, v2, v3
	s_mov_b32 s3, 0x3f200000
	v_cmp_nlt_f32_e64 s[6:7], |v2|, s3
                                        ; implicit-def: $vgpr3
	s_and_saveexec_b64 s[8:9], s[6:7]
	s_xor_b64 s[6:7], exec, s[8:9]
	s_cbranch_execz .LBB195_44
; %bb.43:
	v_add_f32_e64 v3, |v2|, |v2|
	v_mul_f32_e32 v4, 0x3fb8aa3b, v3
	s_mov_b32 s3, 0x3fb8aa3b
	v_rndne_f32_e32 v5, v4
	v_sub_f32_e32 v6, v4, v5
	v_fma_f32 v4, v3, s3, -v4
	v_fmamk_f32 v4, v3, 0x32a5705f, v4
	v_add_f32_e32 v4, v6, v4
	v_exp_f32_e32 v4, v4
	v_cvt_i32_f32_e32 v5, v5
	s_mov_b32 s3, 0xc2ce8ed0
	v_cmp_ngt_f32_e32 vcc, s3, v3
	s_mov_b32 s3, 0x42b17218
	v_ldexp_f32 v4, v4, v5
	v_cndmask_b32_e32 v4, 0, v4, vcc
	v_mov_b32_e32 v5, 0x7f800000
	v_cmp_nlt_f32_e32 vcc, s3, v3
	s_nop 1
	v_cndmask_b32_e32 v3, v5, v4, vcc
	v_add_f32_e32 v3, 1.0, v3
	v_rcp_f32_e32 v3, v3
	s_nop 0
	v_fma_f32 v3, v3, -2.0, 1.0
.LBB195_44:
	s_andn2_saveexec_b64 s[6:7], s[6:7]
; %bb.45:
	v_mul_f32_e32 v3, v2, v2
	v_mov_b32_e32 v4, 0x3ca908c9
	v_fmac_f32_e32 v4, 0xbbbac73d, v3
	v_fmaak_f32 v4, v3, v4, 0xbd5c1c4e
	v_fmaak_f32 v4, v3, v4, 0x3e088382
	;; [unrolled: 1-line block ×3, first 2 shown]
	v_mul_f32_e64 v4, |v2|, v4
	v_fma_f32 v3, v3, v4, |v2|
; %bb.46:
	s_or_b64 exec, exec, s[6:7]
	s_brev_b32 s3, -2
	v_bfi_b32 v2, s3, v3, v2
	v_mul_f32_e32 v1, 0.5, v1
	v_add_f32_e32 v2, 1.0, v2
	v_mul_f32_e32 v1, v1, v2
	v_mul_f32_e32 v2, v0, v1
.LBB195_47:
	v_mov_b32_e32 v0, v2
.LBB195_48:
	s_load_dwordx2 s[0:1], s[0:1], 0x38
	s_mul_i32 s3, s14, s26
	s_mul_i32 s4, s4, s30
	s_add_i32 s2, s3, s2
	s_add_i32 s2, s2, s4
	s_mov_b32 s3, 0
	s_lshl_b64 s[2:3], s[2:3], 2
	s_waitcnt lgkmcnt(0)
	s_add_u32 s0, s0, s2
	s_addc_u32 s1, s1, s3
	global_store_dword v20, v0, s[0:1]
.LBB195_49:
	s_endpgm
	.section	.rodata,"a",@progbits
	.p2align	6, 0x0
	.amdhsa_kernel _ZL13mul_mat_vec_qIL9ggml_type18ELi1ELb1ELb0EEvPKvS2_PKi31ggml_cuda_mm_fusion_args_devicePfj15HIP_vector_typeIjLj3EEjjjS8_jjjS8_jjjj
		.amdhsa_group_segment_fixed_size 512
		.amdhsa_private_segment_fixed_size 0
		.amdhsa_kernarg_size 144
		.amdhsa_user_sgpr_count 2
		.amdhsa_user_sgpr_dispatch_ptr 0
		.amdhsa_user_sgpr_queue_ptr 0
		.amdhsa_user_sgpr_kernarg_segment_ptr 1
		.amdhsa_user_sgpr_dispatch_id 0
		.amdhsa_user_sgpr_kernarg_preload_length 0
		.amdhsa_user_sgpr_kernarg_preload_offset 0
		.amdhsa_user_sgpr_private_segment_size 0
		.amdhsa_uses_dynamic_stack 0
		.amdhsa_enable_private_segment 0
		.amdhsa_system_sgpr_workgroup_id_x 1
		.amdhsa_system_sgpr_workgroup_id_y 1
		.amdhsa_system_sgpr_workgroup_id_z 1
		.amdhsa_system_sgpr_workgroup_info 0
		.amdhsa_system_vgpr_workitem_id 1
		.amdhsa_next_free_vgpr 54
		.amdhsa_next_free_sgpr 44
		.amdhsa_accum_offset 56
		.amdhsa_reserve_vcc 1
		.amdhsa_float_round_mode_32 0
		.amdhsa_float_round_mode_16_64 0
		.amdhsa_float_denorm_mode_32 3
		.amdhsa_float_denorm_mode_16_64 3
		.amdhsa_dx10_clamp 1
		.amdhsa_ieee_mode 1
		.amdhsa_fp16_overflow 0
		.amdhsa_tg_split 0
		.amdhsa_exception_fp_ieee_invalid_op 0
		.amdhsa_exception_fp_denorm_src 0
		.amdhsa_exception_fp_ieee_div_zero 0
		.amdhsa_exception_fp_ieee_overflow 0
		.amdhsa_exception_fp_ieee_underflow 0
		.amdhsa_exception_fp_ieee_inexact 0
		.amdhsa_exception_int_div_zero 0
	.end_amdhsa_kernel
	.section	.text._ZL13mul_mat_vec_qIL9ggml_type18ELi1ELb1ELb0EEvPKvS2_PKi31ggml_cuda_mm_fusion_args_devicePfj15HIP_vector_typeIjLj3EEjjjS8_jjjS8_jjjj,"axG",@progbits,_ZL13mul_mat_vec_qIL9ggml_type18ELi1ELb1ELb0EEvPKvS2_PKi31ggml_cuda_mm_fusion_args_devicePfj15HIP_vector_typeIjLj3EEjjjS8_jjjS8_jjjj,comdat
.Lfunc_end195:
	.size	_ZL13mul_mat_vec_qIL9ggml_type18ELi1ELb1ELb0EEvPKvS2_PKi31ggml_cuda_mm_fusion_args_devicePfj15HIP_vector_typeIjLj3EEjjjS8_jjjS8_jjjj, .Lfunc_end195-_ZL13mul_mat_vec_qIL9ggml_type18ELi1ELb1ELb0EEvPKvS2_PKi31ggml_cuda_mm_fusion_args_devicePfj15HIP_vector_typeIjLj3EEjjjS8_jjjS8_jjjj
                                        ; -- End function
	.section	.AMDGPU.csdata,"",@progbits
; Kernel info:
; codeLenInByte = 6352
; NumSgprs: 50
; NumVgprs: 54
; NumAgprs: 0
; TotalNumVgprs: 54
; ScratchSize: 0
; MemoryBound: 0
; FloatMode: 240
; IeeeMode: 1
; LDSByteSize: 512 bytes/workgroup (compile time only)
; SGPRBlocks: 6
; VGPRBlocks: 6
; NumSGPRsForWavesPerEU: 50
; NumVGPRsForWavesPerEU: 54
; AccumOffset: 56
; Occupancy: 8
; WaveLimiterHint : 0
; COMPUTE_PGM_RSRC2:SCRATCH_EN: 0
; COMPUTE_PGM_RSRC2:USER_SGPR: 2
; COMPUTE_PGM_RSRC2:TRAP_HANDLER: 0
; COMPUTE_PGM_RSRC2:TGID_X_EN: 1
; COMPUTE_PGM_RSRC2:TGID_Y_EN: 1
; COMPUTE_PGM_RSRC2:TGID_Z_EN: 1
; COMPUTE_PGM_RSRC2:TIDIG_COMP_CNT: 1
; COMPUTE_PGM_RSRC3_GFX90A:ACCUM_OFFSET: 13
; COMPUTE_PGM_RSRC3_GFX90A:TG_SPLIT: 0
	.section	.text._ZL13mul_mat_vec_qIL9ggml_type18ELi1ELb0ELb0EEvPKvS2_PKi31ggml_cuda_mm_fusion_args_devicePfj15HIP_vector_typeIjLj3EEjjjS8_jjjS8_jjjj,"axG",@progbits,_ZL13mul_mat_vec_qIL9ggml_type18ELi1ELb0ELb0EEvPKvS2_PKi31ggml_cuda_mm_fusion_args_devicePfj15HIP_vector_typeIjLj3EEjjjS8_jjjS8_jjjj,comdat
	.globl	_ZL13mul_mat_vec_qIL9ggml_type18ELi1ELb0ELb0EEvPKvS2_PKi31ggml_cuda_mm_fusion_args_devicePfj15HIP_vector_typeIjLj3EEjjjS8_jjjS8_jjjj ; -- Begin function _ZL13mul_mat_vec_qIL9ggml_type18ELi1ELb0ELb0EEvPKvS2_PKi31ggml_cuda_mm_fusion_args_devicePfj15HIP_vector_typeIjLj3EEjjjS8_jjjS8_jjjj
	.p2align	8
	.type	_ZL13mul_mat_vec_qIL9ggml_type18ELi1ELb0ELb0EEvPKvS2_PKi31ggml_cuda_mm_fusion_args_devicePfj15HIP_vector_typeIjLj3EEjjjS8_jjjS8_jjjj,@function
_ZL13mul_mat_vec_qIL9ggml_type18ELi1ELb0ELb0EEvPKvS2_PKi31ggml_cuda_mm_fusion_args_devicePfj15HIP_vector_typeIjLj3EEjjjS8_jjjS8_jjjj: ; @_ZL13mul_mat_vec_qIL9ggml_type18ELi1ELb0ELb0EEvPKvS2_PKi31ggml_cuda_mm_fusion_args_devicePfj15HIP_vector_typeIjLj3EEjjjS8_jjjS8_jjjj
; %bb.0:
	s_load_dwordx2 s[8:9], s[0:1], 0x10
	s_load_dwordx4 s[16:19], s[0:1], 0x40
	s_mov_b32 s20, s3
	s_mov_b64 s[12:13], 0
	s_waitcnt lgkmcnt(0)
	s_cmp_lg_u64 s[8:9], 0
	s_cselect_b64 s[6:7], -1, 0
	s_cmp_eq_u64 s[8:9], 0
	s_cbranch_scc1 .LBB196_5
; %bb.1:
	s_mov_b32 s21, 0
	s_lshl_b64 s[10:11], s[20:21], 2
	s_add_u32 s8, s8, s10
	s_addc_u32 s9, s9, s11
	s_load_dword s5, s[8:9], 0x0
	s_nop 0
	s_load_dwordx4 s[8:11], s[0:1], 0x68
	s_load_dword s21, s[0:1], 0x50
	s_andn2_b64 vcc, exec, s[12:13]
	s_cbranch_vccnz .LBB196_3
.LBB196_2:
	s_load_dwordx2 s[12:13], s[0:1], 0x5c
	s_waitcnt lgkmcnt(0)
	s_mul_hi_u32 s3, s12, s20
	s_add_i32 s3, s20, s3
	s_lshr_b32 s5, s3, s13
.LBB196_3:
	s_load_dword s22, s[0:1], 0x78
	s_andn2_b64 vcc, exec, s[6:7]
	s_cbranch_vccnz .LBB196_6
; %bb.4:
	s_mul_hi_u32 s3, s17, s20
	s_add_i32 s3, s20, s3
	s_lshr_b32 s3, s3, s18
	s_mul_i32 s3, s3, s19
	s_sub_i32 s17, s20, s3
	s_branch .LBB196_7
.LBB196_5:
                                        ; implicit-def: $sgpr5
	s_load_dwordx4 s[8:11], s[0:1], 0x68
	s_load_dword s21, s[0:1], 0x50
	s_branch .LBB196_2
.LBB196_6:
	s_mov_b32 s17, s20
.LBB196_7:
	s_load_dwordx4 s[12:15], s[0:1], 0x80
	v_bfe_u32 v15, v0, 10, 10
	v_and_b32_e32 v14, 0x3ff, v0
	v_lshl_add_u32 v0, v15, 6, v14
	s_lshr_b32 s3, s16, 8
	v_lshrrev_b32_e32 v16, 3, v0
	v_cmp_gt_u32_e32 vcc, s3, v16
	v_mov_b32_e32 v17, 0
	s_and_saveexec_b64 s[6:7], vcc
	s_cbranch_execz .LBB196_11
; %bb.8:
	s_waitcnt lgkmcnt(0)
	s_mul_i32 s5, s5, s8
	s_mul_hi_u32 s8, s11, s4
	s_add_i32 s8, s4, s8
	s_lshr_b32 s8, s8, s22
	s_mul_i32 s9, s17, s9
	s_mul_i32 s8, s8, s12
	s_load_dwordx4 s[24:27], s[0:1], 0x0
	v_lshlrev_b32_e32 v1, 1, v14
	s_add_i32 s5, s8, s5
	s_mul_hi_u32 s8, s9, 36
	s_mul_i32 s9, s9, 36
	v_and_b32_e32 v2, 14, v1
	v_lshrrev_b32_e32 v4, 3, v0
	v_mov_b32_e32 v0, s9
	v_mov_b32_e32 v1, s8
	s_movk_i32 s8, 0x120
	s_mul_i32 s13, s4, s13
	v_mad_u64_u32 v[0:1], s[8:9], v4, s8, v[0:1]
	v_and_b32_e32 v3, 7, v14
	v_mad_u64_u32 v[0:1], s[8:9], s13, 36, v[0:1]
	v_mad_u64_u32 v[0:1], s[8:9], v3, 36, v[0:1]
	s_mul_i32 s15, s2, s21
	v_lshlrev_b32_e32 v10, 1, v2
	v_mov_b32_e32 v5, 0
	s_waitcnt lgkmcnt(0)
	v_lshl_add_u64 v[0:1], v[0:1], 0, s[26:27]
	s_add_i32 s5, s5, s15
	v_lshl_add_u64 v[6:7], v[0:1], 0, 16
	s_mov_b64 s[8:9], 0
	s_movk_i32 s11, 0x62
	v_mov_b64_e32 v[8:9], s[24:25]
	v_lshlrev_b32_e32 v4, 1, v2
	v_lshlrev_b32_e32 v10, 1, v10
	s_mov_b32 s15, 0xffff
	s_mov_b32 s18, 0x1010101
	s_movk_i32 s19, 0xff00
	s_mov_b64 s[12:13], 0x1200
	v_mov_b32_e32 v11, v5
	v_mov_b32_e32 v18, 2
	;; [unrolled: 1-line block ×4, first 2 shown]
.LBB196_9:                              ; =>This Inner Loop Header: Depth=1
	v_add_u32_e32 v0, s5, v16
	v_mad_i64_i32 v[12:13], s[16:17], v0, s11, v[8:9]
	v_lshl_add_u64 v[2:3], v[12:13], 0, v[10:11]
	v_lshl_add_u64 v[0:1], v[12:13], 0, v[4:5]
	global_load_dwordx2 v[24:25], v[2:3], off offset:2
	global_load_dword v26, v[0:1], off offset:66
	s_getpc_b64 s[16:17]
	s_add_u32 s16, s16, _ZL11iq3xxs_grid@rel32@lo+4
	s_addc_u32 s17, s17, _ZL11iq3xxs_grid@rel32@hi+12
	v_add_u32_e32 v16, 16, v16
	v_cmp_le_u32_e32 vcc, s3, v16
	s_or_b64 s[8:9], vcc, s[8:9]
	s_waitcnt vmcnt(1)
	v_lshlrev_b32_sdwa v1, v18, v24 dst_sel:DWORD dst_unused:UNUSED_PAD src0_sel:DWORD src1_sel:BYTE_1
	s_waitcnt vmcnt(0)
	v_and_b32_e32 v0, 0xffff0000, v26
	v_and_or_b32 v28, v26, s15, v0
	v_lshlrev_b32_sdwa v0, v18, v24 dst_sel:DWORD dst_unused:UNUSED_PAD src0_sel:DWORD src1_sel:BYTE_0
	global_load_dword v0, v0, s[16:17]
	v_bfe_i32 v35, v26, 4, 1
	global_load_dword v29, v1, s[16:17]
	v_and_b32_e32 v1, 0xff, v26
	v_bcnt_u32_b32 v2, v1, 0
	v_and_b32_e32 v2, 1, v2
	v_lshlrev_b32_e32 v2, 7, v2
	v_xor_b32_e32 v1, v2, v1
	v_mul_lo_u32 v30, v1, s18
	v_and_b32_e32 v1, 0x8000000, v30
	v_lshrrev_b32_e32 v31, 8, v30
	v_lshrrev_b16_e32 v3, 1, v31
	v_cmp_ne_u16_sdwa s[22:23], v1, v5 src0_sel:BYTE_3 src1_sel:DWORD
	v_and_b32_e32 v2, 1, v26
	v_bfe_i32 v3, v3, 0, 1
	v_lshrrev_b32_e32 v20, 18, v30
	v_cndmask_b32_e64 v1, 0, -1, s[22:23]
	v_sub_u16_e32 v2, 0, v2
	v_bfe_i32 v20, v20, 0, 1
	v_lshlrev_b16_e32 v1, 8, v1
	v_lshlrev_b16_e32 v3, 8, v3
	v_or_b32_sdwa v21, v20, v1 dst_sel:WORD_1 dst_unused:UNUSED_PAD src0_sel:BYTE_0 src1_sel:DWORD
	v_or_b32_sdwa v22, v2, v3 dst_sel:DWORD dst_unused:UNUSED_PAD src0_sel:BYTE_0 src1_sel:DWORD
	v_or_b32_sdwa v21, v22, v21 dst_sel:DWORD dst_unused:UNUSED_PAD src0_sel:WORD_0 src1_sel:DWORD
	v_lshlrev_b16_e32 v2, 8, v2
	v_and_b32_e32 v34, 0x80000000, v30
	v_lshrrev_b16_e32 v31, 5, v31
	v_cmp_ne_u16_sdwa s[22:23], v34, v5 src0_sel:BYTE_3 src1_sel:DWORD
	v_bfe_i32 v31, v31, 0, 1
	v_lshrrev_b32_e32 v30, 22, v30
	v_cndmask_b32_e64 v34, 0, -1, s[22:23]
	v_bfe_i32 v30, v30, 0, 1
	v_lshlrev_b16_e32 v34, 8, v34
	v_lshlrev_b16_e32 v31, 8, v31
	v_or_b32_sdwa v36, v30, v34 dst_sel:WORD_1 dst_unused:UNUSED_PAD src0_sel:BYTE_0 src1_sel:DWORD
	v_or_b32_sdwa v37, v35, v31 dst_sel:DWORD dst_unused:UNUSED_PAD src0_sel:BYTE_0 src1_sel:DWORD
	v_or_b32_sdwa v36, v37, v36 dst_sel:DWORD dst_unused:UNUSED_PAD src0_sel:WORD_0 src1_sel:DWORD
	v_lshlrev_b16_e32 v35, 8, v35
	v_lshlrev_b16_e32 v30, 8, v30
	v_lshrrev_b32_e32 v27, 16, v26
	s_waitcnt vmcnt(1)
	v_xor_b32_e32 v0, v0, v21
	v_and_b32_e32 v21, 0xffffff00, v0
	v_sub_i16 v3, v21, v3 clamp
	v_lshlrev_b16_e32 v21, 8, v0
	v_and_b32_e32 v3, 0xffffff00, v3
	v_sub_i16 v2, v21, v2 clamp
	v_or_b32_sdwa v2, v2, v3 dst_sel:DWORD dst_unused:UNUSED_PAD src0_sel:BYTE_1 src1_sel:DWORD
	v_and_b32_sdwa v3, v0, s19 dst_sel:DWORD dst_unused:UNUSED_PAD src0_sel:WORD_1 src1_sel:DWORD
	v_sub_i16 v1, v3, v1 clamp
	v_lshlrev_b16_sdwa v0, v19, v0 dst_sel:DWORD dst_unused:UNUSED_PAD src0_sel:DWORD src1_sel:WORD_1
	v_lshlrev_b16_e32 v3, 8, v20
	v_and_b32_e32 v1, 0xffffff00, v1
	v_sub_i16 v0, v0, v3 clamp
	v_or_b32_sdwa v0, v0, v1 dst_sel:WORD_1 dst_unused:UNUSED_PAD src0_sel:BYTE_1 src1_sel:DWORD
	s_waitcnt vmcnt(0)
	v_xor_b32_e32 v29, v29, v36
	v_or_b32_sdwa v32, v2, v0 dst_sel:DWORD dst_unused:UNUSED_PAD src0_sel:WORD_0 src1_sel:DWORD
	global_load_dwordx4 v[0:3], v[6:7], off offset:-16
	global_load_dword v33, v[6:7], off offset:16
	global_load_dwordx4 v[20:23], v[6:7], off
	v_and_b32_e32 v36, 0xffffff00, v29
	v_sub_i16 v31, v36, v31 clamp
	v_lshlrev_b16_e32 v36, 8, v29
	v_and_b32_e32 v31, 0xffffff00, v31
	v_sub_i16 v35, v36, v35 clamp
	v_or_b32_sdwa v31, v35, v31 dst_sel:DWORD dst_unused:UNUSED_PAD src0_sel:BYTE_1 src1_sel:DWORD
	v_and_b32_sdwa v35, v29, s19 dst_sel:DWORD dst_unused:UNUSED_PAD src0_sel:WORD_1 src1_sel:DWORD
	v_lshlrev_b16_sdwa v29, v19, v29 dst_sel:DWORD dst_unused:UNUSED_PAD src0_sel:DWORD src1_sel:WORD_1
	v_sub_i16 v29, v29, v30 clamp
	v_mov_b32_e32 v30, 0
	v_sub_i16 v34, v35, v34 clamp
	v_and_b32_e32 v34, 0xffffff00, v34
	v_or_b32_sdwa v29, v29, v34 dst_sel:WORD_1 dst_unused:UNUSED_PAD src0_sel:BYTE_1 src1_sel:DWORD
	v_lshl_add_u64 v[6:7], v[6:7], 0, s[12:13]
	v_or_b32_sdwa v29, v31, v29 dst_sel:DWORD dst_unused:UNUSED_PAD src0_sel:WORD_0 src1_sel:DWORD
	v_bfe_i32 v31, v26, 7, 1
	s_waitcnt vmcnt(2)
	v_dot4c_i32_i8_e32 v30, v32, v1
	v_lshlrev_b32_sdwa v1, v18, v24 dst_sel:DWORD dst_unused:UNUSED_PAD src0_sel:DWORD src1_sel:BYTE_2
	global_load_dword v1, v1, s[16:17]
	v_dot4c_i32_i8_e32 v30, v29, v2
	v_lshlrev_b32_sdwa v2, v18, v24 dst_sel:DWORD dst_unused:UNUSED_PAD src0_sel:DWORD src1_sel:BYTE_3
	global_load_dword v2, v2, s[16:17]
	v_bfe_u32 v24, v26, 7, 8
	v_bcnt_u32_b32 v29, v24, 0
	v_and_b32_e32 v29, 1, v29
	v_lshlrev_b32_e32 v29, 7, v29
	v_xor_b32_e32 v24, v29, v24
	v_mul_lo_u32 v24, v24, s18
	v_and_b32_e32 v29, 0x8000000, v24
	v_lshrrev_b32_e32 v32, 8, v24
	v_lshrrev_b16_e32 v34, 1, v32
	v_cmp_ne_u16_sdwa s[22:23], v29, v5 src0_sel:BYTE_3 src1_sel:DWORD
	v_bfe_i32 v34, v34, 0, 1
	v_lshrrev_b32_e32 v35, 18, v24
	v_cndmask_b32_e64 v29, 0, -1, s[22:23]
	v_bfe_i32 v35, v35, 0, 1
	v_lshlrev_b16_e32 v29, 8, v29
	v_lshlrev_b16_e32 v34, 8, v34
	v_or_b32_sdwa v36, v35, v29 dst_sel:WORD_1 dst_unused:UNUSED_PAD src0_sel:BYTE_0 src1_sel:DWORD
	v_or_b32_sdwa v37, v31, v34 dst_sel:DWORD dst_unused:UNUSED_PAD src0_sel:BYTE_0 src1_sel:DWORD
	v_or_b32_sdwa v36, v37, v36 dst_sel:DWORD dst_unused:UNUSED_PAD src0_sel:WORD_0 src1_sel:DWORD
	v_lshlrev_b16_e32 v31, 8, v31
	v_lshrrev_b16_e32 v32, 5, v32
	v_bfe_i32 v32, v32, 0, 1
	v_lshlrev_b16_e32 v32, 8, v32
	v_cvt_f32_f16_e32 v0, v0
	s_waitcnt vmcnt(1)
	v_xor_b32_e32 v1, v1, v36
	v_and_b32_e32 v36, 0xffffff00, v1
	v_sub_i16 v34, v36, v34 clamp
	v_lshlrev_b16_e32 v36, 8, v1
	v_and_b32_e32 v34, 0xffffff00, v34
	v_sub_i16 v31, v36, v31 clamp
	v_or_b32_sdwa v31, v31, v34 dst_sel:DWORD dst_unused:UNUSED_PAD src0_sel:BYTE_1 src1_sel:DWORD
	v_and_b32_sdwa v34, v1, s19 dst_sel:DWORD dst_unused:UNUSED_PAD src0_sel:WORD_1 src1_sel:DWORD
	v_sub_i16 v29, v34, v29 clamp
	v_lshlrev_b16_sdwa v1, v19, v1 dst_sel:DWORD dst_unused:UNUSED_PAD src0_sel:DWORD src1_sel:WORD_1
	v_lshlrev_b16_e32 v34, 8, v35
	v_and_b32_e32 v29, 0xffffff00, v29
	v_sub_i16 v1, v1, v34 clamp
	v_or_b32_sdwa v1, v1, v29 dst_sel:WORD_1 dst_unused:UNUSED_PAD src0_sel:BYTE_1 src1_sel:DWORD
	v_and_b32_e32 v29, 0x80000000, v24
	v_or_b32_sdwa v1, v31, v1 dst_sel:DWORD dst_unused:UNUSED_PAD src0_sel:WORD_0 src1_sel:DWORD
	v_cmp_ne_u16_sdwa s[22:23], v29, v5 src0_sel:BYTE_3 src1_sel:DWORD
	v_lshrrev_b32_e32 v24, 22, v24
	v_dot4c_i32_i8_e32 v30, v1, v3
	v_cndmask_b32_e64 v29, 0, -1, s[22:23]
	v_lshlrev_b32_sdwa v1, v18, v25 dst_sel:DWORD dst_unused:UNUSED_PAD src0_sel:DWORD src1_sel:BYTE_0
	v_bfe_i32 v31, v26, 11, 1
	v_bfe_i32 v24, v24, 0, 1
	v_lshlrev_b16_e32 v29, 8, v29
	global_load_dword v1, v1, s[16:17]
	v_or_b32_sdwa v34, v24, v29 dst_sel:WORD_1 dst_unused:UNUSED_PAD src0_sel:BYTE_0 src1_sel:DWORD
	v_or_b32_sdwa v35, v31, v32 dst_sel:DWORD dst_unused:UNUSED_PAD src0_sel:BYTE_0 src1_sel:DWORD
	v_or_b32_sdwa v34, v35, v34 dst_sel:DWORD dst_unused:UNUSED_PAD src0_sel:WORD_0 src1_sel:DWORD
	s_waitcnt vmcnt(1)
	v_xor_b32_e32 v2, v2, v34
	v_and_b32_e32 v34, 0xffffff00, v2
	v_sub_i16 v32, v34, v32 clamp
	v_lshlrev_b16_e32 v34, 8, v2
	v_lshlrev_b16_e32 v31, 8, v31
	v_and_b32_e32 v32, 0xffffff00, v32
	v_sub_i16 v31, v34, v31 clamp
	v_or_b32_sdwa v31, v31, v32 dst_sel:DWORD dst_unused:UNUSED_PAD src0_sel:BYTE_1 src1_sel:DWORD
	v_and_b32_sdwa v32, v2, s19 dst_sel:DWORD dst_unused:UNUSED_PAD src0_sel:WORD_1 src1_sel:DWORD
	v_sub_i16 v29, v32, v29 clamp
	v_lshlrev_b16_sdwa v2, v19, v2 dst_sel:DWORD dst_unused:UNUSED_PAD src0_sel:DWORD src1_sel:WORD_1
	v_lshlrev_b16_e32 v24, 8, v24
	v_and_b32_e32 v29, 0xffffff00, v29
	v_sub_i16 v2, v2, v24 clamp
	v_or_b32_sdwa v2, v2, v29 dst_sel:WORD_1 dst_unused:UNUSED_PAD src0_sel:BYTE_1 src1_sel:DWORD
	v_bfe_u32 v3, v28, 14, 8
	v_or_b32_sdwa v2, v31, v2 dst_sel:DWORD dst_unused:UNUSED_PAD src0_sel:WORD_0 src1_sel:DWORD
	v_dot4c_i32_i8_e32 v30, v2, v20
	v_lshlrev_b32_sdwa v2, v18, v25 dst_sel:DWORD dst_unused:UNUSED_PAD src0_sel:DWORD src1_sel:BYTE_1
	global_load_dword v2, v2, s[16:17]
	v_bcnt_u32_b32 v20, v3, 0
	v_and_b32_e32 v20, 1, v20
	v_lshlrev_b32_e32 v20, 7, v20
	v_xor_b32_e32 v3, v20, v3
	v_mul_lo_u32 v3, v3, s18
	v_and_b32_e32 v20, 0x8000000, v3
	v_lshrrev_b32_e32 v28, 8, v3
	v_lshrrev_b16_e32 v29, 1, v28
	v_cmp_ne_u16_sdwa s[22:23], v20, v5 src0_sel:BYTE_3 src1_sel:DWORD
	v_bfe_i32 v29, v29, 0, 1
	v_lshrrev_b32_e32 v31, 18, v3
	v_cndmask_b32_e64 v20, 0, -1, s[22:23]
	v_bfe_i32 v24, v26, 14, 1
	v_bfe_i32 v31, v31, 0, 1
	v_lshlrev_b16_e32 v20, 8, v20
	v_lshlrev_b16_e32 v29, 8, v29
	v_or_b32_sdwa v32, v31, v20 dst_sel:WORD_1 dst_unused:UNUSED_PAD src0_sel:BYTE_0 src1_sel:DWORD
	v_or_b32_sdwa v34, v24, v29 dst_sel:DWORD dst_unused:UNUSED_PAD src0_sel:BYTE_0 src1_sel:DWORD
	v_or_b32_sdwa v32, v34, v32 dst_sel:DWORD dst_unused:UNUSED_PAD src0_sel:WORD_0 src1_sel:DWORD
	v_lshlrev_b16_e32 v24, 8, v24
	v_lshrrev_b16_e32 v28, 5, v28
	v_bfe_i32 v28, v28, 0, 1
	v_lshlrev_b16_e32 v28, 8, v28
	s_waitcnt vmcnt(1)
	v_xor_b32_e32 v1, v1, v32
	v_and_b32_e32 v32, 0xffffff00, v1
	v_sub_i16 v29, v32, v29 clamp
	v_lshlrev_b16_e32 v32, 8, v1
	v_and_b32_e32 v29, 0xffffff00, v29
	v_sub_i16 v24, v32, v24 clamp
	v_or_b32_sdwa v24, v24, v29 dst_sel:DWORD dst_unused:UNUSED_PAD src0_sel:BYTE_1 src1_sel:DWORD
	v_and_b32_sdwa v29, v1, s19 dst_sel:DWORD dst_unused:UNUSED_PAD src0_sel:WORD_1 src1_sel:DWORD
	v_sub_i16 v20, v29, v20 clamp
	v_lshlrev_b16_sdwa v1, v19, v1 dst_sel:DWORD dst_unused:UNUSED_PAD src0_sel:DWORD src1_sel:WORD_1
	v_lshlrev_b16_e32 v29, 8, v31
	v_and_b32_e32 v20, 0xffffff00, v20
	v_sub_i16 v1, v1, v29 clamp
	v_or_b32_sdwa v1, v1, v20 dst_sel:WORD_1 dst_unused:UNUSED_PAD src0_sel:BYTE_1 src1_sel:DWORD
	v_and_b32_e32 v20, 0x80000000, v3
	v_or_b32_sdwa v1, v24, v1 dst_sel:DWORD dst_unused:UNUSED_PAD src0_sel:WORD_0 src1_sel:DWORD
	v_cmp_ne_u16_sdwa s[22:23], v20, v5 src0_sel:BYTE_3 src1_sel:DWORD
	v_lshrrev_b32_e32 v3, 22, v3
	v_dot4c_i32_i8_e32 v30, v1, v21
	v_cndmask_b32_e64 v20, 0, -1, s[22:23]
	v_lshlrev_b32_sdwa v1, v18, v25 dst_sel:DWORD dst_unused:UNUSED_PAD src0_sel:DWORD src1_sel:BYTE_2
	v_bfe_i32 v24, v27, 2, 1
	v_bfe_i32 v3, v3, 0, 1
	v_lshlrev_b16_e32 v20, 8, v20
	global_load_dword v1, v1, s[16:17]
	v_or_b32_sdwa v29, v3, v20 dst_sel:WORD_1 dst_unused:UNUSED_PAD src0_sel:BYTE_0 src1_sel:DWORD
	v_or_b32_sdwa v31, v24, v28 dst_sel:DWORD dst_unused:UNUSED_PAD src0_sel:BYTE_0 src1_sel:DWORD
	v_or_b32_sdwa v29, v31, v29 dst_sel:DWORD dst_unused:UNUSED_PAD src0_sel:WORD_0 src1_sel:DWORD
	s_waitcnt vmcnt(1)
	v_xor_b32_e32 v2, v2, v29
	v_and_b32_e32 v29, 0xffffff00, v2
	v_sub_i16 v28, v29, v28 clamp
	v_lshlrev_b16_e32 v29, 8, v2
	v_lshlrev_b16_e32 v24, 8, v24
	v_and_b32_e32 v28, 0xffffff00, v28
	v_sub_i16 v24, v29, v24 clamp
	v_or_b32_sdwa v24, v24, v28 dst_sel:DWORD dst_unused:UNUSED_PAD src0_sel:BYTE_1 src1_sel:DWORD
	v_and_b32_sdwa v28, v2, s19 dst_sel:DWORD dst_unused:UNUSED_PAD src0_sel:WORD_1 src1_sel:DWORD
	v_sub_i16 v20, v28, v20 clamp
	v_lshlrev_b16_sdwa v2, v19, v2 dst_sel:DWORD dst_unused:UNUSED_PAD src0_sel:DWORD src1_sel:WORD_1
	v_lshlrev_b16_e32 v3, 8, v3
	v_and_b32_e32 v20, 0xffffff00, v20
	v_sub_i16 v2, v2, v3 clamp
	v_or_b32_sdwa v2, v2, v20 dst_sel:WORD_1 dst_unused:UNUSED_PAD src0_sel:BYTE_1 src1_sel:DWORD
	v_bfe_u32 v3, v26, 21, 8
	v_or_b32_sdwa v2, v24, v2 dst_sel:DWORD dst_unused:UNUSED_PAD src0_sel:WORD_0 src1_sel:DWORD
	v_dot4c_i32_i8_e32 v30, v2, v22
	v_lshlrev_b32_sdwa v2, v18, v25 dst_sel:DWORD dst_unused:UNUSED_PAD src0_sel:DWORD src1_sel:BYTE_3
	global_load_dword v2, v2, s[16:17]
	v_bcnt_u32_b32 v20, v3, 0
	v_and_b32_e32 v20, 1, v20
	v_lshlrev_b32_e32 v20, 7, v20
	v_xor_b32_e32 v3, v20, v3
	v_mul_lo_u32 v3, v3, s18
	v_and_b32_e32 v20, 0x8000000, v3
	v_lshrrev_b32_e32 v22, 8, v3
	v_lshrrev_b16_e32 v24, 1, v22
	v_cmp_ne_u16_sdwa s[16:17], v20, v5 src0_sel:BYTE_3 src1_sel:DWORD
	v_bfe_i32 v24, v24, 0, 1
	v_lshrrev_b32_e32 v25, 18, v3
	v_cndmask_b32_e64 v20, 0, -1, s[16:17]
	v_bfe_i32 v21, v27, 5, 1
	v_bfe_i32 v25, v25, 0, 1
	v_lshlrev_b16_e32 v20, 8, v20
	v_lshlrev_b16_e32 v24, 8, v24
	v_or_b32_sdwa v28, v25, v20 dst_sel:WORD_1 dst_unused:UNUSED_PAD src0_sel:BYTE_0 src1_sel:DWORD
	v_or_b32_sdwa v29, v21, v24 dst_sel:DWORD dst_unused:UNUSED_PAD src0_sel:BYTE_0 src1_sel:DWORD
	v_or_b32_sdwa v28, v29, v28 dst_sel:DWORD dst_unused:UNUSED_PAD src0_sel:WORD_0 src1_sel:DWORD
	v_lshlrev_b16_e32 v21, 8, v21
	v_lshrrev_b16_e32 v22, 5, v22
	v_bfe_i32 v22, v22, 0, 1
	v_lshlrev_b16_e32 v22, 8, v22
	s_waitcnt vmcnt(1)
	v_xor_b32_e32 v1, v1, v28
	v_and_b32_e32 v28, 0xffffff00, v1
	v_sub_i16 v24, v28, v24 clamp
	v_lshlrev_b16_e32 v28, 8, v1
	v_and_b32_e32 v24, 0xffffff00, v24
	v_sub_i16 v21, v28, v21 clamp
	v_or_b32_sdwa v21, v21, v24 dst_sel:DWORD dst_unused:UNUSED_PAD src0_sel:BYTE_1 src1_sel:DWORD
	v_and_b32_sdwa v24, v1, s19 dst_sel:DWORD dst_unused:UNUSED_PAD src0_sel:WORD_1 src1_sel:DWORD
	v_sub_i16 v20, v24, v20 clamp
	v_lshlrev_b16_sdwa v1, v19, v1 dst_sel:DWORD dst_unused:UNUSED_PAD src0_sel:DWORD src1_sel:WORD_1
	v_lshlrev_b16_e32 v24, 8, v25
	v_and_b32_e32 v20, 0xffffff00, v20
	v_sub_i16 v1, v1, v24 clamp
	v_or_b32_sdwa v1, v1, v20 dst_sel:WORD_1 dst_unused:UNUSED_PAD src0_sel:BYTE_1 src1_sel:DWORD
	v_and_b32_e32 v20, 0x80000000, v3
	v_cmp_ne_u16_sdwa s[16:17], v20, v5 src0_sel:BYTE_3 src1_sel:DWORD
	v_lshrrev_b32_e32 v3, 22, v3
	v_or_b32_sdwa v1, v21, v1 dst_sel:DWORD dst_unused:UNUSED_PAD src0_sel:WORD_0 src1_sel:DWORD
	v_cndmask_b32_e64 v20, 0, -1, s[16:17]
	v_bfe_i32 v21, v27, 9, 1
	v_bfe_i32 v3, v3, 0, 1
	v_lshlrev_b16_e32 v20, 8, v20
	v_or_b32_sdwa v24, v3, v20 dst_sel:WORD_1 dst_unused:UNUSED_PAD src0_sel:BYTE_0 src1_sel:DWORD
	v_or_b32_sdwa v25, v21, v22 dst_sel:DWORD dst_unused:UNUSED_PAD src0_sel:BYTE_0 src1_sel:DWORD
	v_or_b32_sdwa v24, v25, v24 dst_sel:DWORD dst_unused:UNUSED_PAD src0_sel:WORD_0 src1_sel:DWORD
	s_waitcnt vmcnt(0)
	v_xor_b32_e32 v2, v2, v24
	v_and_b32_e32 v24, 0xffffff00, v2
	v_sub_i16 v22, v24, v22 clamp
	v_lshlrev_b16_e32 v24, 8, v2
	v_lshlrev_b16_e32 v21, 8, v21
	v_and_b32_e32 v22, 0xffffff00, v22
	v_sub_i16 v21, v24, v21 clamp
	v_or_b32_sdwa v21, v21, v22 dst_sel:DWORD dst_unused:UNUSED_PAD src0_sel:BYTE_1 src1_sel:DWORD
	v_and_b32_sdwa v22, v2, s19 dst_sel:DWORD dst_unused:UNUSED_PAD src0_sel:WORD_1 src1_sel:DWORD
	v_sub_i16 v20, v22, v20 clamp
	v_lshlrev_b16_sdwa v2, v19, v2 dst_sel:DWORD dst_unused:UNUSED_PAD src0_sel:DWORD src1_sel:WORD_1
	v_lshlrev_b16_e32 v3, 8, v3
	v_and_b32_e32 v20, 0xffffff00, v20
	v_sub_i16 v2, v2, v3 clamp
	v_or_b32_sdwa v2, v2, v20 dst_sel:WORD_1 dst_unused:UNUSED_PAD src0_sel:BYTE_1 src1_sel:DWORD
	v_dot4c_i32_i8_e32 v30, v1, v23
	v_or_b32_sdwa v2, v21, v2 dst_sel:DWORD dst_unused:UNUSED_PAD src0_sel:WORD_0 src1_sel:DWORD
	v_dot4c_i32_i8_e32 v30, v2, v33
	v_lshrrev_b32_e32 v1, 28, v26
	s_nop 1
	v_lshrrev_b32_e32 v2, 31, v30
	v_add_u32_e32 v2, v30, v2
	v_ashrrev_i32_e32 v2, 1, v2
	v_mad_u64_u32 v[2:3], s[16:17], v30, v1, v[2:3]
	v_lshrrev_b32_e32 v1, 31, v2
	v_add_u32_e32 v1, v2, v1
	global_load_ushort v2, v[12:13], off
	v_ashrrev_i32_e32 v1, 1, v1
	v_cvt_f32_i32_e32 v1, v1
	s_waitcnt vmcnt(0)
	v_cvt_f32_f16_e32 v2, v2
	v_mul_f32_e32 v0, v2, v0
	v_fmac_f32_e32 v17, v0, v1
	s_andn2_b64 exec, exec, s[8:9]
	s_cbranch_execnz .LBB196_9
; %bb.10:
	s_or_b64 exec, exec, s[8:9]
.LBB196_11:
	s_or_b64 exec, exec, s[6:7]
	v_cmp_eq_u32_e32 vcc, 0, v15
	v_cmp_ne_u32_e64 s[6:7], 0, v15
	v_lshlrev_b32_e32 v0, 2, v14
	s_waitcnt lgkmcnt(0)
	s_and_saveexec_b64 s[8:9], s[6:7]
	s_cbranch_execz .LBB196_13
; %bb.12:
	v_lshlrev_b32_e32 v1, 8, v15
	s_movk_i32 s3, 0xff00
	v_add3_u32 v1, v1, v0, s3
	ds_write_b32 v1, v17
.LBB196_13:
	s_or_b64 exec, exec, s[8:9]
	s_waitcnt lgkmcnt(0)
	s_barrier
	s_and_saveexec_b64 s[6:7], vcc
	s_cbranch_execz .LBB196_16
; %bb.14:
	v_mbcnt_lo_u32_b32 v1, -1, 0
	ds_read_b32 v0, v0
	v_mbcnt_hi_u32_b32 v1, -1, v1
	v_and_b32_e32 v2, 64, v1
	v_add_u32_e32 v2, 64, v2
	v_xor_b32_e32 v3, 32, v1
	v_cmp_lt_i32_e32 vcc, v3, v2
	s_waitcnt lgkmcnt(0)
	v_add_f32_e32 v0, v17, v0
	s_mov_b32 s3, 0
	v_cndmask_b32_e32 v3, v1, v3, vcc
	v_lshlrev_b32_e32 v3, 2, v3
	ds_bpermute_b32 v3, v3, v0
	s_waitcnt lgkmcnt(0)
	v_add_f32_e32 v0, v0, v3
	v_xor_b32_e32 v3, 16, v1
	v_cmp_lt_i32_e32 vcc, v3, v2
	s_nop 1
	v_cndmask_b32_e32 v3, v1, v3, vcc
	v_lshlrev_b32_e32 v3, 2, v3
	ds_bpermute_b32 v3, v3, v0
	s_waitcnt lgkmcnt(0)
	v_add_f32_e32 v0, v0, v3
	v_xor_b32_e32 v3, 8, v1
	v_cmp_lt_i32_e32 vcc, v3, v2
	s_nop 1
	;; [unrolled: 8-line block ×5, first 2 shown]
	v_cndmask_b32_e32 v1, v1, v3, vcc
	v_lshlrev_b32_e32 v1, 2, v1
	ds_bpermute_b32 v1, v1, v0
	v_cmp_eq_u32_e32 vcc, 0, v14
	s_and_b64 exec, exec, vcc
	s_cbranch_execz .LBB196_16
; %bb.15:
	s_load_dwordx2 s[0:1], s[0:1], 0x38
	s_mul_i32 s5, s20, s10
	s_mul_i32 s4, s4, s14
	s_add_i32 s2, s5, s2
	s_add_i32 s2, s2, s4
	s_lshl_b64 s[2:3], s[2:3], 2
	s_waitcnt lgkmcnt(0)
	s_add_u32 s0, s0, s2
	s_addc_u32 s1, s1, s3
	v_mov_b32_e32 v2, 0
	v_add_f32_e32 v0, v0, v1
	global_store_dword v2, v0, s[0:1]
.LBB196_16:
	s_endpgm
	.section	.rodata,"a",@progbits
	.p2align	6, 0x0
	.amdhsa_kernel _ZL13mul_mat_vec_qIL9ggml_type18ELi1ELb0ELb0EEvPKvS2_PKi31ggml_cuda_mm_fusion_args_devicePfj15HIP_vector_typeIjLj3EEjjjS8_jjjS8_jjjj
		.amdhsa_group_segment_fixed_size 256
		.amdhsa_private_segment_fixed_size 0
		.amdhsa_kernarg_size 144
		.amdhsa_user_sgpr_count 2
		.amdhsa_user_sgpr_dispatch_ptr 0
		.amdhsa_user_sgpr_queue_ptr 0
		.amdhsa_user_sgpr_kernarg_segment_ptr 1
		.amdhsa_user_sgpr_dispatch_id 0
		.amdhsa_user_sgpr_kernarg_preload_length 0
		.amdhsa_user_sgpr_kernarg_preload_offset 0
		.amdhsa_user_sgpr_private_segment_size 0
		.amdhsa_uses_dynamic_stack 0
		.amdhsa_enable_private_segment 0
		.amdhsa_system_sgpr_workgroup_id_x 1
		.amdhsa_system_sgpr_workgroup_id_y 1
		.amdhsa_system_sgpr_workgroup_id_z 1
		.amdhsa_system_sgpr_workgroup_info 0
		.amdhsa_system_vgpr_workitem_id 1
		.amdhsa_next_free_vgpr 38
		.amdhsa_next_free_sgpr 28
		.amdhsa_accum_offset 40
		.amdhsa_reserve_vcc 1
		.amdhsa_float_round_mode_32 0
		.amdhsa_float_round_mode_16_64 0
		.amdhsa_float_denorm_mode_32 3
		.amdhsa_float_denorm_mode_16_64 3
		.amdhsa_dx10_clamp 1
		.amdhsa_ieee_mode 1
		.amdhsa_fp16_overflow 0
		.amdhsa_tg_split 0
		.amdhsa_exception_fp_ieee_invalid_op 0
		.amdhsa_exception_fp_denorm_src 0
		.amdhsa_exception_fp_ieee_div_zero 0
		.amdhsa_exception_fp_ieee_overflow 0
		.amdhsa_exception_fp_ieee_underflow 0
		.amdhsa_exception_fp_ieee_inexact 0
		.amdhsa_exception_int_div_zero 0
	.end_amdhsa_kernel
	.section	.text._ZL13mul_mat_vec_qIL9ggml_type18ELi1ELb0ELb0EEvPKvS2_PKi31ggml_cuda_mm_fusion_args_devicePfj15HIP_vector_typeIjLj3EEjjjS8_jjjS8_jjjj,"axG",@progbits,_ZL13mul_mat_vec_qIL9ggml_type18ELi1ELb0ELb0EEvPKvS2_PKi31ggml_cuda_mm_fusion_args_devicePfj15HIP_vector_typeIjLj3EEjjjS8_jjjS8_jjjj,comdat
.Lfunc_end196:
	.size	_ZL13mul_mat_vec_qIL9ggml_type18ELi1ELb0ELb0EEvPKvS2_PKi31ggml_cuda_mm_fusion_args_devicePfj15HIP_vector_typeIjLj3EEjjjS8_jjjS8_jjjj, .Lfunc_end196-_ZL13mul_mat_vec_qIL9ggml_type18ELi1ELb0ELb0EEvPKvS2_PKi31ggml_cuda_mm_fusion_args_devicePfj15HIP_vector_typeIjLj3EEjjjS8_jjjS8_jjjj
                                        ; -- End function
	.section	.AMDGPU.csdata,"",@progbits
; Kernel info:
; codeLenInByte = 3020
; NumSgprs: 34
; NumVgprs: 38
; NumAgprs: 0
; TotalNumVgprs: 38
; ScratchSize: 0
; MemoryBound: 0
; FloatMode: 240
; IeeeMode: 1
; LDSByteSize: 256 bytes/workgroup (compile time only)
; SGPRBlocks: 4
; VGPRBlocks: 4
; NumSGPRsForWavesPerEU: 34
; NumVGPRsForWavesPerEU: 38
; AccumOffset: 40
; Occupancy: 8
; WaveLimiterHint : 0
; COMPUTE_PGM_RSRC2:SCRATCH_EN: 0
; COMPUTE_PGM_RSRC2:USER_SGPR: 2
; COMPUTE_PGM_RSRC2:TRAP_HANDLER: 0
; COMPUTE_PGM_RSRC2:TGID_X_EN: 1
; COMPUTE_PGM_RSRC2:TGID_Y_EN: 1
; COMPUTE_PGM_RSRC2:TGID_Z_EN: 1
; COMPUTE_PGM_RSRC2:TIDIG_COMP_CNT: 1
; COMPUTE_PGM_RSRC3_GFX90A:ACCUM_OFFSET: 9
; COMPUTE_PGM_RSRC3_GFX90A:TG_SPLIT: 0
	.section	.text._ZL13mul_mat_vec_qIL9ggml_type18ELi2ELb0ELb0EEvPKvS2_PKi31ggml_cuda_mm_fusion_args_devicePfj15HIP_vector_typeIjLj3EEjjjS8_jjjS8_jjjj,"axG",@progbits,_ZL13mul_mat_vec_qIL9ggml_type18ELi2ELb0ELb0EEvPKvS2_PKi31ggml_cuda_mm_fusion_args_devicePfj15HIP_vector_typeIjLj3EEjjjS8_jjjS8_jjjj,comdat
	.globl	_ZL13mul_mat_vec_qIL9ggml_type18ELi2ELb0ELb0EEvPKvS2_PKi31ggml_cuda_mm_fusion_args_devicePfj15HIP_vector_typeIjLj3EEjjjS8_jjjS8_jjjj ; -- Begin function _ZL13mul_mat_vec_qIL9ggml_type18ELi2ELb0ELb0EEvPKvS2_PKi31ggml_cuda_mm_fusion_args_devicePfj15HIP_vector_typeIjLj3EEjjjS8_jjjS8_jjjj
	.p2align	8
	.type	_ZL13mul_mat_vec_qIL9ggml_type18ELi2ELb0ELb0EEvPKvS2_PKi31ggml_cuda_mm_fusion_args_devicePfj15HIP_vector_typeIjLj3EEjjjS8_jjjS8_jjjj,@function
_ZL13mul_mat_vec_qIL9ggml_type18ELi2ELb0ELb0EEvPKvS2_PKi31ggml_cuda_mm_fusion_args_devicePfj15HIP_vector_typeIjLj3EEjjjS8_jjjS8_jjjj: ; @_ZL13mul_mat_vec_qIL9ggml_type18ELi2ELb0ELb0EEvPKvS2_PKi31ggml_cuda_mm_fusion_args_devicePfj15HIP_vector_typeIjLj3EEjjjS8_jjjS8_jjjj
; %bb.0:
	s_load_dwordx2 s[20:21], s[0:1], 0x4
	s_load_dword s7, s[2:3], 0x40
	s_load_dwordx4 s[8:11], s[2:3], 0x50
	s_load_dword s27, s[2:3], 0x60
	s_load_dwordx4 s[12:15], s[2:3], 0x68
	;; [unrolled: 2-line block ×3, first 2 shown]
	s_waitcnt lgkmcnt(0)
	s_lshr_b32 s0, s20, 16
	v_bfe_u32 v23, v0, 10, 10
	v_and_b32_e32 v15, 0x3ff, v0
	s_mul_i32 s0, s0, s21
	v_mul_u32_u24_e32 v1, s21, v23
	v_mad_u32_u24 v1, s0, v15, v1
	v_bfe_u32 v0, v0, 20, 10
	v_lshl_add_u32 v5, v23, 6, v15
	v_add_lshl_u32 v4, v1, v0, 4
	s_lshr_b32 s7, s7, 8
	v_mov_b32_e32 v0, 0
	v_lshrrev_b32_e32 v24, 3, v5
	v_add_u32_e32 v22, 0x400, v4
	s_lshl_b32 s4, s4, 1
	v_mov_b32_e32 v1, v0
	v_mov_b32_e32 v2, v0
	v_mov_b32_e32 v3, v0
	v_cmp_gt_u32_e32 vcc, s7, v24
	ds_write_b128 v4, v[0:3] offset:1024
	s_and_saveexec_b64 s[0:1], vcc
	s_cbranch_execz .LBB197_4
; %bb.1:
	s_load_dwordx4 s[20:23], s[2:3], 0x0
	s_mul_i32 s17, s6, s17
	s_mul_i32 s24, s17, 36
	;; [unrolled: 1-line block ×3, first 2 shown]
	s_mul_hi_u32 s19, s17, 36
	s_waitcnt lgkmcnt(0)
	s_add_u32 s24, s22, s24
	s_addc_u32 s19, s23, s19
	s_mul_i32 s28, s13, 36
	s_mul_hi_u32 s29, s13, 36
	s_add_u32 s24, s24, s28
	s_mul_hi_u32 s11, s11, s5
	s_addc_u32 s25, s19, s29
	s_add_i32 s11, s5, s11
	s_lshr_b32 s11, s11, s27
	s_mul_i32 s11, s11, s12
	s_mul_hi_u32 s12, s15, s6
	s_add_i32 s12, s6, s12
	s_lshr_b32 s12, s12, s26
	s_mul_i32 s12, s12, s16
	s_add_i32 s15, s12, s11
	s_add_i32 s12, s4, 1
	s_mul_i32 s13, s4, s8
	s_mul_i32 s8, s8, s12
	s_add_i32 s11, s15, s13
	s_add_i32 s15, s15, s8
	s_movk_i32 s8, 0x120
	v_mov_b64_e32 v[4:5], s[28:29]
	v_lshl_add_u32 v25, v24, 3, s9
	v_mad_u64_u32 v[4:5], s[8:9], v24, s8, v[4:5]
	v_lshlrev_b32_e32 v0, 1, v15
	v_and_b32_e32 v14, 7, v15
	v_mad_u64_u32 v[4:5], s[8:9], s17, 36, v[4:5]
	v_and_b32_e32 v0, 14, v0
	v_mad_u64_u32 v[4:5], s[8:9], v14, 36, v[4:5]
	v_lshlrev_b32_e32 v2, 1, v0
	v_mov_b32_e32 v13, 0
	v_lshl_add_u64 v[4:5], v[4:5], 0, s[22:23]
	v_lshl_add_u64 v[16:17], v[4:5], 0, 16
	s_mov_b64 s[8:9], 0
	s_movk_i32 s19, 0x62
	v_mov_b64_e32 v[18:19], s[20:21]
	v_lshlrev_b32_e32 v12, 1, v0
	v_lshlrev_b32_e32 v20, 1, v2
	s_mov_b32 s20, 0x1010101
	s_mov_b32 s21, 0xffff
	s_movk_i32 s22, 0xff00
	s_mov_b64 s[12:13], 0x1200
	v_mov_b32_e32 v21, v13
	v_mov_b32_e32 v26, 2
	v_mov_b32_e32 v27, 8
	v_mov_b32_e32 v0, v13
	v_mov_b32_e32 v1, v13
	v_mov_b32_e32 v2, v13
	v_mov_b32_e32 v3, v13
.LBB197_2:                              ; =>This Inner Loop Header: Depth=1
	v_add_u32_e32 v28, s11, v24
	v_mad_i64_i32 v[30:31], s[16:17], v28, s19, v[18:19]
	v_lshl_add_u64 v[32:33], v[30:31], 0, v[20:21]
	global_load_dword v35, v[16:17], off offset:16
	global_load_dwordx4 v[4:7], v[16:17], off
	global_load_dwordx4 v[8:11], v[16:17], off offset:-16
	v_lshl_add_u64 v[28:29], v[30:31], 0, v[12:13]
	global_load_dwordx2 v[40:41], v[32:33], off offset:2
	global_load_dword v36, v[28:29], off offset:66
	s_getpc_b64 s[16:17]
	s_add_u32 s16, s16, _ZL11iq3xxs_grid@rel32@lo+4
	s_addc_u32 s17, s17, _ZL11iq3xxs_grid@rel32@hi+12
	v_lshl_add_u64 v[16:17], v[16:17], 0, s[12:13]
	s_waitcnt vmcnt(2)
	v_cvt_f32_f16_e32 v8, v8
	s_waitcnt vmcnt(1)
	v_lshlrev_b32_sdwa v28, v26, v40 dst_sel:DWORD dst_unused:UNUSED_PAD src0_sel:DWORD src1_sel:BYTE_0
	global_load_dword v28, v28, s[16:17]
	v_lshlrev_b32_sdwa v29, v26, v40 dst_sel:DWORD dst_unused:UNUSED_PAD src0_sel:DWORD src1_sel:BYTE_1
	global_load_dword v29, v29, s[16:17]
	s_waitcnt vmcnt(2)
	v_and_b32_e32 v32, 0xff, v36
	v_bcnt_u32_b32 v33, v32, 0
	v_and_b32_e32 v33, 1, v33
	v_lshlrev_b32_e32 v33, 7, v33
	v_xor_b32_e32 v32, v33, v32
	v_mul_lo_u32 v32, v32, s20
	v_and_b32_e32 v33, 0x8000000, v32
	v_lshrrev_b32_e32 v37, 8, v32
	v_lshrrev_b16_e32 v38, 1, v37
	v_cmp_ne_u16_sdwa s[26:27], v33, v13 src0_sel:BYTE_3 src1_sel:DWORD
	v_and_b32_e32 v34, 1, v36
	v_bfe_i32 v38, v38, 0, 1
	v_lshrrev_b32_e32 v39, 18, v32
	v_cndmask_b32_e64 v33, 0, -1, s[26:27]
	v_sub_u16_e32 v34, 0, v34
	v_bfe_i32 v39, v39, 0, 1
	v_lshlrev_b16_e32 v33, 8, v33
	v_lshlrev_b16_e32 v38, 8, v38
	v_or_b32_sdwa v42, v39, v33 dst_sel:WORD_1 dst_unused:UNUSED_PAD src0_sel:BYTE_0 src1_sel:DWORD
	v_or_b32_sdwa v43, v34, v38 dst_sel:DWORD dst_unused:UNUSED_PAD src0_sel:BYTE_0 src1_sel:DWORD
	v_or_b32_sdwa v42, v43, v42 dst_sel:DWORD dst_unused:UNUSED_PAD src0_sel:WORD_0 src1_sel:DWORD
	v_lshlrev_b16_e32 v34, 8, v34
	v_lshrrev_b16_e32 v37, 5, v37
	v_bfe_i32 v37, v37, 0, 1
	v_lshlrev_b16_e32 v37, 8, v37
	v_bfe_i32 v54, v36, 7, 1
	v_bfe_i32 v57, v36, 14, 1
	v_lshrrev_b32_e32 v58, 16, v36
	s_waitcnt vmcnt(1)
	v_xor_b32_e32 v28, v28, v42
	v_and_b32_e32 v42, 0xffffff00, v28
	v_sub_i16 v38, v42, v38 clamp
	v_lshlrev_b16_e32 v42, 8, v28
	v_and_b32_e32 v38, 0xffffff00, v38
	v_sub_i16 v34, v42, v34 clamp
	v_or_b32_sdwa v34, v34, v38 dst_sel:DWORD dst_unused:UNUSED_PAD src0_sel:BYTE_1 src1_sel:DWORD
	v_and_b32_sdwa v38, v28, s22 dst_sel:DWORD dst_unused:UNUSED_PAD src0_sel:WORD_1 src1_sel:DWORD
	v_sub_i16 v33, v38, v33 clamp
	v_lshlrev_b16_sdwa v28, v27, v28 dst_sel:DWORD dst_unused:UNUSED_PAD src0_sel:DWORD src1_sel:WORD_1
	v_lshlrev_b16_e32 v38, 8, v39
	v_and_b32_e32 v33, 0xffffff00, v33
	v_sub_i16 v28, v28, v38 clamp
	v_or_b32_sdwa v28, v28, v33 dst_sel:WORD_1 dst_unused:UNUSED_PAD src0_sel:BYTE_1 src1_sel:DWORD
	v_and_b32_e32 v33, 0x80000000, v32
	v_cmp_ne_u16_sdwa s[26:27], v33, v13 src0_sel:BYTE_3 src1_sel:DWORD
	v_lshrrev_b32_e32 v32, 22, v32
	v_or_b32_sdwa v28, v34, v28 dst_sel:DWORD dst_unused:UNUSED_PAD src0_sel:WORD_0 src1_sel:DWORD
	v_cndmask_b32_e64 v33, 0, -1, s[26:27]
	v_bfe_i32 v34, v36, 4, 1
	v_bfe_i32 v32, v32, 0, 1
	v_lshlrev_b16_e32 v33, 8, v33
	v_or_b32_sdwa v38, v32, v33 dst_sel:WORD_1 dst_unused:UNUSED_PAD src0_sel:BYTE_0 src1_sel:DWORD
	v_or_b32_sdwa v39, v34, v37 dst_sel:DWORD dst_unused:UNUSED_PAD src0_sel:BYTE_0 src1_sel:DWORD
	v_or_b32_sdwa v38, v39, v38 dst_sel:DWORD dst_unused:UNUSED_PAD src0_sel:WORD_0 src1_sel:DWORD
	s_waitcnt vmcnt(0)
	v_xor_b32_e32 v29, v29, v38
	v_and_b32_e32 v38, 0xffffff00, v29
	v_sub_i16 v37, v38, v37 clamp
	v_lshlrev_b16_e32 v38, 8, v29
	v_lshlrev_b16_e32 v34, 8, v34
	v_and_b32_e32 v37, 0xffffff00, v37
	v_sub_i16 v34, v38, v34 clamp
	v_or_b32_sdwa v34, v34, v37 dst_sel:DWORD dst_unused:UNUSED_PAD src0_sel:BYTE_1 src1_sel:DWORD
	v_and_b32_sdwa v37, v29, s22 dst_sel:DWORD dst_unused:UNUSED_PAD src0_sel:WORD_1 src1_sel:DWORD
	v_lshlrev_b16_sdwa v29, v27, v29 dst_sel:DWORD dst_unused:UNUSED_PAD src0_sel:DWORD src1_sel:WORD_1
	v_lshlrev_b16_e32 v32, 8, v32
	v_sub_i16 v29, v29, v32 clamp
	v_lshlrev_b32_sdwa v32, v26, v40 dst_sel:DWORD dst_unused:UNUSED_PAD src0_sel:DWORD src1_sel:BYTE_2
	global_load_dword v52, v32, s[16:17]
	v_lshlrev_b32_sdwa v32, v26, v40 dst_sel:DWORD dst_unused:UNUSED_PAD src0_sel:DWORD src1_sel:BYTE_3
	global_load_dword v53, v32, s[16:17]
	v_lshlrev_b32_sdwa v32, v26, v41 dst_sel:DWORD dst_unused:UNUSED_PAD src0_sel:DWORD src1_sel:BYTE_0
	v_sub_i16 v33, v37, v33 clamp
	global_load_dword v55, v32, s[16:17]
	v_lshlrev_b32_sdwa v32, v26, v41 dst_sel:DWORD dst_unused:UNUSED_PAD src0_sel:DWORD src1_sel:BYTE_1
	v_and_b32_e32 v33, 0xffffff00, v33
	global_load_dword v56, v32, s[16:17]
	v_lshlrev_b32_sdwa v32, v26, v41 dst_sel:DWORD dst_unused:UNUSED_PAD src0_sel:DWORD src1_sel:BYTE_2
	v_or_b32_sdwa v29, v29, v33 dst_sel:WORD_1 dst_unused:UNUSED_PAD src0_sel:BYTE_1 src1_sel:DWORD
	global_load_dword v37, v32, s[16:17]
	v_lshlrev_b32_sdwa v32, v26, v41 dst_sel:DWORD dst_unused:UNUSED_PAD src0_sel:DWORD src1_sel:BYTE_3
	v_or_b32_sdwa v29, v34, v29 dst_sel:DWORD dst_unused:UNUSED_PAD src0_sel:WORD_0 src1_sel:DWORD
	global_load_dword v39, v32, s[16:17]
	global_load_ushort v34, v[30:31], off
	v_add_u32_e32 v30, s15, v24
	v_mad_i64_i32 v[32:33], s[26:27], v30, s19, v[18:19]
	v_lshl_add_u64 v[42:43], v[32:33], 0, v[20:21]
	v_lshl_add_u64 v[30:31], v[32:33], 0, v[12:13]
	global_load_dwordx2 v[44:45], v[42:43], off offset:2
	global_load_dword v41, v[30:31], off offset:66
	v_mov_b32_e32 v38, 0
	v_dot4c_i32_i8_e32 v38, v28, v9
	v_dot4c_i32_i8_e32 v38, v29, v10
	v_add_u32_e32 v24, 16, v24
	v_cmp_le_u32_e32 vcc, s7, v24
	s_or_b64 s[8:9], vcc, s[8:9]
	s_waitcnt vmcnt(1)
	v_lshlrev_b32_sdwa v30, v26, v44 dst_sel:DWORD dst_unused:UNUSED_PAD src0_sel:DWORD src1_sel:BYTE_0
	global_load_dword v30, v30, s[16:17]
	v_lshlrev_b32_sdwa v31, v26, v44 dst_sel:DWORD dst_unused:UNUSED_PAD src0_sel:DWORD src1_sel:BYTE_1
	global_load_dword v31, v31, s[16:17]
	s_waitcnt vmcnt(2)
	v_and_b32_e32 v40, 0xff, v41
	v_bcnt_u32_b32 v42, v40, 0
	v_and_b32_e32 v42, 1, v42
	v_lshlrev_b32_e32 v42, 7, v42
	v_xor_b32_e32 v40, v42, v40
	v_mul_lo_u32 v40, v40, s20
	v_and_b32_e32 v42, 0x8000000, v40
	v_lshrrev_b32_e32 v46, 8, v40
	v_lshrrev_b16_e32 v47, 1, v46
	v_cmp_ne_u16_sdwa s[26:27], v42, v13 src0_sel:BYTE_3 src1_sel:DWORD
	v_and_b32_e32 v43, 1, v41
	v_bfe_i32 v47, v47, 0, 1
	v_lshrrev_b32_e32 v48, 18, v40
	v_cndmask_b32_e64 v42, 0, -1, s[26:27]
	v_sub_u16_e32 v43, 0, v43
	v_bfe_i32 v48, v48, 0, 1
	v_lshlrev_b16_e32 v42, 8, v42
	v_lshlrev_b16_e32 v47, 8, v47
	v_or_b32_sdwa v49, v48, v42 dst_sel:WORD_1 dst_unused:UNUSED_PAD src0_sel:BYTE_0 src1_sel:DWORD
	v_or_b32_sdwa v50, v43, v47 dst_sel:DWORD dst_unused:UNUSED_PAD src0_sel:BYTE_0 src1_sel:DWORD
	v_or_b32_sdwa v49, v50, v49 dst_sel:DWORD dst_unused:UNUSED_PAD src0_sel:WORD_0 src1_sel:DWORD
	v_lshlrev_b16_e32 v43, 8, v43
	v_lshrrev_b16_e32 v46, 5, v46
	v_bfe_i32 v46, v46, 0, 1
	v_lshlrev_b16_e32 v46, 8, v46
	s_waitcnt vmcnt(1)
	v_xor_b32_e32 v30, v30, v49
	v_and_b32_e32 v49, 0xffffff00, v30
	v_sub_i16 v47, v49, v47 clamp
	v_lshlrev_b16_e32 v49, 8, v30
	v_and_b32_e32 v47, 0xffffff00, v47
	v_sub_i16 v43, v49, v43 clamp
	v_or_b32_sdwa v43, v43, v47 dst_sel:DWORD dst_unused:UNUSED_PAD src0_sel:BYTE_1 src1_sel:DWORD
	v_and_b32_sdwa v47, v30, s22 dst_sel:DWORD dst_unused:UNUSED_PAD src0_sel:WORD_1 src1_sel:DWORD
	v_sub_i16 v42, v47, v42 clamp
	v_lshlrev_b16_sdwa v30, v27, v30 dst_sel:DWORD dst_unused:UNUSED_PAD src0_sel:DWORD src1_sel:WORD_1
	v_lshlrev_b16_e32 v47, 8, v48
	v_and_b32_e32 v42, 0xffffff00, v42
	v_sub_i16 v30, v30, v47 clamp
	v_or_b32_sdwa v30, v30, v42 dst_sel:WORD_1 dst_unused:UNUSED_PAD src0_sel:BYTE_1 src1_sel:DWORD
	v_and_b32_e32 v42, 0x80000000, v40
	v_cmp_ne_u16_sdwa s[26:27], v42, v13 src0_sel:BYTE_3 src1_sel:DWORD
	v_lshrrev_b32_e32 v40, 22, v40
	v_or_b32_sdwa v30, v43, v30 dst_sel:DWORD dst_unused:UNUSED_PAD src0_sel:WORD_0 src1_sel:DWORD
	v_cndmask_b32_e64 v42, 0, -1, s[26:27]
	v_bfe_i32 v43, v41, 4, 1
	v_bfe_i32 v40, v40, 0, 1
	v_lshlrev_b16_e32 v42, 8, v42
	v_or_b32_sdwa v47, v40, v42 dst_sel:WORD_1 dst_unused:UNUSED_PAD src0_sel:BYTE_0 src1_sel:DWORD
	v_or_b32_sdwa v48, v43, v46 dst_sel:DWORD dst_unused:UNUSED_PAD src0_sel:BYTE_0 src1_sel:DWORD
	v_or_b32_sdwa v47, v48, v47 dst_sel:DWORD dst_unused:UNUSED_PAD src0_sel:WORD_0 src1_sel:DWORD
	s_waitcnt vmcnt(0)
	v_xor_b32_e32 v31, v31, v47
	v_and_b32_e32 v47, 0xffffff00, v31
	v_sub_i16 v46, v47, v46 clamp
	v_lshlrev_b16_e32 v47, 8, v31
	v_lshlrev_b16_e32 v43, 8, v43
	v_and_b32_e32 v46, 0xffffff00, v46
	v_sub_i16 v43, v47, v43 clamp
	v_or_b32_sdwa v43, v43, v46 dst_sel:DWORD dst_unused:UNUSED_PAD src0_sel:BYTE_1 src1_sel:DWORD
	v_and_b32_sdwa v46, v31, s22 dst_sel:DWORD dst_unused:UNUSED_PAD src0_sel:WORD_1 src1_sel:DWORD
	v_sub_i16 v42, v46, v42 clamp
	v_lshlrev_b16_sdwa v31, v27, v31 dst_sel:DWORD dst_unused:UNUSED_PAD src0_sel:DWORD src1_sel:WORD_1
	v_lshlrev_b16_e32 v40, 8, v40
	v_and_b32_e32 v42, 0xffffff00, v42
	v_sub_i16 v31, v31, v40 clamp
	v_or_b32_sdwa v31, v31, v42 dst_sel:WORD_1 dst_unused:UNUSED_PAD src0_sel:BYTE_1 src1_sel:DWORD
	v_bfe_i32 v40, v41, 7, 1
	v_or_b32_sdwa v31, v43, v31 dst_sel:DWORD dst_unused:UNUSED_PAD src0_sel:WORD_0 src1_sel:DWORD
	v_mov_b32_e32 v43, 0
	v_dot4c_i32_i8_e32 v43, v30, v9
	v_lshlrev_b32_sdwa v9, v26, v44 dst_sel:DWORD dst_unused:UNUSED_PAD src0_sel:DWORD src1_sel:BYTE_2
	global_load_dword v51, v9, s[16:17]
	v_lshlrev_b32_sdwa v9, v26, v44 dst_sel:DWORD dst_unused:UNUSED_PAD src0_sel:DWORD src1_sel:BYTE_3
	global_load_dword v42, v9, s[16:17]
	v_lshlrev_b32_sdwa v9, v26, v45 dst_sel:DWORD dst_unused:UNUSED_PAD src0_sel:DWORD src1_sel:BYTE_0
	global_load_dword v50, v9, s[16:17]
	v_lshlrev_b32_sdwa v9, v26, v45 dst_sel:DWORD dst_unused:UNUSED_PAD src0_sel:DWORD src1_sel:BYTE_1
	global_load_dword v44, v9, s[16:17]
	v_lshlrev_b32_sdwa v9, v26, v45 dst_sel:DWORD dst_unused:UNUSED_PAD src0_sel:DWORD src1_sel:BYTE_2
	global_load_dword v47, v9, s[16:17]
	v_lshlrev_b32_sdwa v9, v26, v45 dst_sel:DWORD dst_unused:UNUSED_PAD src0_sel:DWORD src1_sel:BYTE_3
	global_load_dword v46, v9, s[16:17]
	global_load_ushort v45, v[32:33], off
	v_and_b32_e32 v9, 0xffff0000, v36
	v_and_or_b32 v32, v36, s21, v9
	v_bfe_u32 v9, v36, 7, 8
	v_dot4c_i32_i8_e32 v43, v31, v10
	v_bcnt_u32_b32 v10, v9, 0
	v_and_b32_e32 v10, 1, v10
	v_lshlrev_b32_e32 v10, 7, v10
	v_xor_b32_e32 v9, v10, v9
	v_mul_lo_u32 v10, v9, s20
	v_and_b32_e32 v9, 0x8000000, v10
	v_lshrrev_b32_e32 v33, 8, v10
	v_lshrrev_b16_e32 v59, 1, v33
	v_cmp_ne_u16_sdwa s[16:17], v9, v13 src0_sel:BYTE_3 src1_sel:DWORD
	v_bfe_i32 v59, v59, 0, 1
	v_lshrrev_b32_e32 v60, 18, v10
	v_cndmask_b32_e64 v9, 0, -1, s[16:17]
	v_bfe_i32 v60, v60, 0, 1
	v_lshlrev_b16_e32 v9, 8, v9
	v_lshlrev_b16_e32 v59, 8, v59
	v_or_b32_sdwa v61, v60, v9 dst_sel:WORD_1 dst_unused:UNUSED_PAD src0_sel:BYTE_0 src1_sel:DWORD
	v_or_b32_sdwa v62, v54, v59 dst_sel:DWORD dst_unused:UNUSED_PAD src0_sel:BYTE_0 src1_sel:DWORD
	v_or_b32_sdwa v61, v62, v61 dst_sel:DWORD dst_unused:UNUSED_PAD src0_sel:WORD_0 src1_sel:DWORD
	v_xor_b32_e32 v52, v52, v61
	v_and_b32_e32 v61, 0xffffff00, v52
	v_sub_i16 v59, v61, v59 clamp
	v_lshlrev_b16_e32 v61, 8, v52
	v_lshlrev_b16_e32 v54, 8, v54
	v_and_b32_e32 v59, 0xffffff00, v59
	v_sub_i16 v54, v61, v54 clamp
	v_or_b32_sdwa v54, v54, v59 dst_sel:DWORD dst_unused:UNUSED_PAD src0_sel:BYTE_1 src1_sel:DWORD
	v_and_b32_sdwa v59, v52, s22 dst_sel:DWORD dst_unused:UNUSED_PAD src0_sel:WORD_1 src1_sel:DWORD
	v_sub_i16 v9, v59, v9 clamp
	v_lshlrev_b16_sdwa v52, v27, v52 dst_sel:DWORD dst_unused:UNUSED_PAD src0_sel:DWORD src1_sel:WORD_1
	v_lshlrev_b16_e32 v59, 8, v60
	v_and_b32_e32 v9, 0xffffff00, v9
	v_sub_i16 v52, v52, v59 clamp
	v_or_b32_sdwa v9, v52, v9 dst_sel:WORD_1 dst_unused:UNUSED_PAD src0_sel:BYTE_1 src1_sel:DWORD
	v_and_b32_e32 v52, 0x80000000, v10
	v_lshrrev_b16_e32 v33, 5, v33
	v_cmp_ne_u16_sdwa s[16:17], v52, v13 src0_sel:BYTE_3 src1_sel:DWORD
	v_bfe_i32 v33, v33, 0, 1
	v_lshrrev_b32_e32 v10, 22, v10
	v_cndmask_b32_e64 v52, 0, -1, s[16:17]
	v_or_b32_sdwa v9, v54, v9 dst_sel:DWORD dst_unused:UNUSED_PAD src0_sel:WORD_0 src1_sel:DWORD
	v_bfe_i32 v54, v36, 11, 1
	v_bfe_i32 v10, v10, 0, 1
	v_lshlrev_b16_e32 v52, 8, v52
	v_lshlrev_b16_e32 v33, 8, v33
	v_or_b32_sdwa v59, v10, v52 dst_sel:WORD_1 dst_unused:UNUSED_PAD src0_sel:BYTE_0 src1_sel:DWORD
	v_or_b32_sdwa v60, v54, v33 dst_sel:DWORD dst_unused:UNUSED_PAD src0_sel:BYTE_0 src1_sel:DWORD
	v_or_b32_sdwa v59, v60, v59 dst_sel:DWORD dst_unused:UNUSED_PAD src0_sel:WORD_0 src1_sel:DWORD
	v_xor_b32_e32 v53, v53, v59
	v_and_b32_e32 v59, 0xffffff00, v53
	v_sub_i16 v33, v59, v33 clamp
	v_lshlrev_b16_e32 v59, 8, v53
	v_lshlrev_b16_e32 v54, 8, v54
	v_and_b32_e32 v33, 0xffffff00, v33
	v_sub_i16 v54, v59, v54 clamp
	v_or_b32_sdwa v33, v54, v33 dst_sel:DWORD dst_unused:UNUSED_PAD src0_sel:BYTE_1 src1_sel:DWORD
	v_and_b32_sdwa v54, v53, s22 dst_sel:DWORD dst_unused:UNUSED_PAD src0_sel:WORD_1 src1_sel:DWORD
	v_sub_i16 v52, v54, v52 clamp
	v_lshlrev_b16_sdwa v53, v27, v53 dst_sel:DWORD dst_unused:UNUSED_PAD src0_sel:DWORD src1_sel:WORD_1
	v_lshlrev_b16_e32 v10, 8, v10
	v_and_b32_e32 v52, 0xffffff00, v52
	v_sub_i16 v10, v53, v10 clamp
	v_or_b32_sdwa v10, v10, v52 dst_sel:WORD_1 dst_unused:UNUSED_PAD src0_sel:BYTE_1 src1_sel:DWORD
	v_bfe_u32 v32, v32, 14, 8
	v_or_b32_sdwa v10, v33, v10 dst_sel:DWORD dst_unused:UNUSED_PAD src0_sel:WORD_0 src1_sel:DWORD
	v_bcnt_u32_b32 v33, v32, 0
	v_and_b32_e32 v33, 1, v33
	v_lshlrev_b32_e32 v33, 7, v33
	v_xor_b32_e32 v32, v33, v32
	v_mul_lo_u32 v33, v32, s20
	v_and_b32_e32 v32, 0x8000000, v33
	v_lshrrev_b32_e32 v52, 8, v33
	v_lshrrev_b16_e32 v53, 1, v52
	v_cmp_ne_u16_sdwa s[16:17], v32, v13 src0_sel:BYTE_3 src1_sel:DWORD
	v_bfe_i32 v53, v53, 0, 1
	v_lshrrev_b32_e32 v54, 18, v33
	v_cndmask_b32_e64 v32, 0, -1, s[16:17]
	v_bfe_i32 v54, v54, 0, 1
	v_lshlrev_b16_e32 v32, 8, v32
	v_lshlrev_b16_e32 v53, 8, v53
	v_or_b32_sdwa v59, v54, v32 dst_sel:WORD_1 dst_unused:UNUSED_PAD src0_sel:BYTE_0 src1_sel:DWORD
	v_or_b32_sdwa v60, v57, v53 dst_sel:DWORD dst_unused:UNUSED_PAD src0_sel:BYTE_0 src1_sel:DWORD
	v_or_b32_sdwa v59, v60, v59 dst_sel:DWORD dst_unused:UNUSED_PAD src0_sel:WORD_0 src1_sel:DWORD
	v_xor_b32_e32 v55, v55, v59
	v_and_b32_e32 v59, 0xffffff00, v55
	v_sub_i16 v53, v59, v53 clamp
	v_lshlrev_b16_e32 v59, 8, v55
	v_lshlrev_b16_e32 v57, 8, v57
	v_and_b32_e32 v53, 0xffffff00, v53
	v_sub_i16 v57, v59, v57 clamp
	v_or_b32_sdwa v53, v57, v53 dst_sel:DWORD dst_unused:UNUSED_PAD src0_sel:BYTE_1 src1_sel:DWORD
	v_and_b32_sdwa v57, v55, s22 dst_sel:DWORD dst_unused:UNUSED_PAD src0_sel:WORD_1 src1_sel:DWORD
	v_sub_i16 v32, v57, v32 clamp
	v_lshlrev_b16_sdwa v55, v27, v55 dst_sel:DWORD dst_unused:UNUSED_PAD src0_sel:DWORD src1_sel:WORD_1
	v_lshlrev_b16_e32 v54, 8, v54
	v_and_b32_e32 v32, 0xffffff00, v32
	v_sub_i16 v54, v55, v54 clamp
	v_or_b32_sdwa v32, v54, v32 dst_sel:WORD_1 dst_unused:UNUSED_PAD src0_sel:BYTE_1 src1_sel:DWORD
	v_lshrrev_b16_e32 v52, 5, v52
	v_or_b32_sdwa v32, v53, v32 dst_sel:DWORD dst_unused:UNUSED_PAD src0_sel:WORD_0 src1_sel:DWORD
	v_and_b32_e32 v53, 0x80000000, v33
	v_cmp_ne_u16_sdwa s[16:17], v53, v13 src0_sel:BYTE_3 src1_sel:DWORD
	v_bfe_i32 v52, v52, 0, 1
	v_lshrrev_b32_e32 v33, 22, v33
	v_cndmask_b32_e64 v53, 0, -1, s[16:17]
	v_bfe_i32 v54, v58, 2, 1
	v_bfe_i32 v33, v33, 0, 1
	v_lshlrev_b16_e32 v53, 8, v53
	v_lshlrev_b16_e32 v52, 8, v52
	v_or_b32_sdwa v55, v33, v53 dst_sel:WORD_1 dst_unused:UNUSED_PAD src0_sel:BYTE_0 src1_sel:DWORD
	v_or_b32_sdwa v57, v54, v52 dst_sel:DWORD dst_unused:UNUSED_PAD src0_sel:BYTE_0 src1_sel:DWORD
	v_or_b32_sdwa v55, v57, v55 dst_sel:DWORD dst_unused:UNUSED_PAD src0_sel:WORD_0 src1_sel:DWORD
	v_xor_b32_e32 v55, v56, v55
	v_and_b32_e32 v56, 0xffffff00, v55
	v_sub_i16 v52, v56, v52 clamp
	v_lshlrev_b16_e32 v56, 8, v55
	v_lshlrev_b16_e32 v54, 8, v54
	v_and_b32_e32 v52, 0xffffff00, v52
	v_sub_i16 v54, v56, v54 clamp
	v_or_b32_sdwa v52, v54, v52 dst_sel:DWORD dst_unused:UNUSED_PAD src0_sel:BYTE_1 src1_sel:DWORD
	v_and_b32_sdwa v54, v55, s22 dst_sel:DWORD dst_unused:UNUSED_PAD src0_sel:WORD_1 src1_sel:DWORD
	v_sub_i16 v53, v54, v53 clamp
	v_lshlrev_b16_sdwa v54, v27, v55 dst_sel:DWORD dst_unused:UNUSED_PAD src0_sel:DWORD src1_sel:WORD_1
	v_lshlrev_b16_e32 v33, 8, v33
	v_and_b32_e32 v53, 0xffffff00, v53
	v_sub_i16 v33, v54, v33 clamp
	v_or_b32_sdwa v33, v33, v53 dst_sel:WORD_1 dst_unused:UNUSED_PAD src0_sel:BYTE_1 src1_sel:DWORD
	v_bfe_i32 v54, v58, 5, 1
	v_or_b32_sdwa v33, v52, v33 dst_sel:DWORD dst_unused:UNUSED_PAD src0_sel:WORD_0 src1_sel:DWORD
	v_bfe_u32 v52, v36, 21, 8
	v_bcnt_u32_b32 v53, v52, 0
	v_and_b32_e32 v53, 1, v53
	v_lshlrev_b32_e32 v53, 7, v53
	v_xor_b32_e32 v52, v53, v52
	v_mul_lo_u32 v52, v52, s20
	v_and_b32_e32 v53, 0x8000000, v52
	v_lshrrev_b32_e32 v55, 8, v52
	v_lshrrev_b16_e32 v56, 1, v55
	v_cmp_ne_u16_sdwa s[16:17], v53, v13 src0_sel:BYTE_3 src1_sel:DWORD
	v_bfe_i32 v56, v56, 0, 1
	v_lshrrev_b32_e32 v57, 18, v52
	v_cndmask_b32_e64 v53, 0, -1, s[16:17]
	v_bfe_i32 v57, v57, 0, 1
	v_lshlrev_b16_e32 v53, 8, v53
	v_lshlrev_b16_e32 v56, 8, v56
	v_or_b32_sdwa v59, v57, v53 dst_sel:WORD_1 dst_unused:UNUSED_PAD src0_sel:BYTE_0 src1_sel:DWORD
	v_or_b32_sdwa v60, v54, v56 dst_sel:DWORD dst_unused:UNUSED_PAD src0_sel:BYTE_0 src1_sel:DWORD
	v_or_b32_sdwa v59, v60, v59 dst_sel:DWORD dst_unused:UNUSED_PAD src0_sel:WORD_0 src1_sel:DWORD
	v_xor_b32_e32 v37, v37, v59
	v_and_b32_e32 v59, 0xffffff00, v37
	v_sub_i16 v56, v59, v56 clamp
	v_lshlrev_b16_e32 v59, 8, v37
	v_lshlrev_b16_e32 v54, 8, v54
	v_and_b32_e32 v56, 0xffffff00, v56
	v_sub_i16 v54, v59, v54 clamp
	v_or_b32_sdwa v54, v54, v56 dst_sel:DWORD dst_unused:UNUSED_PAD src0_sel:BYTE_1 src1_sel:DWORD
	v_and_b32_sdwa v56, v37, s22 dst_sel:DWORD dst_unused:UNUSED_PAD src0_sel:WORD_1 src1_sel:DWORD
	v_sub_i16 v53, v56, v53 clamp
	v_lshlrev_b16_sdwa v37, v27, v37 dst_sel:DWORD dst_unused:UNUSED_PAD src0_sel:DWORD src1_sel:WORD_1
	v_lshlrev_b16_e32 v56, 8, v57
	v_and_b32_e32 v53, 0xffffff00, v53
	v_sub_i16 v37, v37, v56 clamp
	v_or_b32_sdwa v37, v37, v53 dst_sel:WORD_1 dst_unused:UNUSED_PAD src0_sel:BYTE_1 src1_sel:DWORD
	v_and_b32_e32 v53, 0x80000000, v52
	v_lshrrev_b16_e32 v55, 5, v55
	v_cmp_ne_u16_sdwa s[16:17], v53, v13 src0_sel:BYTE_3 src1_sel:DWORD
	v_bfe_i32 v55, v55, 0, 1
	v_lshrrev_b32_e32 v52, 22, v52
	v_cndmask_b32_e64 v53, 0, -1, s[16:17]
	v_or_b32_sdwa v37, v54, v37 dst_sel:DWORD dst_unused:UNUSED_PAD src0_sel:WORD_0 src1_sel:DWORD
	v_bfe_i32 v54, v58, 9, 1
	v_bfe_i32 v52, v52, 0, 1
	v_lshlrev_b16_e32 v53, 8, v53
	v_lshlrev_b16_e32 v55, 8, v55
	v_or_b32_sdwa v56, v52, v53 dst_sel:WORD_1 dst_unused:UNUSED_PAD src0_sel:BYTE_0 src1_sel:DWORD
	v_or_b32_sdwa v57, v54, v55 dst_sel:DWORD dst_unused:UNUSED_PAD src0_sel:BYTE_0 src1_sel:DWORD
	v_or_b32_sdwa v56, v57, v56 dst_sel:DWORD dst_unused:UNUSED_PAD src0_sel:WORD_0 src1_sel:DWORD
	v_xor_b32_e32 v39, v39, v56
	v_and_b32_e32 v56, 0xffffff00, v39
	v_sub_i16 v55, v56, v55 clamp
	v_lshlrev_b16_e32 v56, 8, v39
	v_lshlrev_b16_e32 v54, 8, v54
	v_and_b32_e32 v55, 0xffffff00, v55
	v_sub_i16 v54, v56, v54 clamp
	v_or_b32_sdwa v54, v54, v55 dst_sel:DWORD dst_unused:UNUSED_PAD src0_sel:BYTE_1 src1_sel:DWORD
	v_and_b32_sdwa v55, v39, s22 dst_sel:DWORD dst_unused:UNUSED_PAD src0_sel:WORD_1 src1_sel:DWORD
	v_sub_i16 v53, v55, v53 clamp
	v_lshlrev_b16_sdwa v39, v27, v39 dst_sel:DWORD dst_unused:UNUSED_PAD src0_sel:DWORD src1_sel:WORD_1
	v_lshlrev_b16_e32 v52, 8, v52
	v_and_b32_e32 v53, 0xffffff00, v53
	v_sub_i16 v39, v39, v52 clamp
	v_or_b32_sdwa v39, v39, v53 dst_sel:WORD_1 dst_unused:UNUSED_PAD src0_sel:BYTE_1 src1_sel:DWORD
	v_bfe_u32 v53, v41, 7, 8
	v_or_b32_sdwa v39, v54, v39 dst_sel:DWORD dst_unused:UNUSED_PAD src0_sel:WORD_0 src1_sel:DWORD
	v_bcnt_u32_b32 v54, v53, 0
	v_and_b32_e32 v54, 1, v54
	v_lshlrev_b32_e32 v54, 7, v54
	v_xor_b32_e32 v53, v54, v53
	v_mul_lo_u32 v53, v53, s20
	v_and_b32_e32 v54, 0x8000000, v53
	v_lshrrev_b32_e32 v55, 8, v53
	v_lshrrev_b16_e32 v56, 1, v55
	v_cmp_ne_u16_sdwa s[16:17], v54, v13 src0_sel:BYTE_3 src1_sel:DWORD
	v_bfe_i32 v56, v56, 0, 1
	v_lshrrev_b32_e32 v57, 18, v53
	v_cndmask_b32_e64 v54, 0, -1, s[16:17]
	v_bfe_i32 v57, v57, 0, 1
	v_lshlrev_b16_e32 v54, 8, v54
	v_lshlrev_b16_e32 v56, 8, v56
	v_or_b32_sdwa v58, v57, v54 dst_sel:WORD_1 dst_unused:UNUSED_PAD src0_sel:BYTE_0 src1_sel:DWORD
	v_or_b32_sdwa v59, v40, v56 dst_sel:DWORD dst_unused:UNUSED_PAD src0_sel:BYTE_0 src1_sel:DWORD
	v_or_b32_sdwa v58, v59, v58 dst_sel:DWORD dst_unused:UNUSED_PAD src0_sel:WORD_0 src1_sel:DWORD
	s_waitcnt vmcnt(6)
	v_xor_b32_e32 v51, v51, v58
	v_and_b32_e32 v58, 0xffffff00, v51
	v_sub_i16 v56, v58, v56 clamp
	v_lshlrev_b16_e32 v58, 8, v51
	v_lshlrev_b16_e32 v40, 8, v40
	v_and_b32_e32 v56, 0xffffff00, v56
	v_sub_i16 v40, v58, v40 clamp
	v_or_b32_sdwa v40, v40, v56 dst_sel:DWORD dst_unused:UNUSED_PAD src0_sel:BYTE_1 src1_sel:DWORD
	v_and_b32_sdwa v56, v51, s22 dst_sel:DWORD dst_unused:UNUSED_PAD src0_sel:WORD_1 src1_sel:DWORD
	v_sub_i16 v54, v56, v54 clamp
	v_lshlrev_b16_sdwa v51, v27, v51 dst_sel:DWORD dst_unused:UNUSED_PAD src0_sel:DWORD src1_sel:WORD_1
	v_lshlrev_b16_e32 v56, 8, v57
	v_and_b32_e32 v54, 0xffffff00, v54
	v_sub_i16 v51, v51, v56 clamp
	v_or_b32_sdwa v51, v51, v54 dst_sel:WORD_1 dst_unused:UNUSED_PAD src0_sel:BYTE_1 src1_sel:DWORD
	v_lshrrev_b16_e32 v55, 5, v55
	v_or_b32_sdwa v40, v40, v51 dst_sel:DWORD dst_unused:UNUSED_PAD src0_sel:WORD_0 src1_sel:DWORD
	v_and_b32_e32 v51, 0x80000000, v53
	v_cmp_ne_u16_sdwa s[16:17], v51, v13 src0_sel:BYTE_3 src1_sel:DWORD
	v_bfe_i32 v55, v55, 0, 1
	v_lshrrev_b32_e32 v53, 22, v53
	v_cndmask_b32_e64 v51, 0, -1, s[16:17]
	v_bfe_i32 v54, v41, 11, 1
	v_bfe_i32 v53, v53, 0, 1
	v_lshlrev_b16_e32 v51, 8, v51
	v_lshlrev_b16_e32 v55, 8, v55
	v_or_b32_sdwa v56, v53, v51 dst_sel:WORD_1 dst_unused:UNUSED_PAD src0_sel:BYTE_0 src1_sel:DWORD
	v_or_b32_sdwa v57, v54, v55 dst_sel:DWORD dst_unused:UNUSED_PAD src0_sel:BYTE_0 src1_sel:DWORD
	v_or_b32_sdwa v56, v57, v56 dst_sel:DWORD dst_unused:UNUSED_PAD src0_sel:WORD_0 src1_sel:DWORD
	s_waitcnt vmcnt(5)
	v_xor_b32_e32 v42, v42, v56
	v_and_b32_e32 v56, 0xffffff00, v42
	v_sub_i16 v55, v56, v55 clamp
	v_lshlrev_b16_e32 v56, 8, v42
	v_lshlrev_b16_e32 v54, 8, v54
	v_and_b32_e32 v55, 0xffffff00, v55
	v_sub_i16 v54, v56, v54 clamp
	v_or_b32_sdwa v54, v54, v55 dst_sel:DWORD dst_unused:UNUSED_PAD src0_sel:BYTE_1 src1_sel:DWORD
	v_and_b32_sdwa v55, v42, s22 dst_sel:DWORD dst_unused:UNUSED_PAD src0_sel:WORD_1 src1_sel:DWORD
	v_sub_i16 v51, v55, v51 clamp
	v_lshlrev_b16_sdwa v42, v27, v42 dst_sel:DWORD dst_unused:UNUSED_PAD src0_sel:DWORD src1_sel:WORD_1
	v_lshlrev_b16_e32 v53, 8, v53
	v_and_b32_e32 v51, 0xffffff00, v51
	v_sub_i16 v42, v42, v53 clamp
	v_and_b32_e32 v52, 0xffff0000, v41
	v_or_b32_sdwa v42, v42, v51 dst_sel:WORD_1 dst_unused:UNUSED_PAD src0_sel:BYTE_1 src1_sel:DWORD
	v_dot4c_i32_i8_e32 v38, v9, v11
	v_and_or_b32 v52, v41, s21, v52
	v_or_b32_sdwa v42, v54, v42 dst_sel:DWORD dst_unused:UNUSED_PAD src0_sel:WORD_0 src1_sel:DWORD
	v_dot4c_i32_i8_e32 v43, v40, v11
	v_dot4c_i32_i8_e32 v38, v10, v4
	v_dot4c_i32_i8_e32 v43, v42, v4
	v_bfe_u32 v4, v52, 14, 8
	v_bcnt_u32_b32 v11, v4, 0
	v_and_b32_e32 v11, 1, v11
	v_lshlrev_b32_e32 v11, 7, v11
	v_xor_b32_e32 v4, v11, v4
	v_mul_lo_u32 v4, v4, s20
	v_and_b32_e32 v11, 0x8000000, v4
	v_lshrrev_b32_e32 v51, 8, v4
	v_lshrrev_b16_e32 v52, 1, v51
	v_cmp_ne_u16_sdwa s[16:17], v11, v13 src0_sel:BYTE_3 src1_sel:DWORD
	v_bfe_i32 v52, v52, 0, 1
	v_lshrrev_b32_e32 v53, 18, v4
	v_cndmask_b32_e64 v11, 0, -1, s[16:17]
	v_bfe_i32 v49, v41, 14, 1
	v_bfe_i32 v53, v53, 0, 1
	v_lshlrev_b16_e32 v11, 8, v11
	v_lshlrev_b16_e32 v52, 8, v52
	v_or_b32_sdwa v54, v53, v11 dst_sel:WORD_1 dst_unused:UNUSED_PAD src0_sel:BYTE_0 src1_sel:DWORD
	v_or_b32_sdwa v55, v49, v52 dst_sel:DWORD dst_unused:UNUSED_PAD src0_sel:BYTE_0 src1_sel:DWORD
	v_or_b32_sdwa v54, v55, v54 dst_sel:DWORD dst_unused:UNUSED_PAD src0_sel:WORD_0 src1_sel:DWORD
	s_waitcnt vmcnt(4)
	v_xor_b32_e32 v50, v50, v54
	v_and_b32_e32 v54, 0xffffff00, v50
	v_sub_i16 v52, v54, v52 clamp
	v_lshlrev_b16_e32 v54, 8, v50
	v_lshlrev_b16_e32 v49, 8, v49
	v_and_b32_e32 v52, 0xffffff00, v52
	v_sub_i16 v49, v54, v49 clamp
	v_or_b32_sdwa v49, v49, v52 dst_sel:DWORD dst_unused:UNUSED_PAD src0_sel:BYTE_1 src1_sel:DWORD
	v_and_b32_sdwa v52, v50, s22 dst_sel:DWORD dst_unused:UNUSED_PAD src0_sel:WORD_1 src1_sel:DWORD
	v_sub_i16 v11, v52, v11 clamp
	v_lshlrev_b16_sdwa v50, v27, v50 dst_sel:DWORD dst_unused:UNUSED_PAD src0_sel:DWORD src1_sel:WORD_1
	v_lshlrev_b16_e32 v52, 8, v53
	v_and_b32_e32 v11, 0xffffff00, v11
	v_sub_i16 v50, v50, v52 clamp
	v_or_b32_sdwa v11, v50, v11 dst_sel:WORD_1 dst_unused:UNUSED_PAD src0_sel:BYTE_1 src1_sel:DWORD
	v_lshrrev_b16_e32 v51, 5, v51
	v_or_b32_sdwa v11, v49, v11 dst_sel:DWORD dst_unused:UNUSED_PAD src0_sel:WORD_0 src1_sel:DWORD
	v_and_b32_e32 v49, 0x80000000, v4
	v_cmp_ne_u16_sdwa s[16:17], v49, v13 src0_sel:BYTE_3 src1_sel:DWORD
	v_lshrrev_b32_e32 v48, 16, v41
	v_bfe_i32 v51, v51, 0, 1
	v_lshrrev_b32_e32 v4, 22, v4
	v_cndmask_b32_e64 v49, 0, -1, s[16:17]
	v_bfe_i32 v50, v48, 2, 1
	v_bfe_i32 v4, v4, 0, 1
	v_lshlrev_b16_e32 v49, 8, v49
	v_lshlrev_b16_e32 v51, 8, v51
	v_or_b32_sdwa v52, v4, v49 dst_sel:WORD_1 dst_unused:UNUSED_PAD src0_sel:BYTE_0 src1_sel:DWORD
	v_or_b32_sdwa v53, v50, v51 dst_sel:DWORD dst_unused:UNUSED_PAD src0_sel:BYTE_0 src1_sel:DWORD
	v_or_b32_sdwa v52, v53, v52 dst_sel:DWORD dst_unused:UNUSED_PAD src0_sel:WORD_0 src1_sel:DWORD
	s_waitcnt vmcnt(3)
	v_xor_b32_e32 v44, v44, v52
	v_and_b32_e32 v52, 0xffffff00, v44
	v_sub_i16 v51, v52, v51 clamp
	v_lshlrev_b16_e32 v52, 8, v44
	v_lshlrev_b16_e32 v50, 8, v50
	v_and_b32_e32 v51, 0xffffff00, v51
	v_sub_i16 v50, v52, v50 clamp
	v_or_b32_sdwa v50, v50, v51 dst_sel:DWORD dst_unused:UNUSED_PAD src0_sel:BYTE_1 src1_sel:DWORD
	v_and_b32_sdwa v51, v44, s22 dst_sel:DWORD dst_unused:UNUSED_PAD src0_sel:WORD_1 src1_sel:DWORD
	v_sub_i16 v49, v51, v49 clamp
	v_lshlrev_b16_sdwa v44, v27, v44 dst_sel:DWORD dst_unused:UNUSED_PAD src0_sel:DWORD src1_sel:WORD_1
	v_lshlrev_b16_e32 v4, 8, v4
	v_and_b32_e32 v49, 0xffffff00, v49
	v_sub_i16 v4, v44, v4 clamp
	v_or_b32_sdwa v4, v4, v49 dst_sel:WORD_1 dst_unused:UNUSED_PAD src0_sel:BYTE_1 src1_sel:DWORD
	v_dot4c_i32_i8_e32 v38, v32, v5
	v_or_b32_sdwa v44, v50, v4 dst_sel:DWORD dst_unused:UNUSED_PAD src0_sel:WORD_0 src1_sel:DWORD
	v_bfe_u32 v4, v41, 21, 8
	v_dot4c_i32_i8_e32 v43, v11, v5
	v_bcnt_u32_b32 v5, v4, 0
	v_and_b32_e32 v5, 1, v5
	v_lshlrev_b32_e32 v5, 7, v5
	v_xor_b32_e32 v4, v5, v4
	v_mul_lo_u32 v4, v4, s20
	v_and_b32_e32 v5, 0x8000000, v4
	v_lshrrev_b32_e32 v49, 8, v4
	v_lshrrev_b16_e32 v50, 1, v49
	v_cmp_ne_u16_sdwa s[16:17], v5, v13 src0_sel:BYTE_3 src1_sel:DWORD
	v_bfe_i32 v50, v50, 0, 1
	v_lshrrev_b32_e32 v51, 18, v4
	v_cndmask_b32_e64 v5, 0, -1, s[16:17]
	v_dot4c_i32_i8_e32 v38, v33, v6
	v_dot4c_i32_i8_e32 v43, v44, v6
	v_bfe_i32 v6, v48, 5, 1
	v_bfe_i32 v51, v51, 0, 1
	v_lshlrev_b16_e32 v5, 8, v5
	v_lshlrev_b16_e32 v50, 8, v50
	v_or_b32_sdwa v52, v51, v5 dst_sel:WORD_1 dst_unused:UNUSED_PAD src0_sel:BYTE_0 src1_sel:DWORD
	v_or_b32_sdwa v53, v6, v50 dst_sel:DWORD dst_unused:UNUSED_PAD src0_sel:BYTE_0 src1_sel:DWORD
	v_or_b32_sdwa v52, v53, v52 dst_sel:DWORD dst_unused:UNUSED_PAD src0_sel:WORD_0 src1_sel:DWORD
	s_waitcnt vmcnt(2)
	v_xor_b32_e32 v47, v47, v52
	v_and_b32_e32 v52, 0xffffff00, v47
	v_sub_i16 v50, v52, v50 clamp
	v_lshlrev_b16_e32 v52, 8, v47
	v_lshlrev_b16_e32 v6, 8, v6
	v_and_b32_e32 v50, 0xffffff00, v50
	v_sub_i16 v6, v52, v6 clamp
	v_or_b32_sdwa v6, v6, v50 dst_sel:DWORD dst_unused:UNUSED_PAD src0_sel:BYTE_1 src1_sel:DWORD
	v_and_b32_sdwa v50, v47, s22 dst_sel:DWORD dst_unused:UNUSED_PAD src0_sel:WORD_1 src1_sel:DWORD
	v_sub_i16 v5, v50, v5 clamp
	v_lshlrev_b16_sdwa v47, v27, v47 dst_sel:DWORD dst_unused:UNUSED_PAD src0_sel:DWORD src1_sel:WORD_1
	v_lshlrev_b16_e32 v50, 8, v51
	v_and_b32_e32 v5, 0xffffff00, v5
	v_sub_i16 v47, v47, v50 clamp
	v_or_b32_sdwa v5, v47, v5 dst_sel:WORD_1 dst_unused:UNUSED_PAD src0_sel:BYTE_1 src1_sel:DWORD
	v_bfe_i32 v47, v48, 9, 1
	v_or_b32_sdwa v6, v6, v5 dst_sel:DWORD dst_unused:UNUSED_PAD src0_sel:WORD_0 src1_sel:DWORD
	v_and_b32_e32 v5, 0x80000000, v4
	v_lshrrev_b16_e32 v48, 5, v49
	v_cmp_ne_u16_sdwa s[16:17], v5, v13 src0_sel:BYTE_3 src1_sel:DWORD
	v_bfe_i32 v48, v48, 0, 1
	v_lshrrev_b32_e32 v4, 22, v4
	v_cndmask_b32_e64 v5, 0, -1, s[16:17]
	v_bfe_i32 v4, v4, 0, 1
	v_lshlrev_b16_e32 v5, 8, v5
	v_lshlrev_b16_e32 v48, 8, v48
	v_or_b32_sdwa v49, v4, v5 dst_sel:WORD_1 dst_unused:UNUSED_PAD src0_sel:BYTE_0 src1_sel:DWORD
	v_or_b32_sdwa v50, v47, v48 dst_sel:DWORD dst_unused:UNUSED_PAD src0_sel:BYTE_0 src1_sel:DWORD
	v_or_b32_sdwa v49, v50, v49 dst_sel:DWORD dst_unused:UNUSED_PAD src0_sel:WORD_0 src1_sel:DWORD
	s_waitcnt vmcnt(1)
	v_xor_b32_e32 v46, v46, v49
	v_and_b32_e32 v49, 0xffffff00, v46
	v_sub_i16 v48, v49, v48 clamp
	v_lshlrev_b16_e32 v49, 8, v46
	v_lshlrev_b16_e32 v47, 8, v47
	v_and_b32_e32 v48, 0xffffff00, v48
	v_sub_i16 v47, v49, v47 clamp
	v_or_b32_sdwa v47, v47, v48 dst_sel:DWORD dst_unused:UNUSED_PAD src0_sel:BYTE_1 src1_sel:DWORD
	v_and_b32_sdwa v48, v46, s22 dst_sel:DWORD dst_unused:UNUSED_PAD src0_sel:WORD_1 src1_sel:DWORD
	v_sub_i16 v5, v48, v5 clamp
	v_lshlrev_b16_sdwa v46, v27, v46 dst_sel:DWORD dst_unused:UNUSED_PAD src0_sel:DWORD src1_sel:WORD_1
	v_lshlrev_b16_e32 v4, 8, v4
	v_and_b32_e32 v5, 0xffffff00, v5
	v_sub_i16 v4, v46, v4 clamp
	v_dot4c_i32_i8_e32 v38, v37, v7
	v_or_b32_sdwa v4, v4, v5 dst_sel:WORD_1 dst_unused:UNUSED_PAD src0_sel:BYTE_1 src1_sel:DWORD
	v_dot4c_i32_i8_e32 v38, v39, v35
	v_or_b32_sdwa v46, v47, v4 dst_sel:DWORD dst_unused:UNUSED_PAD src0_sel:WORD_0 src1_sel:DWORD
	v_dot4c_i32_i8_e32 v43, v6, v7
	v_dot4c_i32_i8_e32 v43, v46, v35
	v_lshrrev_b32_e32 v4, 31, v38
	v_add_u32_e32 v4, v38, v4
	v_lshrrev_b32_e32 v7, 28, v36
	v_lshrrev_b32_e32 v5, 31, v43
	v_ashrrev_i32_e32 v4, 1, v4
	v_add_u32_e32 v5, v43, v5
	v_ashrrev_i32_e32 v36, 1, v5
	v_mad_u64_u32 v[4:5], s[16:17], v38, v7, v[4:5]
	v_lshrrev_b32_e32 v35, 28, v41
	v_lshrrev_b32_e32 v5, 31, v4
	v_mad_u64_u32 v[48:49], s[16:17], v43, v35, v[36:37]
	v_add_u32_e32 v4, v4, v5
	v_ashrrev_i32_e32 v36, 1, v4
	v_lshrrev_b32_e32 v4, 31, v48
	v_add_u32_e32 v4, v48, v4
	v_ashrrev_i32_e32 v38, 1, v4
	s_waitcnt vmcnt(0)
	v_cvt_f32_f16_e32 v5, v45
	v_cvt_f32_f16_e32 v4, v34
	v_cvt_f32_i32_e32 v51, v38
	v_cvt_f32_i32_e32 v50, v36
	v_mov_b32_e32 v36, 0
	v_pk_mul_f32 v[48:49], v[8:9], v[4:5] op_sel_hi:[0,1]
	v_pk_fma_f32 v[0:1], v[48:49], v[50:51], v[0:1]
	v_mad_u64_u32 v[48:49], s[16:17], v25, 36, s[24:25]
	v_mad_u64_u32 v[56:57], s[16:17], v14, 36, v[48:49]
	global_load_dword v34, v[56:57], off offset:32
	global_load_dwordx4 v[48:51], v[56:57], off offset:16
	global_load_dwordx4 v[52:55], v[56:57], off
	v_add_u32_e32 v25, 0x80, v25
	s_waitcnt vmcnt(0)
	v_dot4c_i32_i8_e32 v36, v28, v53
	v_mov_b32_e32 v28, 0
	v_dot4c_i32_i8_e32 v36, v29, v54
	v_dot4c_i32_i8_e32 v28, v30, v53
	;; [unrolled: 1-line block ×15, first 2 shown]
	v_cvt_f32_f16_e32 v8, v52
	v_lshrrev_b32_e32 v6, 31, v36
	v_add_u32_e32 v6, v36, v6
	v_lshrrev_b32_e32 v9, 31, v28
	v_ashrrev_i32_e32 v6, 1, v6
	v_add_u32_e32 v9, v28, v9
	v_ashrrev_i32_e32 v10, 1, v9
	v_mad_u64_u32 v[6:7], s[16:17], v36, v7, v[6:7]
	v_mad_u64_u32 v[10:11], s[16:17], v28, v35, v[10:11]
	v_lshrrev_b32_e32 v7, 31, v6
	v_add_u32_e32 v6, v6, v7
	v_lshrrev_b32_e32 v7, 31, v10
	v_add_u32_e32 v7, v10, v7
	v_ashrrev_i32_e32 v6, 1, v6
	v_ashrrev_i32_e32 v7, 1, v7
	v_cvt_f32_i32_e32 v7, v7
	v_cvt_f32_i32_e32 v6, v6
	v_pk_mul_f32 v[4:5], v[8:9], v[4:5] op_sel_hi:[0,1]
	v_pk_fma_f32 v[2:3], v[4:5], v[6:7], v[2:3]
	s_andn2_b64 exec, exec, s[8:9]
	s_cbranch_execnz .LBB197_2
; %bb.3:
	s_or_b64 exec, exec, s[8:9]
	ds_write_b128 v22, v[0:3]
.LBB197_4:
	s_or_b64 exec, exec, s[0:1]
	v_cmp_eq_u32_e32 vcc, 0, v23
	v_cmp_ne_u32_e64 s[0:1], 0, v23
	v_lshlrev_b32_e32 v4, 2, v15
	s_and_saveexec_b64 s[8:9], s[0:1]
	s_cbranch_execz .LBB197_6
; %bb.5:
	v_lshl_or_b32 v5, v23, 10, v4
	v_add_u32_e32 v5, 0xfffffc00, v5
	ds_write2st64_b32 v5, v0, v1 offset1:1
	ds_write2st64_b32 v5, v2, v3 offset0:2 offset1:3
.LBB197_6:
	s_or_b64 exec, exec, s[8:9]
	s_waitcnt lgkmcnt(0)
	s_barrier
	s_and_saveexec_b64 s[0:1], vcc
	s_cbranch_execz .LBB197_11
; %bb.7:
	v_mbcnt_lo_u32_b32 v0, -1, 0
	v_mbcnt_hi_u32_b32 v12, -1, v0
	ds_read2st64_b32 v[2:3], v4 offset1:1
	ds_read_b64 v[6:7], v22
	v_and_b32_e32 v0, 64, v12
	v_add_u32_e32 v13, 64, v0
	v_xor_b32_e32 v0, 32, v12
	v_cmp_lt_i32_e32 vcc, v0, v13
	s_waitcnt lgkmcnt(0)
	v_pk_add_f32 v[2:3], v[2:3], v[6:7]
	v_xor_b32_e32 v1, 16, v12
	v_cndmask_b32_e32 v0, v12, v0, vcc
	v_lshlrev_b32_e32 v0, 2, v0
	ds_bpermute_b32 v6, v0, v2
	ds_bpermute_b32 v7, v0, v3
	v_cmp_lt_i32_e32 vcc, v1, v13
	v_xor_b32_e32 v5, 2, v12
	s_load_dwordx2 s[0:1], s[2:3], 0x38
	v_cndmask_b32_e32 v1, v12, v1, vcc
	v_lshlrev_b32_e32 v1, 2, v1
	s_waitcnt lgkmcnt(0)
	v_pk_add_f32 v[6:7], v[2:3], v[6:7]
	ds_bpermute_b32 v8, v1, v6
	ds_bpermute_b32 v9, v1, v7
	v_xor_b32_e32 v2, 8, v12
	v_cmp_lt_i32_e32 vcc, v2, v13
	v_xor_b32_e32 v3, 4, v12
	s_mul_i32 s2, s5, s14
	v_cndmask_b32_e32 v2, v12, v2, vcc
	v_lshlrev_b32_e32 v2, 2, v2
	s_waitcnt lgkmcnt(0)
	v_pk_add_f32 v[6:7], v[6:7], v[8:9]
	ds_bpermute_b32 v8, v2, v6
	ds_bpermute_b32 v9, v2, v7
	v_cmp_lt_i32_e32 vcc, v3, v13
	s_mul_i32 s6, s6, s18
	s_add_i32 s2, s2, s4
	v_cndmask_b32_e32 v3, v12, v3, vcc
	v_lshlrev_b32_e32 v3, 2, v3
	s_waitcnt lgkmcnt(0)
	v_pk_add_f32 v[6:7], v[6:7], v[8:9]
	ds_bpermute_b32 v8, v3, v6
	ds_bpermute_b32 v9, v3, v7
	v_cmp_lt_i32_e32 vcc, v5, v13
	s_add_i32 s2, s2, s6
	s_mov_b32 s3, 0
	v_cndmask_b32_e32 v5, v12, v5, vcc
	v_lshlrev_b32_e32 v5, 2, v5
	s_waitcnt lgkmcnt(0)
	v_pk_add_f32 v[8:9], v[6:7], v[8:9]
	ds_bpermute_b32 v10, v5, v8
	ds_bpermute_b32 v11, v5, v9
	v_xor_b32_e32 v6, 1, v12
	v_cmp_lt_i32_e32 vcc, v6, v13
	s_lshl_b64 s[2:3], s[2:3], 2
	s_add_u32 s2, s0, s2
	v_cndmask_b32_e32 v6, v12, v6, vcc
	v_lshlrev_b32_e32 v6, 2, v6
	s_waitcnt lgkmcnt(0)
	v_pk_add_f32 v[8:9], v[8:9], v[10:11]
	ds_bpermute_b32 v10, v6, v8
	ds_bpermute_b32 v11, v6, v9
	v_or_b32_e32 v7, s4, v15
	s_addc_u32 s3, s1, s3
	v_cmp_gt_u32_e32 vcc, 2, v15
	v_cmp_gt_u32_e64 s[0:1], s10, v7
	s_and_b64 s[0:1], vcc, s[0:1]
	s_waitcnt lgkmcnt(0)
	v_pk_add_f32 v[8:9], v[8:9], v[10:11]
	ds_write_b64 v22, v[8:9]
	s_and_saveexec_b64 s[4:5], s[0:1]
	s_cbranch_execz .LBB197_9
; %bb.8:
	v_add_u32_e32 v7, v22, v4
	ds_read_b32 v7, v7
	s_waitcnt lgkmcnt(0)
	global_store_dword v4, v7, s[2:3]
.LBB197_9:
	s_or_b64 exec, exec, s[4:5]
	ds_read2st64_b32 v[8:9], v4 offset0:2 offset1:3
	ds_read_b64 v[10:11], v22 offset:8
	s_waitcnt lgkmcnt(0)
	v_pk_add_f32 v[8:9], v[8:9], v[10:11]
	ds_bpermute_b32 v10, v0, v8
	ds_bpermute_b32 v11, v0, v9
	s_waitcnt lgkmcnt(0)
	v_pk_add_f32 v[8:9], v[8:9], v[10:11]
	ds_bpermute_b32 v0, v1, v8
	ds_bpermute_b32 v1, v1, v9
	;; [unrolled: 4-line block ×6, first 2 shown]
	s_waitcnt lgkmcnt(0)
	v_pk_add_f32 v[0:1], v[0:1], v[2:3]
	ds_write_b64 v22, v[0:1] offset:8
	s_and_b64 exec, exec, s[0:1]
	s_cbranch_execz .LBB197_11
; %bb.10:
	v_lshl_add_u32 v0, v15, 2, v22
	ds_read_b32 v2, v0 offset:8
	v_add_u32_e32 v0, s10, v15
	v_mov_b32_e32 v1, 0
	v_lshl_add_u64 v[0:1], v[0:1], 2, s[2:3]
	s_waitcnt lgkmcnt(0)
	global_store_dword v[0:1], v2, off
.LBB197_11:
	s_endpgm
	.section	.rodata,"a",@progbits
	.p2align	6, 0x0
	.amdhsa_kernel _ZL13mul_mat_vec_qIL9ggml_type18ELi2ELb0ELb0EEvPKvS2_PKi31ggml_cuda_mm_fusion_args_devicePfj15HIP_vector_typeIjLj3EEjjjS8_jjjS8_jjjj
		.amdhsa_group_segment_fixed_size 3072
		.amdhsa_private_segment_fixed_size 0
		.amdhsa_kernarg_size 144
		.amdhsa_user_sgpr_count 4
		.amdhsa_user_sgpr_dispatch_ptr 1
		.amdhsa_user_sgpr_queue_ptr 0
		.amdhsa_user_sgpr_kernarg_segment_ptr 1
		.amdhsa_user_sgpr_dispatch_id 0
		.amdhsa_user_sgpr_kernarg_preload_length 0
		.amdhsa_user_sgpr_kernarg_preload_offset 0
		.amdhsa_user_sgpr_private_segment_size 0
		.amdhsa_uses_dynamic_stack 0
		.amdhsa_enable_private_segment 0
		.amdhsa_system_sgpr_workgroup_id_x 1
		.amdhsa_system_sgpr_workgroup_id_y 1
		.amdhsa_system_sgpr_workgroup_id_z 1
		.amdhsa_system_sgpr_workgroup_info 0
		.amdhsa_system_vgpr_workitem_id 2
		.amdhsa_next_free_vgpr 63
		.amdhsa_next_free_sgpr 30
		.amdhsa_accum_offset 64
		.amdhsa_reserve_vcc 1
		.amdhsa_float_round_mode_32 0
		.amdhsa_float_round_mode_16_64 0
		.amdhsa_float_denorm_mode_32 3
		.amdhsa_float_denorm_mode_16_64 3
		.amdhsa_dx10_clamp 1
		.amdhsa_ieee_mode 1
		.amdhsa_fp16_overflow 0
		.amdhsa_tg_split 0
		.amdhsa_exception_fp_ieee_invalid_op 0
		.amdhsa_exception_fp_denorm_src 0
		.amdhsa_exception_fp_ieee_div_zero 0
		.amdhsa_exception_fp_ieee_overflow 0
		.amdhsa_exception_fp_ieee_underflow 0
		.amdhsa_exception_fp_ieee_inexact 0
		.amdhsa_exception_int_div_zero 0
	.end_amdhsa_kernel
	.section	.text._ZL13mul_mat_vec_qIL9ggml_type18ELi2ELb0ELb0EEvPKvS2_PKi31ggml_cuda_mm_fusion_args_devicePfj15HIP_vector_typeIjLj3EEjjjS8_jjjS8_jjjj,"axG",@progbits,_ZL13mul_mat_vec_qIL9ggml_type18ELi2ELb0ELb0EEvPKvS2_PKi31ggml_cuda_mm_fusion_args_devicePfj15HIP_vector_typeIjLj3EEjjjS8_jjjS8_jjjj,comdat
.Lfunc_end197:
	.size	_ZL13mul_mat_vec_qIL9ggml_type18ELi2ELb0ELb0EEvPKvS2_PKi31ggml_cuda_mm_fusion_args_devicePfj15HIP_vector_typeIjLj3EEjjjS8_jjjS8_jjjj, .Lfunc_end197-_ZL13mul_mat_vec_qIL9ggml_type18ELi2ELb0ELb0EEvPKvS2_PKi31ggml_cuda_mm_fusion_args_devicePfj15HIP_vector_typeIjLj3EEjjjS8_jjjS8_jjjj
                                        ; -- End function
	.section	.AMDGPU.csdata,"",@progbits
; Kernel info:
; codeLenInByte = 5660
; NumSgprs: 36
; NumVgprs: 63
; NumAgprs: 0
; TotalNumVgprs: 63
; ScratchSize: 0
; MemoryBound: 0
; FloatMode: 240
; IeeeMode: 1
; LDSByteSize: 3072 bytes/workgroup (compile time only)
; SGPRBlocks: 4
; VGPRBlocks: 7
; NumSGPRsForWavesPerEU: 36
; NumVGPRsForWavesPerEU: 63
; AccumOffset: 64
; Occupancy: 8
; WaveLimiterHint : 0
; COMPUTE_PGM_RSRC2:SCRATCH_EN: 0
; COMPUTE_PGM_RSRC2:USER_SGPR: 4
; COMPUTE_PGM_RSRC2:TRAP_HANDLER: 0
; COMPUTE_PGM_RSRC2:TGID_X_EN: 1
; COMPUTE_PGM_RSRC2:TGID_Y_EN: 1
; COMPUTE_PGM_RSRC2:TGID_Z_EN: 1
; COMPUTE_PGM_RSRC2:TIDIG_COMP_CNT: 2
; COMPUTE_PGM_RSRC3_GFX90A:ACCUM_OFFSET: 15
; COMPUTE_PGM_RSRC3_GFX90A:TG_SPLIT: 0
	.section	.text._ZL13mul_mat_vec_qIL9ggml_type18ELi3ELb0ELb0EEvPKvS2_PKi31ggml_cuda_mm_fusion_args_devicePfj15HIP_vector_typeIjLj3EEjjjS8_jjjS8_jjjj,"axG",@progbits,_ZL13mul_mat_vec_qIL9ggml_type18ELi3ELb0ELb0EEvPKvS2_PKi31ggml_cuda_mm_fusion_args_devicePfj15HIP_vector_typeIjLj3EEjjjS8_jjjS8_jjjj,comdat
	.globl	_ZL13mul_mat_vec_qIL9ggml_type18ELi3ELb0ELb0EEvPKvS2_PKi31ggml_cuda_mm_fusion_args_devicePfj15HIP_vector_typeIjLj3EEjjjS8_jjjS8_jjjj ; -- Begin function _ZL13mul_mat_vec_qIL9ggml_type18ELi3ELb0ELb0EEvPKvS2_PKi31ggml_cuda_mm_fusion_args_devicePfj15HIP_vector_typeIjLj3EEjjjS8_jjjS8_jjjj
	.p2align	8
	.type	_ZL13mul_mat_vec_qIL9ggml_type18ELi3ELb0ELb0EEvPKvS2_PKi31ggml_cuda_mm_fusion_args_devicePfj15HIP_vector_typeIjLj3EEjjjS8_jjjS8_jjjj,@function
_ZL13mul_mat_vec_qIL9ggml_type18ELi3ELb0ELb0EEvPKvS2_PKi31ggml_cuda_mm_fusion_args_devicePfj15HIP_vector_typeIjLj3EEjjjS8_jjjS8_jjjj: ; @_ZL13mul_mat_vec_qIL9ggml_type18ELi3ELb0ELb0EEvPKvS2_PKi31ggml_cuda_mm_fusion_args_devicePfj15HIP_vector_typeIjLj3EEjjjS8_jjjS8_jjjj
; %bb.0:
	v_bfe_u32 v24, v0, 10, 10
	v_and_b32_e32 v17, 0x3ff, v0
	v_lshl_add_u32 v4, v24, 6, v17
	s_load_dword s6, s[0:1], 0x40
	s_load_dwordx4 s[8:11], s[0:1], 0x50
	s_load_dword s27, s[0:1], 0x60
	s_load_dwordx4 s[12:15], s[0:1], 0x68
	s_load_dword s26, s[0:1], 0x78
	s_load_dwordx4 s[16:19], s[0:1], 0x80
	s_lshl_b32 s5, s2, 1
	s_waitcnt lgkmcnt(0)
	s_lshr_b32 s2, s6, 8
	v_mov_b32_e32 v0, 0
	v_lshrrev_b32_e32 v25, 3, v4
	v_mov_b32_e32 v1, v0
	v_mov_b32_e32 v2, v0
	;; [unrolled: 1-line block ×3, first 2 shown]
	v_cmp_gt_u32_e32 vcc, s2, v25
	v_mov_b32_e32 v13, v0
	v_mov_b32_e32 v12, v0
	scratch_store_dwordx2 off, v[0:1], off offset:16
	scratch_store_dwordx4 off, v[0:3], off
	s_and_saveexec_b64 s[6:7], vcc
	s_cbranch_execz .LBB198_4
; %bb.1:
	s_load_dwordx4 s[20:23], s[0:1], 0x0
	s_mul_i32 s17, s4, s17
	s_mul_i32 s24, s17, 36
	;; [unrolled: 1-line block ×3, first 2 shown]
	s_mul_hi_u32 s19, s17, 36
	s_waitcnt lgkmcnt(0)
	s_add_u32 s24, s22, s24
	s_addc_u32 s19, s23, s19
	s_mul_i32 s28, s13, 36
	s_mul_hi_u32 s29, s13, 36
	s_add_u32 s24, s24, s28
	s_mul_hi_u32 s11, s11, s3
	s_addc_u32 s25, s19, s29
	s_add_i32 s11, s3, s11
	s_lshr_b32 s11, s11, s27
	s_mul_i32 s11, s11, s12
	s_mul_hi_u32 s12, s15, s4
	s_add_i32 s12, s4, s12
	s_lshr_b32 s12, s12, s26
	s_mul_i32 s12, s12, s16
	s_add_i32 s15, s12, s11
	s_add_i32 s12, s5, 1
	s_mul_i32 s13, s5, s8
	s_mul_i32 s8, s8, s12
	s_add_i32 s11, s15, s13
	s_add_i32 s15, s15, s8
	v_lshlrev_b32_e32 v1, 3, v25
	s_movk_i32 s8, 0x120
	v_mov_b64_e32 v[4:5], s[28:29]
	v_add_u32_e32 v26, s9, v1
	v_lshl_add_u32 v27, s9, 1, v1
	v_mad_u64_u32 v[4:5], s[8:9], v25, s8, v[4:5]
	v_lshlrev_b32_e32 v0, 1, v17
	v_and_b32_e32 v16, 7, v17
	v_mad_u64_u32 v[4:5], s[8:9], s17, 36, v[4:5]
	v_and_b32_e32 v0, 14, v0
	v_mad_u64_u32 v[4:5], s[8:9], v16, 36, v[4:5]
	v_lshlrev_b32_e32 v2, 1, v0
	v_mov_b32_e32 v15, 0
	v_lshl_add_u64 v[4:5], v[4:5], 0, s[22:23]
	v_lshl_add_u64 v[18:19], v[4:5], 0, 32
	s_mov_b64 s[8:9], 0
	s_movk_i32 s19, 0x62
	v_mov_b64_e32 v[20:21], s[20:21]
	v_lshlrev_b32_e32 v14, 1, v0
	v_lshlrev_b32_e32 v22, 1, v2
	s_mov_b32 s20, 0x1010101
	s_mov_b32 s21, 0xffff
	s_movk_i32 s22, 0xff00
	s_mov_b64 s[12:13], 0x1200
	v_mov_b32_e32 v23, v15
	v_mov_b32_e32 v28, 2
	;; [unrolled: 1-line block ×9, first 2 shown]
.LBB198_2:                              ; =>This Inner Loop Header: Depth=1
	v_add_u32_e32 v30, s11, v25
	v_mad_i64_i32 v[32:33], s[16:17], v30, s19, v[20:21]
	v_lshl_add_u64 v[34:35], v[32:33], 0, v[22:23]
	global_load_dword v39, v[18:19], off
	global_load_dwordx4 v[4:7], v[18:19], off offset:-16
	global_load_dwordx4 v[8:11], v[18:19], off offset:-32
	v_lshl_add_u64 v[30:31], v[32:33], 0, v[14:15]
	global_load_dwordx2 v[42:43], v[34:35], off offset:2
	global_load_dword v40, v[30:31], off offset:66
	s_getpc_b64 s[16:17]
	s_add_u32 s16, s16, _ZL11iq3xxs_grid@rel32@lo+4
	s_addc_u32 s17, s17, _ZL11iq3xxs_grid@rel32@hi+12
	v_lshl_add_u64 v[18:19], v[18:19], 0, s[12:13]
	s_waitcnt vmcnt(2)
	v_cvt_f32_f16_e32 v8, v8
	s_waitcnt vmcnt(1)
	v_lshlrev_b32_sdwa v30, v28, v42 dst_sel:DWORD dst_unused:UNUSED_PAD src0_sel:DWORD src1_sel:BYTE_0
	global_load_dword v30, v30, s[16:17]
	v_lshlrev_b32_sdwa v31, v28, v42 dst_sel:DWORD dst_unused:UNUSED_PAD src0_sel:DWORD src1_sel:BYTE_1
	global_load_dword v31, v31, s[16:17]
	s_waitcnt vmcnt(2)
	v_and_b32_e32 v34, 0xff, v40
	v_bcnt_u32_b32 v35, v34, 0
	v_and_b32_e32 v35, 1, v35
	v_lshlrev_b32_e32 v35, 7, v35
	v_xor_b32_e32 v34, v35, v34
	v_mul_lo_u32 v34, v34, s20
	v_and_b32_e32 v35, 0x8000000, v34
	v_lshrrev_b32_e32 v37, 8, v34
	v_lshrrev_b16_e32 v38, 1, v37
	v_cmp_ne_u16_sdwa s[26:27], v35, v15 src0_sel:BYTE_3 src1_sel:DWORD
	v_and_b32_e32 v36, 1, v40
	v_bfe_i32 v38, v38, 0, 1
	v_lshrrev_b32_e32 v41, 18, v34
	v_cndmask_b32_e64 v35, 0, -1, s[26:27]
	v_sub_u16_e32 v36, 0, v36
	v_bfe_i32 v41, v41, 0, 1
	v_lshlrev_b16_e32 v35, 8, v35
	v_lshlrev_b16_e32 v38, 8, v38
	v_or_b32_sdwa v44, v41, v35 dst_sel:WORD_1 dst_unused:UNUSED_PAD src0_sel:BYTE_0 src1_sel:DWORD
	v_or_b32_sdwa v45, v36, v38 dst_sel:DWORD dst_unused:UNUSED_PAD src0_sel:BYTE_0 src1_sel:DWORD
	v_or_b32_sdwa v44, v45, v44 dst_sel:DWORD dst_unused:UNUSED_PAD src0_sel:WORD_0 src1_sel:DWORD
	v_lshlrev_b16_e32 v36, 8, v36
	v_lshrrev_b16_e32 v37, 5, v37
	v_bfe_i32 v37, v37, 0, 1
	v_lshlrev_b16_e32 v37, 8, v37
	v_bfe_i32 v56, v40, 7, 1
	s_waitcnt vmcnt(1)
	v_xor_b32_e32 v30, v30, v44
	v_and_b32_e32 v44, 0xffffff00, v30
	v_sub_i16 v38, v44, v38 clamp
	v_lshlrev_b16_e32 v44, 8, v30
	v_and_b32_e32 v38, 0xffffff00, v38
	v_sub_i16 v36, v44, v36 clamp
	v_or_b32_sdwa v36, v36, v38 dst_sel:DWORD dst_unused:UNUSED_PAD src0_sel:BYTE_1 src1_sel:DWORD
	v_and_b32_sdwa v38, v30, s22 dst_sel:DWORD dst_unused:UNUSED_PAD src0_sel:WORD_1 src1_sel:DWORD
	v_sub_i16 v35, v38, v35 clamp
	v_lshlrev_b16_sdwa v30, v29, v30 dst_sel:DWORD dst_unused:UNUSED_PAD src0_sel:DWORD src1_sel:WORD_1
	v_lshlrev_b16_e32 v38, 8, v41
	v_and_b32_e32 v35, 0xffffff00, v35
	v_sub_i16 v30, v30, v38 clamp
	v_or_b32_sdwa v30, v30, v35 dst_sel:WORD_1 dst_unused:UNUSED_PAD src0_sel:BYTE_1 src1_sel:DWORD
	v_and_b32_e32 v35, 0x80000000, v34
	v_cmp_ne_u16_sdwa s[26:27], v35, v15 src0_sel:BYTE_3 src1_sel:DWORD
	v_lshrrev_b32_e32 v34, 22, v34
	v_or_b32_sdwa v30, v36, v30 dst_sel:DWORD dst_unused:UNUSED_PAD src0_sel:WORD_0 src1_sel:DWORD
	v_cndmask_b32_e64 v35, 0, -1, s[26:27]
	v_bfe_i32 v36, v40, 4, 1
	v_bfe_i32 v34, v34, 0, 1
	v_lshlrev_b16_e32 v35, 8, v35
	v_or_b32_sdwa v38, v34, v35 dst_sel:WORD_1 dst_unused:UNUSED_PAD src0_sel:BYTE_0 src1_sel:DWORD
	v_or_b32_sdwa v41, v36, v37 dst_sel:DWORD dst_unused:UNUSED_PAD src0_sel:BYTE_0 src1_sel:DWORD
	v_or_b32_sdwa v38, v41, v38 dst_sel:DWORD dst_unused:UNUSED_PAD src0_sel:WORD_0 src1_sel:DWORD
	s_waitcnt vmcnt(0)
	v_xor_b32_e32 v31, v31, v38
	v_and_b32_e32 v38, 0xffffff00, v31
	v_sub_i16 v37, v38, v37 clamp
	v_lshlrev_b16_e32 v38, 8, v31
	v_lshlrev_b16_e32 v36, 8, v36
	v_and_b32_e32 v37, 0xffffff00, v37
	v_sub_i16 v36, v38, v36 clamp
	v_or_b32_sdwa v36, v36, v37 dst_sel:DWORD dst_unused:UNUSED_PAD src0_sel:BYTE_1 src1_sel:DWORD
	v_and_b32_sdwa v37, v31, s22 dst_sel:DWORD dst_unused:UNUSED_PAD src0_sel:WORD_1 src1_sel:DWORD
	v_sub_i16 v35, v37, v35 clamp
	v_lshlrev_b16_sdwa v31, v29, v31 dst_sel:DWORD dst_unused:UNUSED_PAD src0_sel:DWORD src1_sel:WORD_1
	v_lshlrev_b16_e32 v34, 8, v34
	v_and_b32_e32 v35, 0xffffff00, v35
	v_sub_i16 v31, v31, v34 clamp
	v_or_b32_sdwa v31, v31, v35 dst_sel:WORD_1 dst_unused:UNUSED_PAD src0_sel:BYTE_1 src1_sel:DWORD
	v_lshlrev_b32_sdwa v34, v28, v42 dst_sel:DWORD dst_unused:UNUSED_PAD src0_sel:DWORD src1_sel:BYTE_2
	v_or_b32_sdwa v31, v36, v31 dst_sel:DWORD dst_unused:UNUSED_PAD src0_sel:WORD_0 src1_sel:DWORD
	v_lshlrev_b32_sdwa v36, v28, v43 dst_sel:DWORD dst_unused:UNUSED_PAD src0_sel:DWORD src1_sel:BYTE_2
	global_load_dword v57, v34, s[16:17]
	global_load_dword v37, v36, s[16:17]
	v_lshlrev_b32_sdwa v34, v28, v42 dst_sel:DWORD dst_unused:UNUSED_PAD src0_sel:DWORD src1_sel:BYTE_3
	global_load_dword v55, v34, s[16:17]
	v_lshlrev_b32_sdwa v34, v28, v43 dst_sel:DWORD dst_unused:UNUSED_PAD src0_sel:DWORD src1_sel:BYTE_0
	global_load_dword v54, v34, s[16:17]
	v_lshlrev_b32_sdwa v34, v28, v43 dst_sel:DWORD dst_unused:UNUSED_PAD src0_sel:DWORD src1_sel:BYTE_1
	v_lshlrev_b32_sdwa v41, v28, v43 dst_sel:DWORD dst_unused:UNUSED_PAD src0_sel:DWORD src1_sel:BYTE_3
	global_load_dword v35, v34, s[16:17]
	global_load_dword v38, v41, s[16:17]
	global_load_ushort v36, v[32:33], off
	v_add_u32_e32 v32, s15, v25
	v_mad_i64_i32 v[58:59], s[26:27], v32, s19, v[20:21]
	v_lshl_add_u64 v[42:43], v[58:59], 0, v[22:23]
	v_lshl_add_u64 v[32:33], v[58:59], 0, v[14:15]
	global_load_dwordx2 v[60:61], v[42:43], off offset:2
	global_load_dword v46, v[32:33], off offset:66
	v_mov_b32_e32 v44, 0
	v_dot4c_i32_i8_e32 v44, v30, v9
	v_dot4c_i32_i8_e32 v44, v31, v10
	v_bfe_i32 v34, v40, 14, 1
	v_add_u32_e32 v25, 16, v25
	v_cmp_le_u32_e32 vcc, s2, v25
	s_or_b64 s[8:9], vcc, s[8:9]
	s_waitcnt vmcnt(1)
	v_lshlrev_b32_sdwa v32, v28, v60 dst_sel:DWORD dst_unused:UNUSED_PAD src0_sel:DWORD src1_sel:BYTE_0
	global_load_dword v32, v32, s[16:17]
	v_lshlrev_b32_sdwa v33, v28, v60 dst_sel:DWORD dst_unused:UNUSED_PAD src0_sel:DWORD src1_sel:BYTE_1
	global_load_dword v33, v33, s[16:17]
	s_waitcnt vmcnt(2)
	v_and_b32_e32 v41, 0xff, v46
	v_bcnt_u32_b32 v42, v41, 0
	v_and_b32_e32 v42, 1, v42
	v_lshlrev_b32_e32 v42, 7, v42
	v_xor_b32_e32 v41, v42, v41
	v_mul_lo_u32 v41, v41, s20
	v_and_b32_e32 v42, 0x8000000, v41
	v_lshrrev_b32_e32 v45, 8, v41
	v_lshrrev_b16_e32 v47, 1, v45
	v_cmp_ne_u16_sdwa s[26:27], v42, v15 src0_sel:BYTE_3 src1_sel:DWORD
	v_and_b32_e32 v43, 1, v46
	v_bfe_i32 v47, v47, 0, 1
	v_lshrrev_b32_e32 v48, 18, v41
	v_cndmask_b32_e64 v42, 0, -1, s[26:27]
	v_sub_u16_e32 v43, 0, v43
	v_bfe_i32 v48, v48, 0, 1
	v_lshlrev_b16_e32 v42, 8, v42
	v_lshlrev_b16_e32 v47, 8, v47
	v_or_b32_sdwa v49, v48, v42 dst_sel:WORD_1 dst_unused:UNUSED_PAD src0_sel:BYTE_0 src1_sel:DWORD
	v_or_b32_sdwa v50, v43, v47 dst_sel:DWORD dst_unused:UNUSED_PAD src0_sel:BYTE_0 src1_sel:DWORD
	v_or_b32_sdwa v49, v50, v49 dst_sel:DWORD dst_unused:UNUSED_PAD src0_sel:WORD_0 src1_sel:DWORD
	v_lshlrev_b16_e32 v43, 8, v43
	v_lshrrev_b16_e32 v45, 5, v45
	v_bfe_i32 v45, v45, 0, 1
	v_lshlrev_b16_e32 v45, 8, v45
	v_bfe_i32 v51, v46, 14, 1
	v_lshrrev_b32_e32 v50, 16, v46
	s_waitcnt vmcnt(1)
	v_xor_b32_e32 v32, v32, v49
	v_and_b32_e32 v49, 0xffffff00, v32
	v_sub_i16 v47, v49, v47 clamp
	v_lshlrev_b16_e32 v49, 8, v32
	v_and_b32_e32 v47, 0xffffff00, v47
	v_sub_i16 v43, v49, v43 clamp
	v_or_b32_sdwa v43, v43, v47 dst_sel:DWORD dst_unused:UNUSED_PAD src0_sel:BYTE_1 src1_sel:DWORD
	v_and_b32_sdwa v47, v32, s22 dst_sel:DWORD dst_unused:UNUSED_PAD src0_sel:WORD_1 src1_sel:DWORD
	v_sub_i16 v42, v47, v42 clamp
	v_lshlrev_b16_sdwa v32, v29, v32 dst_sel:DWORD dst_unused:UNUSED_PAD src0_sel:DWORD src1_sel:WORD_1
	v_lshlrev_b16_e32 v47, 8, v48
	v_and_b32_e32 v42, 0xffffff00, v42
	v_sub_i16 v32, v32, v47 clamp
	v_or_b32_sdwa v32, v32, v42 dst_sel:WORD_1 dst_unused:UNUSED_PAD src0_sel:BYTE_1 src1_sel:DWORD
	v_and_b32_e32 v42, 0x80000000, v41
	v_cmp_ne_u16_sdwa s[26:27], v42, v15 src0_sel:BYTE_3 src1_sel:DWORD
	v_lshrrev_b32_e32 v41, 22, v41
	v_or_b32_sdwa v32, v43, v32 dst_sel:DWORD dst_unused:UNUSED_PAD src0_sel:WORD_0 src1_sel:DWORD
	v_cndmask_b32_e64 v42, 0, -1, s[26:27]
	v_bfe_i32 v43, v46, 4, 1
	v_bfe_i32 v41, v41, 0, 1
	v_lshlrev_b16_e32 v42, 8, v42
	v_or_b32_sdwa v47, v41, v42 dst_sel:WORD_1 dst_unused:UNUSED_PAD src0_sel:BYTE_0 src1_sel:DWORD
	v_or_b32_sdwa v48, v43, v45 dst_sel:DWORD dst_unused:UNUSED_PAD src0_sel:BYTE_0 src1_sel:DWORD
	v_or_b32_sdwa v47, v48, v47 dst_sel:DWORD dst_unused:UNUSED_PAD src0_sel:WORD_0 src1_sel:DWORD
	s_waitcnt vmcnt(0)
	v_xor_b32_e32 v33, v33, v47
	v_and_b32_e32 v47, 0xffffff00, v33
	v_sub_i16 v45, v47, v45 clamp
	v_lshlrev_b16_e32 v47, 8, v33
	v_lshlrev_b16_e32 v43, 8, v43
	v_and_b32_e32 v45, 0xffffff00, v45
	v_sub_i16 v43, v47, v43 clamp
	v_or_b32_sdwa v43, v43, v45 dst_sel:DWORD dst_unused:UNUSED_PAD src0_sel:BYTE_1 src1_sel:DWORD
	v_and_b32_sdwa v45, v33, s22 dst_sel:DWORD dst_unused:UNUSED_PAD src0_sel:WORD_1 src1_sel:DWORD
	v_sub_i16 v42, v45, v42 clamp
	v_lshlrev_b16_sdwa v33, v29, v33 dst_sel:DWORD dst_unused:UNUSED_PAD src0_sel:DWORD src1_sel:WORD_1
	v_lshlrev_b16_e32 v41, 8, v41
	v_mov_b32_e32 v47, 0
	v_and_b32_e32 v42, 0xffffff00, v42
	v_sub_i16 v33, v33, v41 clamp
	v_dot4c_i32_i8_e32 v47, v32, v9
	v_lshlrev_b32_sdwa v9, v28, v60 dst_sel:DWORD dst_unused:UNUSED_PAD src0_sel:DWORD src1_sel:BYTE_2
	v_or_b32_sdwa v33, v33, v42 dst_sel:WORD_1 dst_unused:UNUSED_PAD src0_sel:BYTE_1 src1_sel:DWORD
	global_load_dword v53, v9, s[16:17]
	v_lshlrev_b32_sdwa v9, v28, v60 dst_sel:DWORD dst_unused:UNUSED_PAD src0_sel:DWORD src1_sel:BYTE_3
	v_or_b32_sdwa v33, v43, v33 dst_sel:DWORD dst_unused:UNUSED_PAD src0_sel:WORD_0 src1_sel:DWORD
	global_load_dword v43, v9, s[16:17]
	v_lshlrev_b32_sdwa v9, v28, v61 dst_sel:DWORD dst_unused:UNUSED_PAD src0_sel:DWORD src1_sel:BYTE_0
	global_load_dword v52, v9, s[16:17]
	v_lshlrev_b32_sdwa v9, v28, v61 dst_sel:DWORD dst_unused:UNUSED_PAD src0_sel:DWORD src1_sel:BYTE_1
	global_load_dword v45, v9, s[16:17]
	v_lshlrev_b32_sdwa v9, v28, v61 dst_sel:DWORD dst_unused:UNUSED_PAD src0_sel:DWORD src1_sel:BYTE_2
	global_load_dword v49, v9, s[16:17]
	v_lshlrev_b32_sdwa v9, v28, v61 dst_sel:DWORD dst_unused:UNUSED_PAD src0_sel:DWORD src1_sel:BYTE_3
	global_load_dword v48, v9, s[16:17]
	global_load_ushort v41, v[58:59], off
	v_and_b32_e32 v9, 0xffff0000, v40
	v_and_or_b32 v59, v40, s21, v9
	v_bfe_u32 v9, v40, 7, 8
	v_dot4c_i32_i8_e32 v47, v33, v10
	v_bcnt_u32_b32 v10, v9, 0
	v_and_b32_e32 v10, 1, v10
	v_lshlrev_b32_e32 v10, 7, v10
	v_xor_b32_e32 v9, v10, v9
	v_mul_lo_u32 v10, v9, s20
	v_and_b32_e32 v9, 0x8000000, v10
	v_lshrrev_b32_e32 v60, 8, v10
	v_lshrrev_b16_e32 v61, 1, v60
	v_cmp_ne_u16_sdwa s[16:17], v9, v15 src0_sel:BYTE_3 src1_sel:DWORD
	v_bfe_i32 v61, v61, 0, 1
	v_lshrrev_b32_e32 v62, 18, v10
	v_cndmask_b32_e64 v9, 0, -1, s[16:17]
	v_bfe_i32 v62, v62, 0, 1
	v_lshlrev_b16_e32 v9, 8, v9
	v_lshlrev_b16_e32 v61, 8, v61
	v_or_b32_sdwa v63, v62, v9 dst_sel:WORD_1 dst_unused:UNUSED_PAD src0_sel:BYTE_0 src1_sel:DWORD
	v_or_b32_sdwa v64, v56, v61 dst_sel:DWORD dst_unused:UNUSED_PAD src0_sel:BYTE_0 src1_sel:DWORD
	v_or_b32_sdwa v63, v64, v63 dst_sel:DWORD dst_unused:UNUSED_PAD src0_sel:WORD_0 src1_sel:DWORD
	v_xor_b32_e32 v57, v57, v63
	v_and_b32_e32 v63, 0xffffff00, v57
	v_sub_i16 v61, v63, v61 clamp
	v_lshlrev_b16_e32 v63, 8, v57
	v_lshlrev_b16_e32 v56, 8, v56
	v_and_b32_e32 v61, 0xffffff00, v61
	v_sub_i16 v56, v63, v56 clamp
	v_or_b32_sdwa v56, v56, v61 dst_sel:DWORD dst_unused:UNUSED_PAD src0_sel:BYTE_1 src1_sel:DWORD
	v_and_b32_sdwa v61, v57, s22 dst_sel:DWORD dst_unused:UNUSED_PAD src0_sel:WORD_1 src1_sel:DWORD
	v_sub_i16 v9, v61, v9 clamp
	v_lshlrev_b16_sdwa v57, v29, v57 dst_sel:DWORD dst_unused:UNUSED_PAD src0_sel:DWORD src1_sel:WORD_1
	v_lshlrev_b16_e32 v61, 8, v62
	v_and_b32_e32 v9, 0xffffff00, v9
	v_sub_i16 v57, v57, v61 clamp
	v_or_b32_sdwa v9, v57, v9 dst_sel:WORD_1 dst_unused:UNUSED_PAD src0_sel:BYTE_1 src1_sel:DWORD
	v_lshrrev_b16_e32 v60, 5, v60
	v_or_b32_sdwa v9, v56, v9 dst_sel:DWORD dst_unused:UNUSED_PAD src0_sel:WORD_0 src1_sel:DWORD
	v_and_b32_e32 v56, 0x80000000, v10
	v_cmp_ne_u16_sdwa s[16:17], v56, v15 src0_sel:BYTE_3 src1_sel:DWORD
	v_bfe_i32 v60, v60, 0, 1
	v_lshrrev_b32_e32 v10, 22, v10
	v_cndmask_b32_e64 v56, 0, -1, s[16:17]
	v_bfe_i32 v57, v40, 11, 1
	v_bfe_i32 v10, v10, 0, 1
	v_lshlrev_b16_e32 v56, 8, v56
	v_lshlrev_b16_e32 v60, 8, v60
	v_or_b32_sdwa v61, v10, v56 dst_sel:WORD_1 dst_unused:UNUSED_PAD src0_sel:BYTE_0 src1_sel:DWORD
	v_or_b32_sdwa v62, v57, v60 dst_sel:DWORD dst_unused:UNUSED_PAD src0_sel:BYTE_0 src1_sel:DWORD
	v_or_b32_sdwa v61, v62, v61 dst_sel:DWORD dst_unused:UNUSED_PAD src0_sel:WORD_0 src1_sel:DWORD
	v_xor_b32_e32 v55, v55, v61
	v_and_b32_e32 v61, 0xffffff00, v55
	v_sub_i16 v60, v61, v60 clamp
	v_lshlrev_b16_e32 v61, 8, v55
	v_lshlrev_b16_e32 v57, 8, v57
	v_and_b32_e32 v60, 0xffffff00, v60
	v_sub_i16 v57, v61, v57 clamp
	v_or_b32_sdwa v57, v57, v60 dst_sel:DWORD dst_unused:UNUSED_PAD src0_sel:BYTE_1 src1_sel:DWORD
	v_and_b32_sdwa v60, v55, s22 dst_sel:DWORD dst_unused:UNUSED_PAD src0_sel:WORD_1 src1_sel:DWORD
	v_sub_i16 v56, v60, v56 clamp
	v_lshlrev_b16_sdwa v55, v29, v55 dst_sel:DWORD dst_unused:UNUSED_PAD src0_sel:DWORD src1_sel:WORD_1
	v_lshlrev_b16_e32 v10, 8, v10
	v_and_b32_e32 v56, 0xffffff00, v56
	v_sub_i16 v10, v55, v10 clamp
	v_bfe_u32 v55, v59, 14, 8
	v_or_b32_sdwa v10, v10, v56 dst_sel:WORD_1 dst_unused:UNUSED_PAD src0_sel:BYTE_1 src1_sel:DWORD
	v_bcnt_u32_b32 v56, v55, 0
	v_and_b32_e32 v56, 1, v56
	v_lshlrev_b32_e32 v56, 7, v56
	v_xor_b32_e32 v55, v56, v55
	v_mul_lo_u32 v55, v55, s20
	v_or_b32_sdwa v10, v57, v10 dst_sel:DWORD dst_unused:UNUSED_PAD src0_sel:WORD_0 src1_sel:DWORD
	v_and_b32_e32 v56, 0x8000000, v55
	v_lshrrev_b32_e32 v57, 8, v55
	v_lshrrev_b16_e32 v59, 1, v57
	v_cmp_ne_u16_sdwa s[16:17], v56, v15 src0_sel:BYTE_3 src1_sel:DWORD
	v_bfe_i32 v59, v59, 0, 1
	v_lshrrev_b32_e32 v60, 18, v55
	v_cndmask_b32_e64 v56, 0, -1, s[16:17]
	v_bfe_i32 v60, v60, 0, 1
	v_lshlrev_b16_e32 v56, 8, v56
	v_lshlrev_b16_e32 v59, 8, v59
	v_or_b32_sdwa v61, v60, v56 dst_sel:WORD_1 dst_unused:UNUSED_PAD src0_sel:BYTE_0 src1_sel:DWORD
	v_or_b32_sdwa v62, v34, v59 dst_sel:DWORD dst_unused:UNUSED_PAD src0_sel:BYTE_0 src1_sel:DWORD
	v_or_b32_sdwa v61, v62, v61 dst_sel:DWORD dst_unused:UNUSED_PAD src0_sel:WORD_0 src1_sel:DWORD
	v_xor_b32_e32 v54, v54, v61
	v_and_b32_e32 v61, 0xffffff00, v54
	v_sub_i16 v59, v61, v59 clamp
	v_lshlrev_b16_e32 v61, 8, v54
	v_lshlrev_b16_e32 v34, 8, v34
	v_and_b32_e32 v59, 0xffffff00, v59
	v_sub_i16 v34, v61, v34 clamp
	v_or_b32_sdwa v34, v34, v59 dst_sel:DWORD dst_unused:UNUSED_PAD src0_sel:BYTE_1 src1_sel:DWORD
	v_and_b32_sdwa v59, v54, s22 dst_sel:DWORD dst_unused:UNUSED_PAD src0_sel:WORD_1 src1_sel:DWORD
	v_sub_i16 v56, v59, v56 clamp
	v_lshlrev_b16_sdwa v54, v29, v54 dst_sel:DWORD dst_unused:UNUSED_PAD src0_sel:DWORD src1_sel:WORD_1
	v_lshlrev_b16_e32 v59, 8, v60
	v_and_b32_e32 v56, 0xffffff00, v56
	v_sub_i16 v54, v54, v59 clamp
	v_or_b32_sdwa v54, v54, v56 dst_sel:WORD_1 dst_unused:UNUSED_PAD src0_sel:BYTE_1 src1_sel:DWORD
	v_lshrrev_b16_e32 v57, 5, v57
	v_or_b32_sdwa v34, v34, v54 dst_sel:DWORD dst_unused:UNUSED_PAD src0_sel:WORD_0 src1_sel:DWORD
	v_and_b32_e32 v54, 0x80000000, v55
	v_cmp_ne_u16_sdwa s[16:17], v54, v15 src0_sel:BYTE_3 src1_sel:DWORD
	v_lshrrev_b32_e32 v58, 16, v40
	v_bfe_i32 v57, v57, 0, 1
	v_lshrrev_b32_e32 v55, 22, v55
	v_cndmask_b32_e64 v54, 0, -1, s[16:17]
	v_bfe_i32 v56, v58, 2, 1
	v_bfe_i32 v55, v55, 0, 1
	v_lshlrev_b16_e32 v54, 8, v54
	v_lshlrev_b16_e32 v57, 8, v57
	v_or_b32_sdwa v59, v55, v54 dst_sel:WORD_1 dst_unused:UNUSED_PAD src0_sel:BYTE_0 src1_sel:DWORD
	v_or_b32_sdwa v60, v56, v57 dst_sel:DWORD dst_unused:UNUSED_PAD src0_sel:BYTE_0 src1_sel:DWORD
	v_or_b32_sdwa v59, v60, v59 dst_sel:DWORD dst_unused:UNUSED_PAD src0_sel:WORD_0 src1_sel:DWORD
	v_xor_b32_e32 v35, v35, v59
	v_and_b32_e32 v59, 0xffffff00, v35
	v_sub_i16 v57, v59, v57 clamp
	v_lshlrev_b16_e32 v59, 8, v35
	v_lshlrev_b16_e32 v56, 8, v56
	v_and_b32_e32 v57, 0xffffff00, v57
	v_sub_i16 v56, v59, v56 clamp
	v_or_b32_sdwa v56, v56, v57 dst_sel:DWORD dst_unused:UNUSED_PAD src0_sel:BYTE_1 src1_sel:DWORD
	v_and_b32_sdwa v57, v35, s22 dst_sel:DWORD dst_unused:UNUSED_PAD src0_sel:WORD_1 src1_sel:DWORD
	v_sub_i16 v54, v57, v54 clamp
	v_lshlrev_b16_sdwa v35, v29, v35 dst_sel:DWORD dst_unused:UNUSED_PAD src0_sel:DWORD src1_sel:WORD_1
	v_lshlrev_b16_e32 v55, 8, v55
	v_and_b32_e32 v54, 0xffffff00, v54
	v_sub_i16 v35, v35, v55 clamp
	v_or_b32_sdwa v35, v35, v54 dst_sel:WORD_1 dst_unused:UNUSED_PAD src0_sel:BYTE_1 src1_sel:DWORD
	v_bfe_u32 v54, v40, 21, 8
	v_bcnt_u32_b32 v55, v54, 0
	v_and_b32_e32 v55, 1, v55
	v_lshlrev_b32_e32 v55, 7, v55
	v_xor_b32_e32 v54, v55, v54
	v_mul_lo_u32 v54, v54, s20
	v_and_b32_e32 v55, 0x8000000, v54
	v_lshrrev_b32_e32 v57, 8, v54
	v_lshrrev_b16_e32 v59, 1, v57
	v_cmp_ne_u16_sdwa s[16:17], v55, v15 src0_sel:BYTE_3 src1_sel:DWORD
	v_bfe_i32 v59, v59, 0, 1
	v_lshrrev_b32_e32 v60, 18, v54
	v_cndmask_b32_e64 v55, 0, -1, s[16:17]
	v_or_b32_sdwa v35, v56, v35 dst_sel:DWORD dst_unused:UNUSED_PAD src0_sel:WORD_0 src1_sel:DWORD
	v_bfe_i32 v56, v58, 5, 1
	v_bfe_i32 v60, v60, 0, 1
	v_lshlrev_b16_e32 v55, 8, v55
	v_lshlrev_b16_e32 v59, 8, v59
	v_or_b32_sdwa v61, v60, v55 dst_sel:WORD_1 dst_unused:UNUSED_PAD src0_sel:BYTE_0 src1_sel:DWORD
	v_or_b32_sdwa v62, v56, v59 dst_sel:DWORD dst_unused:UNUSED_PAD src0_sel:BYTE_0 src1_sel:DWORD
	v_or_b32_sdwa v61, v62, v61 dst_sel:DWORD dst_unused:UNUSED_PAD src0_sel:WORD_0 src1_sel:DWORD
	v_xor_b32_e32 v37, v37, v61
	v_and_b32_e32 v61, 0xffffff00, v37
	v_sub_i16 v59, v61, v59 clamp
	v_lshlrev_b16_e32 v61, 8, v37
	v_lshlrev_b16_e32 v56, 8, v56
	v_and_b32_e32 v59, 0xffffff00, v59
	v_sub_i16 v56, v61, v56 clamp
	v_or_b32_sdwa v56, v56, v59 dst_sel:DWORD dst_unused:UNUSED_PAD src0_sel:BYTE_1 src1_sel:DWORD
	v_and_b32_sdwa v59, v37, s22 dst_sel:DWORD dst_unused:UNUSED_PAD src0_sel:WORD_1 src1_sel:DWORD
	v_sub_i16 v55, v59, v55 clamp
	v_lshlrev_b16_sdwa v37, v29, v37 dst_sel:DWORD dst_unused:UNUSED_PAD src0_sel:DWORD src1_sel:WORD_1
	v_lshlrev_b16_e32 v59, 8, v60
	v_and_b32_e32 v55, 0xffffff00, v55
	v_sub_i16 v37, v37, v59 clamp
	v_or_b32_sdwa v37, v37, v55 dst_sel:WORD_1 dst_unused:UNUSED_PAD src0_sel:BYTE_1 src1_sel:DWORD
	v_and_b32_e32 v55, 0x80000000, v54
	v_lshrrev_b16_e32 v57, 5, v57
	v_cmp_ne_u16_sdwa s[16:17], v55, v15 src0_sel:BYTE_3 src1_sel:DWORD
	v_bfe_i32 v57, v57, 0, 1
	v_lshrrev_b32_e32 v54, 22, v54
	v_cndmask_b32_e64 v55, 0, -1, s[16:17]
	v_or_b32_sdwa v37, v56, v37 dst_sel:DWORD dst_unused:UNUSED_PAD src0_sel:WORD_0 src1_sel:DWORD
	v_bfe_i32 v56, v58, 9, 1
	v_bfe_i32 v54, v54, 0, 1
	v_lshlrev_b16_e32 v55, 8, v55
	v_lshlrev_b16_e32 v57, 8, v57
	v_or_b32_sdwa v58, v54, v55 dst_sel:WORD_1 dst_unused:UNUSED_PAD src0_sel:BYTE_0 src1_sel:DWORD
	v_or_b32_sdwa v59, v56, v57 dst_sel:DWORD dst_unused:UNUSED_PAD src0_sel:BYTE_0 src1_sel:DWORD
	v_or_b32_sdwa v58, v59, v58 dst_sel:DWORD dst_unused:UNUSED_PAD src0_sel:WORD_0 src1_sel:DWORD
	v_xor_b32_e32 v38, v38, v58
	v_and_b32_e32 v58, 0xffffff00, v38
	v_sub_i16 v57, v58, v57 clamp
	v_lshlrev_b16_e32 v58, 8, v38
	v_lshlrev_b16_e32 v56, 8, v56
	v_and_b32_e32 v57, 0xffffff00, v57
	v_sub_i16 v56, v58, v56 clamp
	v_or_b32_sdwa v56, v56, v57 dst_sel:DWORD dst_unused:UNUSED_PAD src0_sel:BYTE_1 src1_sel:DWORD
	v_and_b32_sdwa v57, v38, s22 dst_sel:DWORD dst_unused:UNUSED_PAD src0_sel:WORD_1 src1_sel:DWORD
	v_sub_i16 v55, v57, v55 clamp
	v_lshlrev_b16_sdwa v38, v29, v38 dst_sel:DWORD dst_unused:UNUSED_PAD src0_sel:DWORD src1_sel:WORD_1
	v_lshlrev_b16_e32 v54, 8, v54
	v_and_b32_e32 v55, 0xffffff00, v55
	v_sub_i16 v38, v38, v54 clamp
	v_or_b32_sdwa v38, v38, v55 dst_sel:WORD_1 dst_unused:UNUSED_PAD src0_sel:BYTE_1 src1_sel:DWORD
	v_bfe_u32 v55, v46, 7, 8
	v_or_b32_sdwa v38, v56, v38 dst_sel:DWORD dst_unused:UNUSED_PAD src0_sel:WORD_0 src1_sel:DWORD
	v_bcnt_u32_b32 v56, v55, 0
	v_and_b32_e32 v56, 1, v56
	v_lshlrev_b32_e32 v56, 7, v56
	v_xor_b32_e32 v55, v56, v55
	v_mul_lo_u32 v55, v55, s20
	v_and_b32_e32 v56, 0x8000000, v55
	v_lshrrev_b32_e32 v57, 8, v55
	v_lshrrev_b16_e32 v58, 1, v57
	v_cmp_ne_u16_sdwa s[16:17], v56, v15 src0_sel:BYTE_3 src1_sel:DWORD
	v_bfe_i32 v58, v58, 0, 1
	v_lshrrev_b32_e32 v59, 18, v55
	v_cndmask_b32_e64 v56, 0, -1, s[16:17]
	v_bfe_i32 v42, v46, 7, 1
	v_bfe_i32 v59, v59, 0, 1
	v_lshlrev_b16_e32 v56, 8, v56
	v_lshlrev_b16_e32 v58, 8, v58
	v_or_b32_sdwa v60, v59, v56 dst_sel:WORD_1 dst_unused:UNUSED_PAD src0_sel:BYTE_0 src1_sel:DWORD
	v_or_b32_sdwa v61, v42, v58 dst_sel:DWORD dst_unused:UNUSED_PAD src0_sel:BYTE_0 src1_sel:DWORD
	v_or_b32_sdwa v60, v61, v60 dst_sel:DWORD dst_unused:UNUSED_PAD src0_sel:WORD_0 src1_sel:DWORD
	s_waitcnt vmcnt(6)
	v_xor_b32_e32 v53, v53, v60
	v_and_b32_e32 v60, 0xffffff00, v53
	v_sub_i16 v58, v60, v58 clamp
	v_lshlrev_b16_e32 v60, 8, v53
	v_lshlrev_b16_e32 v42, 8, v42
	v_and_b32_e32 v58, 0xffffff00, v58
	v_sub_i16 v42, v60, v42 clamp
	v_or_b32_sdwa v42, v42, v58 dst_sel:DWORD dst_unused:UNUSED_PAD src0_sel:BYTE_1 src1_sel:DWORD
	v_and_b32_sdwa v58, v53, s22 dst_sel:DWORD dst_unused:UNUSED_PAD src0_sel:WORD_1 src1_sel:DWORD
	v_sub_i16 v56, v58, v56 clamp
	v_lshlrev_b16_sdwa v53, v29, v53 dst_sel:DWORD dst_unused:UNUSED_PAD src0_sel:DWORD src1_sel:WORD_1
	v_lshlrev_b16_e32 v58, 8, v59
	v_and_b32_e32 v56, 0xffffff00, v56
	v_sub_i16 v53, v53, v58 clamp
	v_or_b32_sdwa v53, v53, v56 dst_sel:WORD_1 dst_unused:UNUSED_PAD src0_sel:BYTE_1 src1_sel:DWORD
	v_lshrrev_b16_e32 v57, 5, v57
	v_or_b32_sdwa v42, v42, v53 dst_sel:DWORD dst_unused:UNUSED_PAD src0_sel:WORD_0 src1_sel:DWORD
	v_and_b32_e32 v53, 0x80000000, v55
	v_cmp_ne_u16_sdwa s[16:17], v53, v15 src0_sel:BYTE_3 src1_sel:DWORD
	v_bfe_i32 v57, v57, 0, 1
	v_lshrrev_b32_e32 v55, 22, v55
	v_cndmask_b32_e64 v53, 0, -1, s[16:17]
	v_bfe_i32 v56, v46, 11, 1
	v_bfe_i32 v55, v55, 0, 1
	v_lshlrev_b16_e32 v53, 8, v53
	v_lshlrev_b16_e32 v57, 8, v57
	v_or_b32_sdwa v58, v55, v53 dst_sel:WORD_1 dst_unused:UNUSED_PAD src0_sel:BYTE_0 src1_sel:DWORD
	v_or_b32_sdwa v59, v56, v57 dst_sel:DWORD dst_unused:UNUSED_PAD src0_sel:BYTE_0 src1_sel:DWORD
	v_or_b32_sdwa v58, v59, v58 dst_sel:DWORD dst_unused:UNUSED_PAD src0_sel:WORD_0 src1_sel:DWORD
	s_waitcnt vmcnt(5)
	v_xor_b32_e32 v43, v43, v58
	v_and_b32_e32 v58, 0xffffff00, v43
	v_sub_i16 v57, v58, v57 clamp
	v_lshlrev_b16_e32 v58, 8, v43
	v_lshlrev_b16_e32 v56, 8, v56
	v_and_b32_e32 v57, 0xffffff00, v57
	v_sub_i16 v56, v58, v56 clamp
	v_or_b32_sdwa v56, v56, v57 dst_sel:DWORD dst_unused:UNUSED_PAD src0_sel:BYTE_1 src1_sel:DWORD
	v_and_b32_sdwa v57, v43, s22 dst_sel:DWORD dst_unused:UNUSED_PAD src0_sel:WORD_1 src1_sel:DWORD
	v_sub_i16 v53, v57, v53 clamp
	v_lshlrev_b16_sdwa v43, v29, v43 dst_sel:DWORD dst_unused:UNUSED_PAD src0_sel:DWORD src1_sel:WORD_1
	v_lshlrev_b16_e32 v55, 8, v55
	v_and_b32_e32 v53, 0xffffff00, v53
	v_sub_i16 v43, v43, v55 clamp
	v_and_b32_e32 v54, 0xffff0000, v46
	v_or_b32_sdwa v43, v43, v53 dst_sel:WORD_1 dst_unused:UNUSED_PAD src0_sel:BYTE_1 src1_sel:DWORD
	v_dot4c_i32_i8_e32 v44, v9, v11
	v_and_or_b32 v54, v46, s21, v54
	v_or_b32_sdwa v43, v56, v43 dst_sel:DWORD dst_unused:UNUSED_PAD src0_sel:WORD_0 src1_sel:DWORD
	v_dot4c_i32_i8_e32 v47, v42, v11
	v_dot4c_i32_i8_e32 v44, v10, v4
	;; [unrolled: 1-line block ×3, first 2 shown]
	v_bfe_u32 v4, v54, 14, 8
	v_bcnt_u32_b32 v11, v4, 0
	v_and_b32_e32 v11, 1, v11
	v_lshlrev_b32_e32 v11, 7, v11
	v_xor_b32_e32 v4, v11, v4
	v_mul_lo_u32 v4, v4, s20
	v_and_b32_e32 v11, 0x8000000, v4
	v_lshrrev_b32_e32 v53, 8, v4
	v_lshrrev_b16_e32 v54, 1, v53
	v_cmp_ne_u16_sdwa s[16:17], v11, v15 src0_sel:BYTE_3 src1_sel:DWORD
	v_bfe_i32 v54, v54, 0, 1
	v_lshrrev_b32_e32 v55, 18, v4
	v_cndmask_b32_e64 v11, 0, -1, s[16:17]
	v_bfe_i32 v55, v55, 0, 1
	v_lshlrev_b16_e32 v11, 8, v11
	v_lshlrev_b16_e32 v54, 8, v54
	v_or_b32_sdwa v56, v55, v11 dst_sel:WORD_1 dst_unused:UNUSED_PAD src0_sel:BYTE_0 src1_sel:DWORD
	v_or_b32_sdwa v57, v51, v54 dst_sel:DWORD dst_unused:UNUSED_PAD src0_sel:BYTE_0 src1_sel:DWORD
	v_or_b32_sdwa v56, v57, v56 dst_sel:DWORD dst_unused:UNUSED_PAD src0_sel:WORD_0 src1_sel:DWORD
	s_waitcnt vmcnt(4)
	v_xor_b32_e32 v52, v52, v56
	v_and_b32_e32 v56, 0xffffff00, v52
	v_sub_i16 v54, v56, v54 clamp
	v_lshlrev_b16_e32 v56, 8, v52
	v_lshlrev_b16_e32 v51, 8, v51
	v_and_b32_e32 v54, 0xffffff00, v54
	v_sub_i16 v51, v56, v51 clamp
	v_or_b32_sdwa v51, v51, v54 dst_sel:DWORD dst_unused:UNUSED_PAD src0_sel:BYTE_1 src1_sel:DWORD
	v_and_b32_sdwa v54, v52, s22 dst_sel:DWORD dst_unused:UNUSED_PAD src0_sel:WORD_1 src1_sel:DWORD
	v_sub_i16 v11, v54, v11 clamp
	v_lshlrev_b16_sdwa v52, v29, v52 dst_sel:DWORD dst_unused:UNUSED_PAD src0_sel:DWORD src1_sel:WORD_1
	v_lshlrev_b16_e32 v54, 8, v55
	v_and_b32_e32 v11, 0xffffff00, v11
	v_sub_i16 v52, v52, v54 clamp
	v_or_b32_sdwa v11, v52, v11 dst_sel:WORD_1 dst_unused:UNUSED_PAD src0_sel:BYTE_1 src1_sel:DWORD
	v_lshrrev_b16_e32 v53, 5, v53
	v_or_b32_sdwa v11, v51, v11 dst_sel:DWORD dst_unused:UNUSED_PAD src0_sel:WORD_0 src1_sel:DWORD
	v_and_b32_e32 v51, 0x80000000, v4
	v_cmp_ne_u16_sdwa s[16:17], v51, v15 src0_sel:BYTE_3 src1_sel:DWORD
	v_bfe_i32 v53, v53, 0, 1
	v_lshrrev_b32_e32 v4, 22, v4
	v_cndmask_b32_e64 v51, 0, -1, s[16:17]
	v_bfe_i32 v52, v50, 2, 1
	v_bfe_i32 v4, v4, 0, 1
	v_lshlrev_b16_e32 v51, 8, v51
	v_lshlrev_b16_e32 v53, 8, v53
	v_or_b32_sdwa v54, v4, v51 dst_sel:WORD_1 dst_unused:UNUSED_PAD src0_sel:BYTE_0 src1_sel:DWORD
	v_or_b32_sdwa v55, v52, v53 dst_sel:DWORD dst_unused:UNUSED_PAD src0_sel:BYTE_0 src1_sel:DWORD
	v_or_b32_sdwa v54, v55, v54 dst_sel:DWORD dst_unused:UNUSED_PAD src0_sel:WORD_0 src1_sel:DWORD
	s_waitcnt vmcnt(3)
	v_xor_b32_e32 v45, v45, v54
	v_and_b32_e32 v54, 0xffffff00, v45
	v_sub_i16 v53, v54, v53 clamp
	v_lshlrev_b16_e32 v54, 8, v45
	v_lshlrev_b16_e32 v52, 8, v52
	v_and_b32_e32 v53, 0xffffff00, v53
	v_sub_i16 v52, v54, v52 clamp
	v_or_b32_sdwa v52, v52, v53 dst_sel:DWORD dst_unused:UNUSED_PAD src0_sel:BYTE_1 src1_sel:DWORD
	v_and_b32_sdwa v53, v45, s22 dst_sel:DWORD dst_unused:UNUSED_PAD src0_sel:WORD_1 src1_sel:DWORD
	v_sub_i16 v51, v53, v51 clamp
	v_lshlrev_b16_sdwa v45, v29, v45 dst_sel:DWORD dst_unused:UNUSED_PAD src0_sel:DWORD src1_sel:WORD_1
	v_lshlrev_b16_e32 v4, 8, v4
	v_and_b32_e32 v51, 0xffffff00, v51
	v_sub_i16 v4, v45, v4 clamp
	v_or_b32_sdwa v4, v4, v51 dst_sel:WORD_1 dst_unused:UNUSED_PAD src0_sel:BYTE_1 src1_sel:DWORD
	v_dot4c_i32_i8_e32 v44, v34, v5
	v_or_b32_sdwa v45, v52, v4 dst_sel:DWORD dst_unused:UNUSED_PAD src0_sel:WORD_0 src1_sel:DWORD
	v_bfe_u32 v4, v46, 21, 8
	v_dot4c_i32_i8_e32 v47, v11, v5
	v_bcnt_u32_b32 v5, v4, 0
	v_and_b32_e32 v5, 1, v5
	v_lshlrev_b32_e32 v5, 7, v5
	v_xor_b32_e32 v4, v5, v4
	v_mul_lo_u32 v4, v4, s20
	v_and_b32_e32 v5, 0x8000000, v4
	v_lshrrev_b32_e32 v51, 8, v4
	v_lshrrev_b16_e32 v52, 1, v51
	v_cmp_ne_u16_sdwa s[16:17], v5, v15 src0_sel:BYTE_3 src1_sel:DWORD
	v_bfe_i32 v52, v52, 0, 1
	v_lshrrev_b32_e32 v53, 18, v4
	v_cndmask_b32_e64 v5, 0, -1, s[16:17]
	v_dot4c_i32_i8_e32 v44, v35, v6
	v_dot4c_i32_i8_e32 v47, v45, v6
	v_bfe_i32 v6, v50, 5, 1
	v_bfe_i32 v53, v53, 0, 1
	v_lshlrev_b16_e32 v5, 8, v5
	v_lshlrev_b16_e32 v52, 8, v52
	v_or_b32_sdwa v54, v53, v5 dst_sel:WORD_1 dst_unused:UNUSED_PAD src0_sel:BYTE_0 src1_sel:DWORD
	v_or_b32_sdwa v55, v6, v52 dst_sel:DWORD dst_unused:UNUSED_PAD src0_sel:BYTE_0 src1_sel:DWORD
	v_or_b32_sdwa v54, v55, v54 dst_sel:DWORD dst_unused:UNUSED_PAD src0_sel:WORD_0 src1_sel:DWORD
	s_waitcnt vmcnt(2)
	v_xor_b32_e32 v49, v49, v54
	v_and_b32_e32 v54, 0xffffff00, v49
	v_sub_i16 v52, v54, v52 clamp
	v_lshlrev_b16_e32 v54, 8, v49
	v_lshlrev_b16_e32 v6, 8, v6
	v_and_b32_e32 v52, 0xffffff00, v52
	v_sub_i16 v6, v54, v6 clamp
	v_or_b32_sdwa v6, v6, v52 dst_sel:DWORD dst_unused:UNUSED_PAD src0_sel:BYTE_1 src1_sel:DWORD
	v_and_b32_sdwa v52, v49, s22 dst_sel:DWORD dst_unused:UNUSED_PAD src0_sel:WORD_1 src1_sel:DWORD
	v_sub_i16 v5, v52, v5 clamp
	v_lshlrev_b16_sdwa v49, v29, v49 dst_sel:DWORD dst_unused:UNUSED_PAD src0_sel:DWORD src1_sel:WORD_1
	v_lshlrev_b16_e32 v52, 8, v53
	v_and_b32_e32 v5, 0xffffff00, v5
	v_sub_i16 v49, v49, v52 clamp
	v_or_b32_sdwa v5, v49, v5 dst_sel:WORD_1 dst_unused:UNUSED_PAD src0_sel:BYTE_1 src1_sel:DWORD
	v_bfe_i32 v49, v50, 9, 1
	v_or_b32_sdwa v6, v6, v5 dst_sel:DWORD dst_unused:UNUSED_PAD src0_sel:WORD_0 src1_sel:DWORD
	v_and_b32_e32 v5, 0x80000000, v4
	v_lshrrev_b16_e32 v50, 5, v51
	v_cmp_ne_u16_sdwa s[16:17], v5, v15 src0_sel:BYTE_3 src1_sel:DWORD
	v_bfe_i32 v50, v50, 0, 1
	v_lshrrev_b32_e32 v4, 22, v4
	v_cndmask_b32_e64 v5, 0, -1, s[16:17]
	v_bfe_i32 v4, v4, 0, 1
	v_lshlrev_b16_e32 v5, 8, v5
	v_lshlrev_b16_e32 v50, 8, v50
	v_or_b32_sdwa v51, v4, v5 dst_sel:WORD_1 dst_unused:UNUSED_PAD src0_sel:BYTE_0 src1_sel:DWORD
	v_or_b32_sdwa v52, v49, v50 dst_sel:DWORD dst_unused:UNUSED_PAD src0_sel:BYTE_0 src1_sel:DWORD
	v_or_b32_sdwa v51, v52, v51 dst_sel:DWORD dst_unused:UNUSED_PAD src0_sel:WORD_0 src1_sel:DWORD
	s_waitcnt vmcnt(1)
	v_xor_b32_e32 v48, v48, v51
	v_and_b32_e32 v51, 0xffffff00, v48
	v_sub_i16 v50, v51, v50 clamp
	v_lshlrev_b16_e32 v51, 8, v48
	v_lshlrev_b16_e32 v49, 8, v49
	v_and_b32_e32 v50, 0xffffff00, v50
	v_sub_i16 v49, v51, v49 clamp
	v_or_b32_sdwa v49, v49, v50 dst_sel:DWORD dst_unused:UNUSED_PAD src0_sel:BYTE_1 src1_sel:DWORD
	v_and_b32_sdwa v50, v48, s22 dst_sel:DWORD dst_unused:UNUSED_PAD src0_sel:WORD_1 src1_sel:DWORD
	v_sub_i16 v5, v50, v5 clamp
	v_lshlrev_b16_sdwa v48, v29, v48 dst_sel:DWORD dst_unused:UNUSED_PAD src0_sel:DWORD src1_sel:WORD_1
	v_lshlrev_b16_e32 v4, 8, v4
	v_and_b32_e32 v5, 0xffffff00, v5
	v_sub_i16 v4, v48, v4 clamp
	v_dot4c_i32_i8_e32 v44, v37, v7
	v_or_b32_sdwa v4, v4, v5 dst_sel:WORD_1 dst_unused:UNUSED_PAD src0_sel:BYTE_1 src1_sel:DWORD
	v_dot4c_i32_i8_e32 v44, v38, v39
	v_or_b32_sdwa v48, v49, v4 dst_sel:DWORD dst_unused:UNUSED_PAD src0_sel:WORD_0 src1_sel:DWORD
	v_dot4c_i32_i8_e32 v47, v6, v7
	v_dot4c_i32_i8_e32 v47, v48, v39
	v_lshrrev_b32_e32 v4, 31, v44
	v_add_u32_e32 v4, v44, v4
	v_lshrrev_b32_e32 v7, 28, v40
	v_lshrrev_b32_e32 v5, 31, v47
	v_ashrrev_i32_e32 v4, 1, v4
	v_add_u32_e32 v5, v47, v5
	v_ashrrev_i32_e32 v40, 1, v5
	v_mad_u64_u32 v[4:5], s[16:17], v44, v7, v[4:5]
	v_lshrrev_b32_e32 v39, 28, v46
	v_lshrrev_b32_e32 v5, 31, v4
	s_waitcnt vmcnt(0)
	v_mad_u64_u32 v[46:47], s[16:17], v47, v39, v[40:41]
	v_add_u32_e32 v4, v4, v5
	v_ashrrev_i32_e32 v40, 1, v4
	v_lshrrev_b32_e32 v4, 31, v46
	v_add_u32_e32 v4, v46, v4
	v_ashrrev_i32_e32 v44, 1, v4
	v_cvt_f32_f16_e32 v5, v41
	v_cvt_f32_f16_e32 v4, v36
	v_cvt_f32_i32_e32 v41, v44
	v_cvt_f32_i32_e32 v40, v40
	v_mov_b32_e32 v44, 0
	v_pk_mul_f32 v[46:47], v[8:9], v[4:5] op_sel_hi:[0,1]
	v_pk_fma_f32 v[0:1], v[46:47], v[40:41], v[0:1]
	v_mad_u64_u32 v[40:41], s[16:17], v26, 36, s[24:25]
	v_mad_u64_u32 v[40:41], s[16:17], v16, 36, v[40:41]
	global_load_dword v36, v[40:41], off offset:32
	global_load_dwordx4 v[50:53], v[40:41], off offset:16
	global_load_dwordx4 v[54:57], v[40:41], off
	v_mov_b32_e32 v41, 0
	v_add_u32_e32 v26, 0x80, v26
	s_waitcnt vmcnt(0)
	v_dot4c_i32_i8_e32 v44, v30, v55
	v_dot4c_i32_i8_e32 v41, v32, v55
	v_dot4c_i32_i8_e32 v44, v31, v56
	v_dot4c_i32_i8_e32 v41, v33, v56
	v_dot4c_i32_i8_e32 v44, v9, v57
	v_dot4c_i32_i8_e32 v41, v42, v57
	v_dot4c_i32_i8_e32 v44, v10, v50
	v_dot4c_i32_i8_e32 v41, v43, v50
	v_dot4c_i32_i8_e32 v44, v34, v51
	v_dot4c_i32_i8_e32 v41, v11, v51
	v_dot4c_i32_i8_e32 v44, v35, v52
	v_dot4c_i32_i8_e32 v41, v45, v52
	v_dot4c_i32_i8_e32 v44, v37, v53
	v_dot4c_i32_i8_e32 v41, v6, v53
	v_dot4c_i32_i8_e32 v44, v38, v36
	v_dot4c_i32_i8_e32 v41, v48, v36
	v_cvt_f32_f16_e32 v8, v54
	s_nop 0
	v_lshrrev_b32_e32 v36, 31, v44
	v_lshrrev_b32_e32 v40, 31, v41
	v_add_u32_e32 v36, v44, v36
	v_add_u32_e32 v40, v41, v40
	v_ashrrev_i32_e32 v36, 1, v36
	v_ashrrev_i32_e32 v40, 1, v40
	v_mad_u64_u32 v[40:41], s[16:17], v41, v39, v[40:41]
	v_mad_u64_u32 v[46:47], s[16:17], v44, v7, v[36:37]
	v_lshrrev_b32_e32 v36, 31, v46
	v_lshrrev_b32_e32 v41, 31, v40
	v_add_u32_e32 v36, v46, v36
	v_add_u32_e32 v40, v40, v41
	v_ashrrev_i32_e32 v36, 1, v36
	v_ashrrev_i32_e32 v44, 1, v40
	v_cvt_f32_i32_e32 v47, v44
	v_cvt_f32_i32_e32 v46, v36
	v_pk_mul_f32 v[40:41], v[8:9], v[4:5] op_sel_hi:[0,1]
	v_pk_fma_f32 v[2:3], v[40:41], v[46:47], v[2:3]
	v_mad_u64_u32 v[40:41], s[16:17], v27, 36, s[24:25]
	v_mad_u64_u32 v[40:41], s[16:17], v16, 36, v[40:41]
	global_load_dword v36, v[40:41], off offset:32
	global_load_dwordx4 v[50:53], v[40:41], off offset:16
	global_load_dwordx4 v[54:57], v[40:41], off
	v_mov_b32_e32 v40, 0
	v_add_u32_e32 v27, 0x80, v27
	s_waitcnt vmcnt(0)
	v_dot4c_i32_i8_e32 v40, v30, v55
	v_mov_b32_e32 v30, 0
	v_dot4c_i32_i8_e32 v40, v31, v56
	v_dot4c_i32_i8_e32 v30, v32, v55
	;; [unrolled: 1-line block ×15, first 2 shown]
	v_cvt_f32_f16_e32 v8, v54
	v_lshrrev_b32_e32 v6, 31, v40
	v_add_u32_e32 v6, v40, v6
	v_lshrrev_b32_e32 v9, 31, v30
	v_ashrrev_i32_e32 v6, 1, v6
	v_add_u32_e32 v9, v30, v9
	v_ashrrev_i32_e32 v10, 1, v9
	v_mad_u64_u32 v[6:7], s[16:17], v40, v7, v[6:7]
	v_mad_u64_u32 v[10:11], s[16:17], v30, v39, v[10:11]
	v_lshrrev_b32_e32 v7, 31, v6
	v_add_u32_e32 v6, v6, v7
	v_lshrrev_b32_e32 v7, 31, v10
	v_add_u32_e32 v7, v10, v7
	v_ashrrev_i32_e32 v6, 1, v6
	v_ashrrev_i32_e32 v7, 1, v7
	v_cvt_f32_i32_e32 v7, v7
	v_cvt_f32_i32_e32 v6, v6
	v_pk_mul_f32 v[4:5], v[8:9], v[4:5] op_sel_hi:[0,1]
	v_pk_fma_f32 v[12:13], v[4:5], v[6:7], v[12:13]
	s_andn2_b64 exec, exec, s[8:9]
	s_cbranch_execnz .LBB198_2
; %bb.3:
	s_or_b64 exec, exec, s[8:9]
	scratch_store_dwordx4 off, v[0:3], off
	scratch_store_dwordx2 off, v[12:13], off offset:16
.LBB198_4:
	s_or_b64 exec, exec, s[6:7]
	v_cmp_eq_u32_e32 vcc, 0, v24
	v_cmp_ne_u32_e64 s[6:7], 0, v24
	v_lshlrev_b32_e32 v4, 2, v17
	s_and_saveexec_b64 s[8:9], s[6:7]
	s_cbranch_execz .LBB198_6
; %bb.5:
	v_mul_u32_u24_e32 v5, 0x600, v24
	s_movk_i32 s2, 0xfa00
	v_add3_u32 v5, v5, v4, s2
	ds_write2st64_b32 v5, v0, v1 offset1:1
	ds_write2st64_b32 v5, v2, v3 offset0:2 offset1:3
	ds_write2st64_b32 v5, v12, v13 offset0:4 offset1:5
.LBB198_6:
	s_or_b64 exec, exec, s[8:9]
	s_waitcnt lgkmcnt(0)
	s_barrier
	s_and_saveexec_b64 s[6:7], vcc
	s_cbranch_execz .LBB198_13
; %bb.7:
	scratch_load_dwordx2 v[2:3], off, off
	v_mbcnt_lo_u32_b32 v0, -1, 0
	ds_read2st64_b32 v[6:7], v4 offset1:1
	v_mbcnt_hi_u32_b32 v12, -1, v0
	v_and_b32_e32 v0, 64, v12
	v_xor_b32_e32 v1, 32, v12
	v_add_u32_e32 v13, 64, v0
	v_cmp_lt_i32_e32 vcc, v1, v13
	v_xor_b32_e32 v5, 16, v12
	v_xor_b32_e32 v10, 8, v12
	v_cndmask_b32_e32 v0, v12, v1, vcc
	v_lshlrev_b32_e32 v0, 2, v0
	v_cmp_lt_i32_e32 vcc, v5, v13
	v_xor_b32_e32 v11, 4, v12
	v_xor_b32_e32 v14, 1, v12
	v_cndmask_b32_e32 v1, v12, v5, vcc
	v_lshlrev_b32_e32 v1, 2, v1
	v_cmp_lt_i32_e32 vcc, v10, v13
	v_xor_b32_e32 v5, 2, v12
	s_load_dwordx2 s[0:1], s[0:1], 0x38
	s_mul_i32 s2, s3, s14
	s_mul_i32 s4, s4, s18
	s_add_i32 s2, s2, s5
	s_mov_b32 s3, 0
	s_add_i32 s2, s2, s4
	s_lshl_b64 s[2:3], s[2:3], 2
	s_waitcnt lgkmcnt(0)
	s_add_u32 s2, s0, s2
	s_addc_u32 s3, s1, s3
	s_waitcnt vmcnt(0)
	v_pk_add_f32 v[2:3], v[6:7], v[2:3]
	ds_bpermute_b32 v6, v0, v2
	ds_bpermute_b32 v7, v0, v3
	s_waitcnt lgkmcnt(0)
	v_pk_add_f32 v[6:7], v[2:3], v[6:7]
	ds_bpermute_b32 v8, v1, v6
	ds_bpermute_b32 v9, v1, v7
	v_cndmask_b32_e32 v2, v12, v10, vcc
	v_lshlrev_b32_e32 v2, 2, v2
	v_cmp_lt_i32_e32 vcc, v11, v13
	s_waitcnt lgkmcnt(0)
	v_pk_add_f32 v[6:7], v[6:7], v[8:9]
	ds_bpermute_b32 v8, v2, v6
	ds_bpermute_b32 v9, v2, v7
	v_cndmask_b32_e32 v3, v12, v11, vcc
	v_lshlrev_b32_e32 v3, 2, v3
	v_cmp_lt_i32_e32 vcc, v5, v13
	;; [unrolled: 7-line block ×3, first 2 shown]
	s_waitcnt lgkmcnt(0)
	v_pk_add_f32 v[8:9], v[6:7], v[8:9]
	ds_bpermute_b32 v10, v5, v8
	ds_bpermute_b32 v11, v5, v9
	v_cndmask_b32_e32 v6, v12, v14, vcc
	v_lshlrev_b32_e32 v6, 2, v6
	v_or_b32_e32 v7, s5, v17
	v_cmp_gt_u32_e32 vcc, 2, v17
	s_waitcnt lgkmcnt(0)
	v_pk_add_f32 v[8:9], v[8:9], v[10:11]
	ds_bpermute_b32 v10, v6, v8
	ds_bpermute_b32 v11, v6, v9
	v_cmp_gt_u32_e64 s[0:1], s10, v7
	s_and_b64 s[0:1], vcc, s[0:1]
	s_waitcnt lgkmcnt(0)
	v_pk_add_f32 v[8:9], v[8:9], v[10:11]
	scratch_store_dwordx2 off, v[8:9], off
	s_and_saveexec_b64 s[4:5], s[0:1]
	s_cbranch_execz .LBB198_9
; %bb.8:
	scratch_load_dword v7, v4, off
	s_waitcnt vmcnt(0)
	global_store_dword v4, v7, s[2:3]
.LBB198_9:
	s_or_b64 exec, exec, s[4:5]
	scratch_load_dwordx2 v[8:9], off, off offset:8
	ds_read2st64_b32 v[10:11], v4 offset0:2 offset1:3
	s_waitcnt vmcnt(0) lgkmcnt(0)
	v_pk_add_f32 v[8:9], v[10:11], v[8:9]
	ds_bpermute_b32 v10, v0, v8
	ds_bpermute_b32 v11, v0, v9
	s_waitcnt lgkmcnt(0)
	v_pk_add_f32 v[8:9], v[8:9], v[10:11]
	ds_bpermute_b32 v10, v1, v8
	ds_bpermute_b32 v11, v1, v9
	s_waitcnt lgkmcnt(0)
	;; [unrolled: 4-line block ×6, first 2 shown]
	v_pk_add_f32 v[8:9], v[8:9], v[10:11]
	scratch_store_dwordx2 off, v[8:9], off offset:8
	s_and_saveexec_b64 s[4:5], s[0:1]
	s_cbranch_execz .LBB198_11
; %bb.10:
	scratch_load_dword v7, v4, off offset:8
	v_add_u32_e32 v8, s10, v17
	v_mov_b32_e32 v9, 0
	v_lshl_add_u64 v[8:9], v[8:9], 2, s[2:3]
	s_waitcnt vmcnt(0)
	global_store_dword v[8:9], v7, off
.LBB198_11:
	s_or_b64 exec, exec, s[4:5]
	scratch_load_dwordx2 v[8:9], off, off offset:16
	ds_read2st64_b32 v[10:11], v4 offset0:4 offset1:5
	s_waitcnt vmcnt(0) lgkmcnt(0)
	v_pk_add_f32 v[8:9], v[10:11], v[8:9]
	ds_bpermute_b32 v10, v0, v8
	ds_bpermute_b32 v11, v0, v9
	s_waitcnt lgkmcnt(0)
	v_pk_add_f32 v[8:9], v[8:9], v[10:11]
	ds_bpermute_b32 v0, v1, v8
	ds_bpermute_b32 v1, v1, v9
	s_waitcnt lgkmcnt(0)
	v_pk_add_f32 v[0:1], v[8:9], v[0:1]
	ds_bpermute_b32 v8, v2, v0
	ds_bpermute_b32 v9, v2, v1
	s_waitcnt lgkmcnt(0)
	v_pk_add_f32 v[0:1], v[0:1], v[8:9]
	ds_bpermute_b32 v2, v3, v0
	ds_bpermute_b32 v3, v3, v1
	s_waitcnt lgkmcnt(0)
	v_pk_add_f32 v[0:1], v[0:1], v[2:3]
	ds_bpermute_b32 v2, v5, v0
	ds_bpermute_b32 v3, v5, v1
	s_waitcnt lgkmcnt(0)
	v_pk_add_f32 v[0:1], v[0:1], v[2:3]
	ds_bpermute_b32 v2, v6, v0
	ds_bpermute_b32 v3, v6, v1
	s_waitcnt lgkmcnt(0)
	v_pk_add_f32 v[0:1], v[0:1], v[2:3]
	scratch_store_dwordx2 off, v[0:1], off offset:16
	s_and_b64 exec, exec, s[0:1]
	s_cbranch_execz .LBB198_13
; %bb.12:
	scratch_load_dword v2, v4, off offset:16
	v_lshl_or_b32 v0, s10, 1, v17
	v_mov_b32_e32 v1, 0
	v_lshl_add_u64 v[0:1], v[0:1], 2, s[2:3]
	s_waitcnt vmcnt(0)
	global_store_dword v[0:1], v2, off
.LBB198_13:
	s_endpgm
	.section	.rodata,"a",@progbits
	.p2align	6, 0x0
	.amdhsa_kernel _ZL13mul_mat_vec_qIL9ggml_type18ELi3ELb0ELb0EEvPKvS2_PKi31ggml_cuda_mm_fusion_args_devicePfj15HIP_vector_typeIjLj3EEjjjS8_jjjS8_jjjj
		.amdhsa_group_segment_fixed_size 1536
		.amdhsa_private_segment_fixed_size 32
		.amdhsa_kernarg_size 144
		.amdhsa_user_sgpr_count 2
		.amdhsa_user_sgpr_dispatch_ptr 0
		.amdhsa_user_sgpr_queue_ptr 0
		.amdhsa_user_sgpr_kernarg_segment_ptr 1
		.amdhsa_user_sgpr_dispatch_id 0
		.amdhsa_user_sgpr_kernarg_preload_length 0
		.amdhsa_user_sgpr_kernarg_preload_offset 0
		.amdhsa_user_sgpr_private_segment_size 0
		.amdhsa_uses_dynamic_stack 0
		.amdhsa_enable_private_segment 1
		.amdhsa_system_sgpr_workgroup_id_x 1
		.amdhsa_system_sgpr_workgroup_id_y 1
		.amdhsa_system_sgpr_workgroup_id_z 1
		.amdhsa_system_sgpr_workgroup_info 0
		.amdhsa_system_vgpr_workitem_id 1
		.amdhsa_next_free_vgpr 65
		.amdhsa_next_free_sgpr 30
		.amdhsa_accum_offset 68
		.amdhsa_reserve_vcc 1
		.amdhsa_float_round_mode_32 0
		.amdhsa_float_round_mode_16_64 0
		.amdhsa_float_denorm_mode_32 3
		.amdhsa_float_denorm_mode_16_64 3
		.amdhsa_dx10_clamp 1
		.amdhsa_ieee_mode 1
		.amdhsa_fp16_overflow 0
		.amdhsa_tg_split 0
		.amdhsa_exception_fp_ieee_invalid_op 0
		.amdhsa_exception_fp_denorm_src 0
		.amdhsa_exception_fp_ieee_div_zero 0
		.amdhsa_exception_fp_ieee_overflow 0
		.amdhsa_exception_fp_ieee_underflow 0
		.amdhsa_exception_fp_ieee_inexact 0
		.amdhsa_exception_int_div_zero 0
	.end_amdhsa_kernel
	.section	.text._ZL13mul_mat_vec_qIL9ggml_type18ELi3ELb0ELb0EEvPKvS2_PKi31ggml_cuda_mm_fusion_args_devicePfj15HIP_vector_typeIjLj3EEjjjS8_jjjS8_jjjj,"axG",@progbits,_ZL13mul_mat_vec_qIL9ggml_type18ELi3ELb0ELb0EEvPKvS2_PKi31ggml_cuda_mm_fusion_args_devicePfj15HIP_vector_typeIjLj3EEjjjS8_jjjS8_jjjj,comdat
.Lfunc_end198:
	.size	_ZL13mul_mat_vec_qIL9ggml_type18ELi3ELb0ELb0EEvPKvS2_PKi31ggml_cuda_mm_fusion_args_devicePfj15HIP_vector_typeIjLj3EEjjjS8_jjjS8_jjjj, .Lfunc_end198-_ZL13mul_mat_vec_qIL9ggml_type18ELi3ELb0ELb0EEvPKvS2_PKi31ggml_cuda_mm_fusion_args_devicePfj15HIP_vector_typeIjLj3EEjjjS8_jjjS8_jjjj
                                        ; -- End function
	.section	.AMDGPU.csdata,"",@progbits
; Kernel info:
; codeLenInByte = 6128
; NumSgprs: 36
; NumVgprs: 65
; NumAgprs: 0
; TotalNumVgprs: 65
; ScratchSize: 32
; MemoryBound: 0
; FloatMode: 240
; IeeeMode: 1
; LDSByteSize: 1536 bytes/workgroup (compile time only)
; SGPRBlocks: 4
; VGPRBlocks: 8
; NumSGPRsForWavesPerEU: 36
; NumVGPRsForWavesPerEU: 65
; AccumOffset: 68
; Occupancy: 7
; WaveLimiterHint : 0
; COMPUTE_PGM_RSRC2:SCRATCH_EN: 1
; COMPUTE_PGM_RSRC2:USER_SGPR: 2
; COMPUTE_PGM_RSRC2:TRAP_HANDLER: 0
; COMPUTE_PGM_RSRC2:TGID_X_EN: 1
; COMPUTE_PGM_RSRC2:TGID_Y_EN: 1
; COMPUTE_PGM_RSRC2:TGID_Z_EN: 1
; COMPUTE_PGM_RSRC2:TIDIG_COMP_CNT: 1
; COMPUTE_PGM_RSRC3_GFX90A:ACCUM_OFFSET: 16
; COMPUTE_PGM_RSRC3_GFX90A:TG_SPLIT: 0
	.section	.text._ZL13mul_mat_vec_qIL9ggml_type18ELi4ELb0ELb0EEvPKvS2_PKi31ggml_cuda_mm_fusion_args_devicePfj15HIP_vector_typeIjLj3EEjjjS8_jjjS8_jjjj,"axG",@progbits,_ZL13mul_mat_vec_qIL9ggml_type18ELi4ELb0ELb0EEvPKvS2_PKi31ggml_cuda_mm_fusion_args_devicePfj15HIP_vector_typeIjLj3EEjjjS8_jjjS8_jjjj,comdat
	.globl	_ZL13mul_mat_vec_qIL9ggml_type18ELi4ELb0ELb0EEvPKvS2_PKi31ggml_cuda_mm_fusion_args_devicePfj15HIP_vector_typeIjLj3EEjjjS8_jjjS8_jjjj ; -- Begin function _ZL13mul_mat_vec_qIL9ggml_type18ELi4ELb0ELb0EEvPKvS2_PKi31ggml_cuda_mm_fusion_args_devicePfj15HIP_vector_typeIjLj3EEjjjS8_jjjS8_jjjj
	.p2align	8
	.type	_ZL13mul_mat_vec_qIL9ggml_type18ELi4ELb0ELb0EEvPKvS2_PKi31ggml_cuda_mm_fusion_args_devicePfj15HIP_vector_typeIjLj3EEjjjS8_jjjS8_jjjj,@function
_ZL13mul_mat_vec_qIL9ggml_type18ELi4ELb0ELb0EEvPKvS2_PKi31ggml_cuda_mm_fusion_args_devicePfj15HIP_vector_typeIjLj3EEjjjS8_jjjS8_jjjj: ; @_ZL13mul_mat_vec_qIL9ggml_type18ELi4ELb0ELb0EEvPKvS2_PKi31ggml_cuda_mm_fusion_args_devicePfj15HIP_vector_typeIjLj3EEjjjS8_jjjS8_jjjj
; %bb.0:
	s_mov_b32 s20, 0
	v_bfe_u32 v17, v0, 10, 10
	v_and_b32_e32 v16, 0x3ff, v0
	s_mov_b32 s21, s20
	v_lshl_add_u32 v4, v17, 6, v16
	s_mov_b32 s22, s20
	s_mov_b32 s23, s20
	v_mov_b64_e32 v[0:1], s[20:21]
	s_load_dword s6, s[0:1], 0x40
	s_load_dwordx4 s[8:11], s[0:1], 0x50
	s_load_dword s27, s[0:1], 0x60
	s_load_dwordx4 s[12:15], s[0:1], 0x68
	;; [unrolled: 2-line block ×3, first 2 shown]
	s_lshl_b32 s5, s2, 1
	s_waitcnt lgkmcnt(0)
	s_lshr_b32 s2, s6, 8
	v_mov_b64_e32 v[2:3], s[22:23]
	v_lshrrev_b32_e32 v21, 3, v4
	scratch_store_dwordx4 off, v[0:3], off offset:16
	scratch_store_dwordx4 off, v[0:3], off
	v_cmp_gt_u32_e32 vcc, s2, v21
	v_mov_b32_e32 v7, 0
	v_mov_b32_e32 v0, 0
	;; [unrolled: 1-line block ×8, first 2 shown]
	s_and_saveexec_b64 s[6:7], vcc
	s_cbranch_execz .LBB199_4
; %bb.1:
	s_load_dwordx4 s[20:23], s[0:1], 0x0
	s_mul_i32 s17, s4, s17
	s_mul_i32 s24, s17, 36
	s_mul_i32 s13, s3, s13
	s_mul_hi_u32 s19, s17, 36
	s_waitcnt lgkmcnt(0)
	s_add_u32 s24, s22, s24
	s_addc_u32 s19, s23, s19
	s_mul_i32 s28, s13, 36
	s_mul_hi_u32 s29, s13, 36
	s_add_u32 s24, s24, s28
	s_mul_hi_u32 s11, s11, s3
	s_addc_u32 s25, s19, s29
	s_add_i32 s11, s3, s11
	s_lshr_b32 s11, s11, s27
	s_mul_i32 s11, s11, s12
	s_mul_hi_u32 s12, s15, s4
	s_add_i32 s12, s4, s12
	s_lshr_b32 s12, s12, s26
	s_mul_i32 s12, s12, s16
	s_add_i32 s15, s12, s11
	s_add_i32 s12, s5, 1
	s_mul_i32 s13, s5, s8
	s_mul_i32 s8, s8, s12
	v_lshlrev_b32_e32 v4, 3, v21
	s_add_i32 s11, s15, s13
	s_add_i32 s15, s15, s8
	v_add_u32_e32 v30, s9, v4
	v_lshl_add_u32 v31, s9, 1, v4
	v_mad_u64_u32 v[22:23], s[8:9], s9, 3, v[4:5]
	s_movk_i32 s8, 0x120
	v_mov_b64_e32 v[4:5], s[28:29]
	v_mad_u64_u32 v[4:5], s[8:9], v21, s8, v[4:5]
	v_lshlrev_b32_e32 v0, 1, v16
	v_and_b32_e32 v20, 7, v16
	v_mad_u64_u32 v[4:5], s[8:9], s17, 36, v[4:5]
	v_and_b32_e32 v0, 14, v0
	v_mad_u64_u32 v[4:5], s[8:9], v20, 36, v[4:5]
	v_lshlrev_b32_e32 v2, 1, v0
	v_mov_b32_e32 v19, 0
	v_lshl_add_u64 v[4:5], v[4:5], 0, s[22:23]
	v_lshl_add_u64 v[24:25], v[4:5], 0, 32
	s_mov_b64 s[8:9], 0
	s_movk_i32 s19, 0x62
	v_mov_b64_e32 v[26:27], s[20:21]
	v_lshlrev_b32_e32 v18, 1, v0
	v_lshlrev_b32_e32 v28, 1, v2
	s_mov_b32 s20, 0x1010101
	s_mov_b32 s21, 0xffff
	s_movk_i32 s22, 0xff00
	s_mov_b64 s[12:13], 0x1200
	v_mov_b32_e32 v29, v19
	v_mov_b32_e32 v23, 2
	;; [unrolled: 1-line block ×11, first 2 shown]
.LBB199_2:                              ; =>This Inner Loop Header: Depth=1
	v_add_u32_e32 v33, s11, v21
	v_mad_i64_i32 v[42:43], s[16:17], v33, s19, v[26:27]
	v_lshl_add_u64 v[36:37], v[42:43], 0, v[28:29]
	global_load_dword v44, v[24:25], off
	global_load_dwordx4 v[8:11], v[24:25], off offset:-16
	global_load_dwordx4 v[12:15], v[24:25], off offset:-32
	v_lshl_add_u64 v[34:35], v[42:43], 0, v[18:19]
	global_load_dwordx2 v[40:41], v[36:37], off offset:2
	global_load_dword v46, v[34:35], off offset:66
	s_getpc_b64 s[16:17]
	s_add_u32 s16, s16, _ZL11iq3xxs_grid@rel32@lo+4
	s_addc_u32 s17, s17, _ZL11iq3xxs_grid@rel32@hi+12
	v_lshl_add_u64 v[24:25], v[24:25], 0, s[12:13]
	s_waitcnt vmcnt(2)
	v_cvt_f32_f16_e32 v12, v12
	s_waitcnt vmcnt(1)
	v_lshlrev_b32_sdwa v33, v23, v40 dst_sel:DWORD dst_unused:UNUSED_PAD src0_sel:DWORD src1_sel:BYTE_0
	global_load_dword v33, v33, s[16:17]
	v_lshlrev_b32_sdwa v34, v23, v40 dst_sel:DWORD dst_unused:UNUSED_PAD src0_sel:DWORD src1_sel:BYTE_1
	global_load_dword v34, v34, s[16:17]
	s_waitcnt vmcnt(2)
	v_and_b32_e32 v35, 0xff, v46
	v_bcnt_u32_b32 v36, v35, 0
	v_and_b32_e32 v36, 1, v36
	v_lshlrev_b32_e32 v36, 7, v36
	v_xor_b32_e32 v35, v36, v35
	v_mul_lo_u32 v35, v35, s20
	v_and_b32_e32 v36, 0x8000000, v35
	v_lshrrev_b32_e32 v38, 8, v35
	v_lshrrev_b16_e32 v39, 1, v38
	v_cmp_ne_u16_sdwa s[26:27], v36, v19 src0_sel:BYTE_3 src1_sel:DWORD
	v_and_b32_e32 v37, 1, v46
	v_bfe_i32 v39, v39, 0, 1
	v_lshrrev_b32_e32 v45, 18, v35
	v_cndmask_b32_e64 v36, 0, -1, s[26:27]
	v_sub_u16_e32 v37, 0, v37
	v_bfe_i32 v45, v45, 0, 1
	v_lshlrev_b16_e32 v36, 8, v36
	v_lshlrev_b16_e32 v39, 8, v39
	v_or_b32_sdwa v47, v45, v36 dst_sel:WORD_1 dst_unused:UNUSED_PAD src0_sel:BYTE_0 src1_sel:DWORD
	v_or_b32_sdwa v48, v37, v39 dst_sel:DWORD dst_unused:UNUSED_PAD src0_sel:BYTE_0 src1_sel:DWORD
	v_or_b32_sdwa v47, v48, v47 dst_sel:DWORD dst_unused:UNUSED_PAD src0_sel:WORD_0 src1_sel:DWORD
	v_lshlrev_b16_e32 v37, 8, v37
	v_lshrrev_b16_e32 v38, 5, v38
	v_bfe_i32 v38, v38, 0, 1
	v_lshlrev_b16_e32 v38, 8, v38
	v_bfe_i32 v59, v46, 7, 1
	v_lshrrev_b32_e32 v61, 16, v46
	s_waitcnt vmcnt(1)
	v_xor_b32_e32 v33, v33, v47
	v_and_b32_e32 v47, 0xffffff00, v33
	v_sub_i16 v39, v47, v39 clamp
	v_lshlrev_b16_e32 v47, 8, v33
	v_and_b32_e32 v39, 0xffffff00, v39
	v_sub_i16 v37, v47, v37 clamp
	v_or_b32_sdwa v37, v37, v39 dst_sel:DWORD dst_unused:UNUSED_PAD src0_sel:BYTE_1 src1_sel:DWORD
	v_and_b32_sdwa v39, v33, s22 dst_sel:DWORD dst_unused:UNUSED_PAD src0_sel:WORD_1 src1_sel:DWORD
	v_sub_i16 v36, v39, v36 clamp
	v_lshlrev_b16_sdwa v33, v32, v33 dst_sel:DWORD dst_unused:UNUSED_PAD src0_sel:DWORD src1_sel:WORD_1
	v_lshlrev_b16_e32 v39, 8, v45
	v_and_b32_e32 v36, 0xffffff00, v36
	v_sub_i16 v33, v33, v39 clamp
	v_or_b32_sdwa v33, v33, v36 dst_sel:WORD_1 dst_unused:UNUSED_PAD src0_sel:BYTE_1 src1_sel:DWORD
	v_and_b32_e32 v36, 0x80000000, v35
	v_cmp_ne_u16_sdwa s[26:27], v36, v19 src0_sel:BYTE_3 src1_sel:DWORD
	v_lshrrev_b32_e32 v35, 22, v35
	v_or_b32_sdwa v33, v37, v33 dst_sel:DWORD dst_unused:UNUSED_PAD src0_sel:WORD_0 src1_sel:DWORD
	v_cndmask_b32_e64 v36, 0, -1, s[26:27]
	v_bfe_i32 v37, v46, 4, 1
	v_bfe_i32 v35, v35, 0, 1
	v_lshlrev_b16_e32 v36, 8, v36
	v_or_b32_sdwa v39, v35, v36 dst_sel:WORD_1 dst_unused:UNUSED_PAD src0_sel:BYTE_0 src1_sel:DWORD
	v_or_b32_sdwa v45, v37, v38 dst_sel:DWORD dst_unused:UNUSED_PAD src0_sel:BYTE_0 src1_sel:DWORD
	v_or_b32_sdwa v39, v45, v39 dst_sel:DWORD dst_unused:UNUSED_PAD src0_sel:WORD_0 src1_sel:DWORD
	s_waitcnt vmcnt(0)
	v_xor_b32_e32 v34, v34, v39
	v_and_b32_e32 v39, 0xffffff00, v34
	v_sub_i16 v38, v39, v38 clamp
	v_lshlrev_b16_e32 v39, 8, v34
	v_lshlrev_b16_e32 v37, 8, v37
	v_and_b32_e32 v38, 0xffffff00, v38
	v_sub_i16 v37, v39, v37 clamp
	v_or_b32_sdwa v37, v37, v38 dst_sel:DWORD dst_unused:UNUSED_PAD src0_sel:BYTE_1 src1_sel:DWORD
	v_and_b32_sdwa v38, v34, s22 dst_sel:DWORD dst_unused:UNUSED_PAD src0_sel:WORD_1 src1_sel:DWORD
	v_lshlrev_b16_sdwa v34, v32, v34 dst_sel:DWORD dst_unused:UNUSED_PAD src0_sel:DWORD src1_sel:WORD_1
	v_lshlrev_b16_e32 v35, 8, v35
	v_sub_i16 v34, v34, v35 clamp
	v_lshlrev_b32_sdwa v35, v23, v40 dst_sel:DWORD dst_unused:UNUSED_PAD src0_sel:DWORD src1_sel:BYTE_2
	global_load_dword v60, v35, s[16:17]
	v_lshlrev_b32_sdwa v35, v23, v40 dst_sel:DWORD dst_unused:UNUSED_PAD src0_sel:DWORD src1_sel:BYTE_3
	global_load_dword v58, v35, s[16:17]
	v_lshlrev_b32_sdwa v35, v23, v41 dst_sel:DWORD dst_unused:UNUSED_PAD src0_sel:DWORD src1_sel:BYTE_0
	global_load_dword v57, v35, s[16:17]
	v_lshlrev_b32_sdwa v35, v23, v41 dst_sel:DWORD dst_unused:UNUSED_PAD src0_sel:DWORD src1_sel:BYTE_1
	v_sub_i16 v36, v38, v36 clamp
	global_load_dword v38, v35, s[16:17]
	v_lshlrev_b32_sdwa v35, v23, v41 dst_sel:DWORD dst_unused:UNUSED_PAD src0_sel:DWORD src1_sel:BYTE_2
	global_load_dword v39, v35, s[16:17]
	v_lshlrev_b32_sdwa v35, v23, v41 dst_sel:DWORD dst_unused:UNUSED_PAD src0_sel:DWORD src1_sel:BYTE_3
	global_load_dword v40, v35, s[16:17]
	global_load_ushort v48, v[42:43], off
	v_add_u32_e32 v35, s15, v21
	v_mad_i64_i32 v[62:63], s[26:27], v35, s19, v[26:27]
	v_lshl_add_u64 v[50:51], v[62:63], 0, v[28:29]
	v_lshl_add_u64 v[42:43], v[62:63], 0, v[18:19]
	global_load_dwordx2 v[54:55], v[50:51], off offset:2
	global_load_dword v49, v[42:43], off offset:66
	v_and_b32_e32 v36, 0xffffff00, v36
	v_or_b32_sdwa v34, v34, v36 dst_sel:WORD_1 dst_unused:UNUSED_PAD src0_sel:BYTE_1 src1_sel:DWORD
	v_mov_b32_e32 v47, 0
	v_dot4c_i32_i8_e32 v47, v33, v13
	v_or_b32_sdwa v34, v37, v34 dst_sel:DWORD dst_unused:UNUSED_PAD src0_sel:WORD_0 src1_sel:DWORD
	v_dot4c_i32_i8_e32 v47, v34, v14
	v_bfe_i32 v37, v46, 14, 1
	v_add_u32_e32 v21, 16, v21
	v_cmp_le_u32_e32 vcc, s2, v21
	s_or_b64 s[8:9], vcc, s[8:9]
	s_waitcnt vmcnt(1)
	v_lshlrev_b32_sdwa v35, v23, v54 dst_sel:DWORD dst_unused:UNUSED_PAD src0_sel:DWORD src1_sel:BYTE_0
	global_load_dword v35, v35, s[16:17]
	v_lshlrev_b32_sdwa v36, v23, v54 dst_sel:DWORD dst_unused:UNUSED_PAD src0_sel:DWORD src1_sel:BYTE_1
	global_load_dword v36, v36, s[16:17]
	s_waitcnt vmcnt(2)
	v_and_b32_e32 v41, 0xff, v49
	v_bcnt_u32_b32 v42, v41, 0
	v_and_b32_e32 v42, 1, v42
	v_lshlrev_b32_e32 v42, 7, v42
	v_xor_b32_e32 v41, v42, v41
	v_mul_lo_u32 v41, v41, s20
	v_and_b32_e32 v42, 0x8000000, v41
	v_lshrrev_b32_e32 v45, 8, v41
	v_lshrrev_b16_e32 v50, 1, v45
	v_cmp_ne_u16_sdwa s[26:27], v42, v19 src0_sel:BYTE_3 src1_sel:DWORD
	v_and_b32_e32 v43, 1, v49
	v_bfe_i32 v50, v50, 0, 1
	v_lshrrev_b32_e32 v51, 18, v41
	v_cndmask_b32_e64 v42, 0, -1, s[26:27]
	v_sub_u16_e32 v43, 0, v43
	v_bfe_i32 v51, v51, 0, 1
	v_lshlrev_b16_e32 v42, 8, v42
	v_lshlrev_b16_e32 v50, 8, v50
	v_or_b32_sdwa v52, v51, v42 dst_sel:WORD_1 dst_unused:UNUSED_PAD src0_sel:BYTE_0 src1_sel:DWORD
	v_or_b32_sdwa v53, v43, v50 dst_sel:DWORD dst_unused:UNUSED_PAD src0_sel:BYTE_0 src1_sel:DWORD
	v_or_b32_sdwa v52, v53, v52 dst_sel:DWORD dst_unused:UNUSED_PAD src0_sel:WORD_0 src1_sel:DWORD
	v_lshlrev_b16_e32 v43, 8, v43
	v_lshrrev_b16_e32 v45, 5, v45
	v_bfe_i32 v45, v45, 0, 1
	v_lshlrev_b16_e32 v45, 8, v45
	v_bfe_i32 v53, v49, 14, 1
	s_waitcnt vmcnt(1)
	v_xor_b32_e32 v35, v35, v52
	v_and_b32_e32 v52, 0xffffff00, v35
	v_sub_i16 v50, v52, v50 clamp
	v_lshlrev_b16_e32 v52, 8, v35
	v_and_b32_e32 v50, 0xffffff00, v50
	v_sub_i16 v43, v52, v43 clamp
	v_or_b32_sdwa v43, v43, v50 dst_sel:DWORD dst_unused:UNUSED_PAD src0_sel:BYTE_1 src1_sel:DWORD
	v_and_b32_sdwa v50, v35, s22 dst_sel:DWORD dst_unused:UNUSED_PAD src0_sel:WORD_1 src1_sel:DWORD
	v_sub_i16 v42, v50, v42 clamp
	v_lshlrev_b16_sdwa v35, v32, v35 dst_sel:DWORD dst_unused:UNUSED_PAD src0_sel:DWORD src1_sel:WORD_1
	v_lshlrev_b16_e32 v50, 8, v51
	v_and_b32_e32 v42, 0xffffff00, v42
	v_sub_i16 v35, v35, v50 clamp
	v_or_b32_sdwa v35, v35, v42 dst_sel:WORD_1 dst_unused:UNUSED_PAD src0_sel:BYTE_1 src1_sel:DWORD
	v_and_b32_e32 v42, 0x80000000, v41
	v_cmp_ne_u16_sdwa s[26:27], v42, v19 src0_sel:BYTE_3 src1_sel:DWORD
	v_lshrrev_b32_e32 v41, 22, v41
	v_or_b32_sdwa v35, v43, v35 dst_sel:DWORD dst_unused:UNUSED_PAD src0_sel:WORD_0 src1_sel:DWORD
	v_cndmask_b32_e64 v42, 0, -1, s[26:27]
	v_bfe_i32 v43, v49, 4, 1
	v_bfe_i32 v41, v41, 0, 1
	v_lshlrev_b16_e32 v42, 8, v42
	v_or_b32_sdwa v50, v41, v42 dst_sel:WORD_1 dst_unused:UNUSED_PAD src0_sel:BYTE_0 src1_sel:DWORD
	v_or_b32_sdwa v51, v43, v45 dst_sel:DWORD dst_unused:UNUSED_PAD src0_sel:BYTE_0 src1_sel:DWORD
	v_or_b32_sdwa v50, v51, v50 dst_sel:DWORD dst_unused:UNUSED_PAD src0_sel:WORD_0 src1_sel:DWORD
	s_waitcnt vmcnt(0)
	v_xor_b32_e32 v36, v36, v50
	v_and_b32_e32 v50, 0xffffff00, v36
	v_sub_i16 v45, v50, v45 clamp
	v_lshlrev_b16_e32 v50, 8, v36
	v_lshlrev_b16_e32 v43, 8, v43
	v_and_b32_e32 v45, 0xffffff00, v45
	v_sub_i16 v43, v50, v43 clamp
	v_or_b32_sdwa v43, v43, v45 dst_sel:DWORD dst_unused:UNUSED_PAD src0_sel:BYTE_1 src1_sel:DWORD
	v_and_b32_sdwa v45, v36, s22 dst_sel:DWORD dst_unused:UNUSED_PAD src0_sel:WORD_1 src1_sel:DWORD
	v_mov_b32_e32 v50, 0
	v_sub_i16 v42, v45, v42 clamp
	v_lshlrev_b16_sdwa v36, v32, v36 dst_sel:DWORD dst_unused:UNUSED_PAD src0_sel:DWORD src1_sel:WORD_1
	v_lshlrev_b16_e32 v41, 8, v41
	v_dot4c_i32_i8_e32 v50, v35, v13
	v_lshlrev_b32_sdwa v13, v23, v54 dst_sel:DWORD dst_unused:UNUSED_PAD src0_sel:DWORD src1_sel:BYTE_2
	v_and_b32_e32 v42, 0xffffff00, v42
	v_sub_i16 v36, v36, v41 clamp
	global_load_dword v56, v13, s[16:17]
	v_lshlrev_b32_sdwa v13, v23, v54 dst_sel:DWORD dst_unused:UNUSED_PAD src0_sel:DWORD src1_sel:BYTE_3
	v_or_b32_sdwa v36, v36, v42 dst_sel:WORD_1 dst_unused:UNUSED_PAD src0_sel:BYTE_1 src1_sel:DWORD
	global_load_dword v42, v13, s[16:17]
	v_lshlrev_b32_sdwa v13, v23, v55 dst_sel:DWORD dst_unused:UNUSED_PAD src0_sel:DWORD src1_sel:BYTE_0
	global_load_dword v54, v13, s[16:17]
	v_lshlrev_b32_sdwa v13, v23, v55 dst_sel:DWORD dst_unused:UNUSED_PAD src0_sel:DWORD src1_sel:BYTE_1
	v_or_b32_sdwa v36, v43, v36 dst_sel:DWORD dst_unused:UNUSED_PAD src0_sel:WORD_0 src1_sel:DWORD
	global_load_dword v43, v13, s[16:17]
	v_lshlrev_b32_sdwa v13, v23, v55 dst_sel:DWORD dst_unused:UNUSED_PAD src0_sel:DWORD src1_sel:BYTE_2
	global_load_dword v51, v13, s[16:17]
	v_lshlrev_b32_sdwa v13, v23, v55 dst_sel:DWORD dst_unused:UNUSED_PAD src0_sel:DWORD src1_sel:BYTE_3
	global_load_dword v45, v13, s[16:17]
	global_load_ushort v52, v[62:63], off
	v_and_b32_e32 v13, 0xffff0000, v46
	v_and_or_b32 v62, v46, s21, v13
	v_bfe_u32 v13, v46, 7, 8
	v_dot4c_i32_i8_e32 v50, v36, v14
	v_bcnt_u32_b32 v14, v13, 0
	v_and_b32_e32 v14, 1, v14
	v_lshlrev_b32_e32 v14, 7, v14
	v_xor_b32_e32 v13, v14, v13
	v_mul_lo_u32 v14, v13, s20
	v_and_b32_e32 v13, 0x8000000, v14
	v_lshrrev_b32_e32 v63, 8, v14
	v_lshrrev_b16_e32 v64, 1, v63
	v_cmp_ne_u16_sdwa s[16:17], v13, v19 src0_sel:BYTE_3 src1_sel:DWORD
	v_bfe_i32 v64, v64, 0, 1
	v_lshrrev_b32_e32 v65, 18, v14
	v_cndmask_b32_e64 v13, 0, -1, s[16:17]
	v_bfe_i32 v65, v65, 0, 1
	v_lshlrev_b16_e32 v13, 8, v13
	v_lshlrev_b16_e32 v64, 8, v64
	v_or_b32_sdwa v66, v65, v13 dst_sel:WORD_1 dst_unused:UNUSED_PAD src0_sel:BYTE_0 src1_sel:DWORD
	v_or_b32_sdwa v67, v59, v64 dst_sel:DWORD dst_unused:UNUSED_PAD src0_sel:BYTE_0 src1_sel:DWORD
	v_or_b32_sdwa v66, v67, v66 dst_sel:DWORD dst_unused:UNUSED_PAD src0_sel:WORD_0 src1_sel:DWORD
	v_xor_b32_e32 v60, v60, v66
	v_and_b32_e32 v66, 0xffffff00, v60
	v_sub_i16 v64, v66, v64 clamp
	v_lshlrev_b16_e32 v66, 8, v60
	v_lshlrev_b16_e32 v59, 8, v59
	v_and_b32_e32 v64, 0xffffff00, v64
	v_sub_i16 v59, v66, v59 clamp
	v_or_b32_sdwa v59, v59, v64 dst_sel:DWORD dst_unused:UNUSED_PAD src0_sel:BYTE_1 src1_sel:DWORD
	v_and_b32_sdwa v64, v60, s22 dst_sel:DWORD dst_unused:UNUSED_PAD src0_sel:WORD_1 src1_sel:DWORD
	v_sub_i16 v13, v64, v13 clamp
	v_lshlrev_b16_sdwa v60, v32, v60 dst_sel:DWORD dst_unused:UNUSED_PAD src0_sel:DWORD src1_sel:WORD_1
	v_lshlrev_b16_e32 v64, 8, v65
	v_and_b32_e32 v13, 0xffffff00, v13
	v_sub_i16 v60, v60, v64 clamp
	v_or_b32_sdwa v13, v60, v13 dst_sel:WORD_1 dst_unused:UNUSED_PAD src0_sel:BYTE_1 src1_sel:DWORD
	v_lshrrev_b16_e32 v63, 5, v63
	v_or_b32_sdwa v13, v59, v13 dst_sel:DWORD dst_unused:UNUSED_PAD src0_sel:WORD_0 src1_sel:DWORD
	v_and_b32_e32 v59, 0x80000000, v14
	v_cmp_ne_u16_sdwa s[16:17], v59, v19 src0_sel:BYTE_3 src1_sel:DWORD
	v_bfe_i32 v63, v63, 0, 1
	v_lshrrev_b32_e32 v14, 22, v14
	v_cndmask_b32_e64 v59, 0, -1, s[16:17]
	v_bfe_i32 v60, v46, 11, 1
	v_bfe_i32 v14, v14, 0, 1
	v_lshlrev_b16_e32 v59, 8, v59
	v_lshlrev_b16_e32 v63, 8, v63
	v_or_b32_sdwa v64, v14, v59 dst_sel:WORD_1 dst_unused:UNUSED_PAD src0_sel:BYTE_0 src1_sel:DWORD
	v_or_b32_sdwa v65, v60, v63 dst_sel:DWORD dst_unused:UNUSED_PAD src0_sel:BYTE_0 src1_sel:DWORD
	v_or_b32_sdwa v64, v65, v64 dst_sel:DWORD dst_unused:UNUSED_PAD src0_sel:WORD_0 src1_sel:DWORD
	v_xor_b32_e32 v58, v58, v64
	v_and_b32_e32 v64, 0xffffff00, v58
	v_sub_i16 v63, v64, v63 clamp
	v_lshlrev_b16_e32 v64, 8, v58
	v_lshlrev_b16_e32 v60, 8, v60
	v_and_b32_e32 v63, 0xffffff00, v63
	v_sub_i16 v60, v64, v60 clamp
	v_or_b32_sdwa v60, v60, v63 dst_sel:DWORD dst_unused:UNUSED_PAD src0_sel:BYTE_1 src1_sel:DWORD
	v_and_b32_sdwa v63, v58, s22 dst_sel:DWORD dst_unused:UNUSED_PAD src0_sel:WORD_1 src1_sel:DWORD
	v_sub_i16 v59, v63, v59 clamp
	v_lshlrev_b16_sdwa v58, v32, v58 dst_sel:DWORD dst_unused:UNUSED_PAD src0_sel:DWORD src1_sel:WORD_1
	v_lshlrev_b16_e32 v14, 8, v14
	v_and_b32_e32 v59, 0xffffff00, v59
	v_sub_i16 v14, v58, v14 clamp
	v_bfe_u32 v58, v62, 14, 8
	v_or_b32_sdwa v14, v14, v59 dst_sel:WORD_1 dst_unused:UNUSED_PAD src0_sel:BYTE_1 src1_sel:DWORD
	v_bcnt_u32_b32 v59, v58, 0
	v_and_b32_e32 v59, 1, v59
	v_lshlrev_b32_e32 v59, 7, v59
	v_xor_b32_e32 v58, v59, v58
	v_mul_lo_u32 v58, v58, s20
	v_or_b32_sdwa v14, v60, v14 dst_sel:DWORD dst_unused:UNUSED_PAD src0_sel:WORD_0 src1_sel:DWORD
	v_and_b32_e32 v59, 0x8000000, v58
	v_lshrrev_b32_e32 v60, 8, v58
	v_lshrrev_b16_e32 v62, 1, v60
	v_cmp_ne_u16_sdwa s[16:17], v59, v19 src0_sel:BYTE_3 src1_sel:DWORD
	v_bfe_i32 v62, v62, 0, 1
	v_lshrrev_b32_e32 v63, 18, v58
	v_cndmask_b32_e64 v59, 0, -1, s[16:17]
	v_bfe_i32 v63, v63, 0, 1
	v_lshlrev_b16_e32 v59, 8, v59
	v_lshlrev_b16_e32 v62, 8, v62
	v_or_b32_sdwa v64, v63, v59 dst_sel:WORD_1 dst_unused:UNUSED_PAD src0_sel:BYTE_0 src1_sel:DWORD
	v_or_b32_sdwa v65, v37, v62 dst_sel:DWORD dst_unused:UNUSED_PAD src0_sel:BYTE_0 src1_sel:DWORD
	v_or_b32_sdwa v64, v65, v64 dst_sel:DWORD dst_unused:UNUSED_PAD src0_sel:WORD_0 src1_sel:DWORD
	v_xor_b32_e32 v57, v57, v64
	v_and_b32_e32 v64, 0xffffff00, v57
	v_sub_i16 v62, v64, v62 clamp
	v_lshlrev_b16_e32 v64, 8, v57
	v_lshlrev_b16_e32 v37, 8, v37
	v_and_b32_e32 v62, 0xffffff00, v62
	v_sub_i16 v37, v64, v37 clamp
	v_or_b32_sdwa v37, v37, v62 dst_sel:DWORD dst_unused:UNUSED_PAD src0_sel:BYTE_1 src1_sel:DWORD
	v_and_b32_sdwa v62, v57, s22 dst_sel:DWORD dst_unused:UNUSED_PAD src0_sel:WORD_1 src1_sel:DWORD
	v_sub_i16 v59, v62, v59 clamp
	v_lshlrev_b16_sdwa v57, v32, v57 dst_sel:DWORD dst_unused:UNUSED_PAD src0_sel:DWORD src1_sel:WORD_1
	v_lshlrev_b16_e32 v62, 8, v63
	v_and_b32_e32 v59, 0xffffff00, v59
	v_sub_i16 v57, v57, v62 clamp
	v_or_b32_sdwa v57, v57, v59 dst_sel:WORD_1 dst_unused:UNUSED_PAD src0_sel:BYTE_1 src1_sel:DWORD
	v_lshrrev_b16_e32 v60, 5, v60
	v_or_b32_sdwa v37, v37, v57 dst_sel:DWORD dst_unused:UNUSED_PAD src0_sel:WORD_0 src1_sel:DWORD
	v_and_b32_e32 v57, 0x80000000, v58
	v_cmp_ne_u16_sdwa s[16:17], v57, v19 src0_sel:BYTE_3 src1_sel:DWORD
	v_bfe_i32 v60, v60, 0, 1
	v_lshrrev_b32_e32 v58, 22, v58
	v_cndmask_b32_e64 v57, 0, -1, s[16:17]
	v_bfe_i32 v59, v61, 2, 1
	v_bfe_i32 v58, v58, 0, 1
	v_lshlrev_b16_e32 v57, 8, v57
	v_lshlrev_b16_e32 v60, 8, v60
	v_or_b32_sdwa v62, v58, v57 dst_sel:WORD_1 dst_unused:UNUSED_PAD src0_sel:BYTE_0 src1_sel:DWORD
	v_or_b32_sdwa v63, v59, v60 dst_sel:DWORD dst_unused:UNUSED_PAD src0_sel:BYTE_0 src1_sel:DWORD
	v_or_b32_sdwa v62, v63, v62 dst_sel:DWORD dst_unused:UNUSED_PAD src0_sel:WORD_0 src1_sel:DWORD
	v_xor_b32_e32 v38, v38, v62
	v_and_b32_e32 v62, 0xffffff00, v38
	v_sub_i16 v60, v62, v60 clamp
	v_lshlrev_b16_e32 v62, 8, v38
	v_lshlrev_b16_e32 v59, 8, v59
	v_and_b32_e32 v60, 0xffffff00, v60
	v_sub_i16 v59, v62, v59 clamp
	v_or_b32_sdwa v59, v59, v60 dst_sel:DWORD dst_unused:UNUSED_PAD src0_sel:BYTE_1 src1_sel:DWORD
	v_and_b32_sdwa v60, v38, s22 dst_sel:DWORD dst_unused:UNUSED_PAD src0_sel:WORD_1 src1_sel:DWORD
	v_sub_i16 v57, v60, v57 clamp
	v_lshlrev_b16_sdwa v38, v32, v38 dst_sel:DWORD dst_unused:UNUSED_PAD src0_sel:DWORD src1_sel:WORD_1
	v_lshlrev_b16_e32 v58, 8, v58
	v_and_b32_e32 v57, 0xffffff00, v57
	v_sub_i16 v38, v38, v58 clamp
	v_or_b32_sdwa v38, v38, v57 dst_sel:WORD_1 dst_unused:UNUSED_PAD src0_sel:BYTE_1 src1_sel:DWORD
	v_bfe_u32 v57, v46, 21, 8
	v_bcnt_u32_b32 v58, v57, 0
	v_and_b32_e32 v58, 1, v58
	v_lshlrev_b32_e32 v58, 7, v58
	v_xor_b32_e32 v57, v58, v57
	v_mul_lo_u32 v57, v57, s20
	v_and_b32_e32 v58, 0x8000000, v57
	v_lshrrev_b32_e32 v60, 8, v57
	v_lshrrev_b16_e32 v62, 1, v60
	v_cmp_ne_u16_sdwa s[16:17], v58, v19 src0_sel:BYTE_3 src1_sel:DWORD
	v_bfe_i32 v62, v62, 0, 1
	v_lshrrev_b32_e32 v63, 18, v57
	v_cndmask_b32_e64 v58, 0, -1, s[16:17]
	v_or_b32_sdwa v38, v59, v38 dst_sel:DWORD dst_unused:UNUSED_PAD src0_sel:WORD_0 src1_sel:DWORD
	v_bfe_i32 v59, v61, 5, 1
	v_bfe_i32 v63, v63, 0, 1
	v_lshlrev_b16_e32 v58, 8, v58
	v_lshlrev_b16_e32 v62, 8, v62
	v_or_b32_sdwa v64, v63, v58 dst_sel:WORD_1 dst_unused:UNUSED_PAD src0_sel:BYTE_0 src1_sel:DWORD
	v_or_b32_sdwa v65, v59, v62 dst_sel:DWORD dst_unused:UNUSED_PAD src0_sel:BYTE_0 src1_sel:DWORD
	v_or_b32_sdwa v64, v65, v64 dst_sel:DWORD dst_unused:UNUSED_PAD src0_sel:WORD_0 src1_sel:DWORD
	v_xor_b32_e32 v39, v39, v64
	v_and_b32_e32 v64, 0xffffff00, v39
	v_sub_i16 v62, v64, v62 clamp
	v_lshlrev_b16_e32 v64, 8, v39
	v_lshlrev_b16_e32 v59, 8, v59
	v_and_b32_e32 v62, 0xffffff00, v62
	v_sub_i16 v59, v64, v59 clamp
	v_or_b32_sdwa v59, v59, v62 dst_sel:DWORD dst_unused:UNUSED_PAD src0_sel:BYTE_1 src1_sel:DWORD
	v_and_b32_sdwa v62, v39, s22 dst_sel:DWORD dst_unused:UNUSED_PAD src0_sel:WORD_1 src1_sel:DWORD
	v_sub_i16 v58, v62, v58 clamp
	v_lshlrev_b16_sdwa v39, v32, v39 dst_sel:DWORD dst_unused:UNUSED_PAD src0_sel:DWORD src1_sel:WORD_1
	v_lshlrev_b16_e32 v62, 8, v63
	v_and_b32_e32 v58, 0xffffff00, v58
	v_sub_i16 v39, v39, v62 clamp
	v_or_b32_sdwa v39, v39, v58 dst_sel:WORD_1 dst_unused:UNUSED_PAD src0_sel:BYTE_1 src1_sel:DWORD
	v_and_b32_e32 v58, 0x80000000, v57
	v_lshrrev_b16_e32 v60, 5, v60
	v_cmp_ne_u16_sdwa s[16:17], v58, v19 src0_sel:BYTE_3 src1_sel:DWORD
	v_bfe_i32 v60, v60, 0, 1
	v_lshrrev_b32_e32 v57, 22, v57
	v_cndmask_b32_e64 v58, 0, -1, s[16:17]
	v_or_b32_sdwa v39, v59, v39 dst_sel:DWORD dst_unused:UNUSED_PAD src0_sel:WORD_0 src1_sel:DWORD
	v_bfe_i32 v59, v61, 9, 1
	v_bfe_i32 v57, v57, 0, 1
	v_lshlrev_b16_e32 v58, 8, v58
	v_lshlrev_b16_e32 v60, 8, v60
	v_or_b32_sdwa v61, v57, v58 dst_sel:WORD_1 dst_unused:UNUSED_PAD src0_sel:BYTE_0 src1_sel:DWORD
	v_or_b32_sdwa v62, v59, v60 dst_sel:DWORD dst_unused:UNUSED_PAD src0_sel:BYTE_0 src1_sel:DWORD
	v_or_b32_sdwa v61, v62, v61 dst_sel:DWORD dst_unused:UNUSED_PAD src0_sel:WORD_0 src1_sel:DWORD
	v_xor_b32_e32 v40, v40, v61
	v_and_b32_e32 v61, 0xffffff00, v40
	v_sub_i16 v60, v61, v60 clamp
	v_lshlrev_b16_e32 v61, 8, v40
	v_lshlrev_b16_e32 v59, 8, v59
	v_and_b32_e32 v60, 0xffffff00, v60
	v_sub_i16 v59, v61, v59 clamp
	v_or_b32_sdwa v59, v59, v60 dst_sel:DWORD dst_unused:UNUSED_PAD src0_sel:BYTE_1 src1_sel:DWORD
	v_and_b32_sdwa v60, v40, s22 dst_sel:DWORD dst_unused:UNUSED_PAD src0_sel:WORD_1 src1_sel:DWORD
	v_sub_i16 v58, v60, v58 clamp
	v_lshlrev_b16_sdwa v40, v32, v40 dst_sel:DWORD dst_unused:UNUSED_PAD src0_sel:DWORD src1_sel:WORD_1
	v_lshlrev_b16_e32 v57, 8, v57
	v_and_b32_e32 v58, 0xffffff00, v58
	v_sub_i16 v40, v40, v57 clamp
	v_or_b32_sdwa v40, v40, v58 dst_sel:WORD_1 dst_unused:UNUSED_PAD src0_sel:BYTE_1 src1_sel:DWORD
	v_bfe_u32 v58, v49, 7, 8
	v_or_b32_sdwa v40, v59, v40 dst_sel:DWORD dst_unused:UNUSED_PAD src0_sel:WORD_0 src1_sel:DWORD
	v_bcnt_u32_b32 v59, v58, 0
	v_and_b32_e32 v59, 1, v59
	v_lshlrev_b32_e32 v59, 7, v59
	v_xor_b32_e32 v58, v59, v58
	v_mul_lo_u32 v58, v58, s20
	v_and_b32_e32 v59, 0x8000000, v58
	v_lshrrev_b32_e32 v60, 8, v58
	v_lshrrev_b16_e32 v61, 1, v60
	v_cmp_ne_u16_sdwa s[16:17], v59, v19 src0_sel:BYTE_3 src1_sel:DWORD
	v_bfe_i32 v61, v61, 0, 1
	v_lshrrev_b32_e32 v62, 18, v58
	v_cndmask_b32_e64 v59, 0, -1, s[16:17]
	v_bfe_i32 v41, v49, 7, 1
	v_bfe_i32 v62, v62, 0, 1
	v_lshlrev_b16_e32 v59, 8, v59
	v_lshlrev_b16_e32 v61, 8, v61
	v_or_b32_sdwa v63, v62, v59 dst_sel:WORD_1 dst_unused:UNUSED_PAD src0_sel:BYTE_0 src1_sel:DWORD
	v_or_b32_sdwa v64, v41, v61 dst_sel:DWORD dst_unused:UNUSED_PAD src0_sel:BYTE_0 src1_sel:DWORD
	v_or_b32_sdwa v63, v64, v63 dst_sel:DWORD dst_unused:UNUSED_PAD src0_sel:WORD_0 src1_sel:DWORD
	s_waitcnt vmcnt(6)
	v_xor_b32_e32 v56, v56, v63
	v_and_b32_e32 v63, 0xffffff00, v56
	v_sub_i16 v61, v63, v61 clamp
	v_lshlrev_b16_e32 v63, 8, v56
	v_lshlrev_b16_e32 v41, 8, v41
	v_and_b32_e32 v61, 0xffffff00, v61
	v_sub_i16 v41, v63, v41 clamp
	v_or_b32_sdwa v41, v41, v61 dst_sel:DWORD dst_unused:UNUSED_PAD src0_sel:BYTE_1 src1_sel:DWORD
	v_and_b32_sdwa v61, v56, s22 dst_sel:DWORD dst_unused:UNUSED_PAD src0_sel:WORD_1 src1_sel:DWORD
	v_sub_i16 v59, v61, v59 clamp
	v_lshlrev_b16_sdwa v56, v32, v56 dst_sel:DWORD dst_unused:UNUSED_PAD src0_sel:DWORD src1_sel:WORD_1
	v_lshlrev_b16_e32 v61, 8, v62
	v_and_b32_e32 v59, 0xffffff00, v59
	v_sub_i16 v56, v56, v61 clamp
	v_or_b32_sdwa v56, v56, v59 dst_sel:WORD_1 dst_unused:UNUSED_PAD src0_sel:BYTE_1 src1_sel:DWORD
	v_lshrrev_b16_e32 v60, 5, v60
	v_or_b32_sdwa v41, v41, v56 dst_sel:DWORD dst_unused:UNUSED_PAD src0_sel:WORD_0 src1_sel:DWORD
	v_and_b32_e32 v56, 0x80000000, v58
	v_cmp_ne_u16_sdwa s[16:17], v56, v19 src0_sel:BYTE_3 src1_sel:DWORD
	v_bfe_i32 v60, v60, 0, 1
	v_lshrrev_b32_e32 v58, 22, v58
	v_cndmask_b32_e64 v56, 0, -1, s[16:17]
	v_bfe_i32 v59, v49, 11, 1
	v_bfe_i32 v58, v58, 0, 1
	v_lshlrev_b16_e32 v56, 8, v56
	v_lshlrev_b16_e32 v60, 8, v60
	v_or_b32_sdwa v61, v58, v56 dst_sel:WORD_1 dst_unused:UNUSED_PAD src0_sel:BYTE_0 src1_sel:DWORD
	v_or_b32_sdwa v62, v59, v60 dst_sel:DWORD dst_unused:UNUSED_PAD src0_sel:BYTE_0 src1_sel:DWORD
	v_or_b32_sdwa v61, v62, v61 dst_sel:DWORD dst_unused:UNUSED_PAD src0_sel:WORD_0 src1_sel:DWORD
	s_waitcnt vmcnt(5)
	v_xor_b32_e32 v42, v42, v61
	v_and_b32_e32 v61, 0xffffff00, v42
	v_sub_i16 v60, v61, v60 clamp
	v_lshlrev_b16_e32 v61, 8, v42
	v_lshlrev_b16_e32 v59, 8, v59
	v_and_b32_e32 v60, 0xffffff00, v60
	v_sub_i16 v59, v61, v59 clamp
	v_or_b32_sdwa v59, v59, v60 dst_sel:DWORD dst_unused:UNUSED_PAD src0_sel:BYTE_1 src1_sel:DWORD
	v_and_b32_sdwa v60, v42, s22 dst_sel:DWORD dst_unused:UNUSED_PAD src0_sel:WORD_1 src1_sel:DWORD
	v_sub_i16 v56, v60, v56 clamp
	v_lshlrev_b16_sdwa v42, v32, v42 dst_sel:DWORD dst_unused:UNUSED_PAD src0_sel:DWORD src1_sel:WORD_1
	v_lshlrev_b16_e32 v58, 8, v58
	v_and_b32_e32 v56, 0xffffff00, v56
	v_sub_i16 v42, v42, v58 clamp
	v_and_b32_e32 v57, 0xffff0000, v49
	v_or_b32_sdwa v42, v42, v56 dst_sel:WORD_1 dst_unused:UNUSED_PAD src0_sel:BYTE_1 src1_sel:DWORD
	v_dot4c_i32_i8_e32 v47, v13, v15
	v_and_or_b32 v57, v49, s21, v57
	v_or_b32_sdwa v42, v59, v42 dst_sel:DWORD dst_unused:UNUSED_PAD src0_sel:WORD_0 src1_sel:DWORD
	v_dot4c_i32_i8_e32 v50, v41, v15
	v_dot4c_i32_i8_e32 v47, v14, v8
	;; [unrolled: 1-line block ×3, first 2 shown]
	v_bfe_u32 v8, v57, 14, 8
	v_bcnt_u32_b32 v15, v8, 0
	v_and_b32_e32 v15, 1, v15
	v_lshlrev_b32_e32 v15, 7, v15
	v_xor_b32_e32 v8, v15, v8
	v_mul_lo_u32 v8, v8, s20
	v_and_b32_e32 v15, 0x8000000, v8
	v_lshrrev_b32_e32 v56, 8, v8
	v_lshrrev_b16_e32 v57, 1, v56
	v_cmp_ne_u16_sdwa s[16:17], v15, v19 src0_sel:BYTE_3 src1_sel:DWORD
	v_bfe_i32 v57, v57, 0, 1
	v_lshrrev_b32_e32 v58, 18, v8
	v_cndmask_b32_e64 v15, 0, -1, s[16:17]
	v_bfe_i32 v58, v58, 0, 1
	v_lshlrev_b16_e32 v15, 8, v15
	v_lshlrev_b16_e32 v57, 8, v57
	v_or_b32_sdwa v59, v58, v15 dst_sel:WORD_1 dst_unused:UNUSED_PAD src0_sel:BYTE_0 src1_sel:DWORD
	v_or_b32_sdwa v60, v53, v57 dst_sel:DWORD dst_unused:UNUSED_PAD src0_sel:BYTE_0 src1_sel:DWORD
	v_or_b32_sdwa v59, v60, v59 dst_sel:DWORD dst_unused:UNUSED_PAD src0_sel:WORD_0 src1_sel:DWORD
	s_waitcnt vmcnt(4)
	v_xor_b32_e32 v54, v54, v59
	v_and_b32_e32 v59, 0xffffff00, v54
	v_sub_i16 v57, v59, v57 clamp
	v_lshlrev_b16_e32 v59, 8, v54
	v_lshlrev_b16_e32 v53, 8, v53
	v_and_b32_e32 v57, 0xffffff00, v57
	v_sub_i16 v53, v59, v53 clamp
	v_or_b32_sdwa v53, v53, v57 dst_sel:DWORD dst_unused:UNUSED_PAD src0_sel:BYTE_1 src1_sel:DWORD
	v_and_b32_sdwa v57, v54, s22 dst_sel:DWORD dst_unused:UNUSED_PAD src0_sel:WORD_1 src1_sel:DWORD
	v_sub_i16 v15, v57, v15 clamp
	v_lshlrev_b16_sdwa v54, v32, v54 dst_sel:DWORD dst_unused:UNUSED_PAD src0_sel:DWORD src1_sel:WORD_1
	v_lshlrev_b16_e32 v57, 8, v58
	v_and_b32_e32 v15, 0xffffff00, v15
	v_sub_i16 v54, v54, v57 clamp
	v_or_b32_sdwa v15, v54, v15 dst_sel:WORD_1 dst_unused:UNUSED_PAD src0_sel:BYTE_1 src1_sel:DWORD
	v_lshrrev_b16_e32 v56, 5, v56
	v_or_b32_sdwa v15, v53, v15 dst_sel:DWORD dst_unused:UNUSED_PAD src0_sel:WORD_0 src1_sel:DWORD
	v_and_b32_e32 v53, 0x80000000, v8
	v_cmp_ne_u16_sdwa s[16:17], v53, v19 src0_sel:BYTE_3 src1_sel:DWORD
	v_lshrrev_b32_e32 v55, 16, v49
	v_bfe_i32 v56, v56, 0, 1
	v_lshrrev_b32_e32 v8, 22, v8
	v_cndmask_b32_e64 v53, 0, -1, s[16:17]
	v_bfe_i32 v54, v55, 2, 1
	v_bfe_i32 v8, v8, 0, 1
	v_lshlrev_b16_e32 v53, 8, v53
	v_lshlrev_b16_e32 v56, 8, v56
	v_or_b32_sdwa v57, v8, v53 dst_sel:WORD_1 dst_unused:UNUSED_PAD src0_sel:BYTE_0 src1_sel:DWORD
	v_or_b32_sdwa v58, v54, v56 dst_sel:DWORD dst_unused:UNUSED_PAD src0_sel:BYTE_0 src1_sel:DWORD
	v_or_b32_sdwa v57, v58, v57 dst_sel:DWORD dst_unused:UNUSED_PAD src0_sel:WORD_0 src1_sel:DWORD
	s_waitcnt vmcnt(3)
	v_xor_b32_e32 v43, v43, v57
	v_and_b32_e32 v57, 0xffffff00, v43
	v_sub_i16 v56, v57, v56 clamp
	v_lshlrev_b16_e32 v57, 8, v43
	v_lshlrev_b16_e32 v54, 8, v54
	v_and_b32_e32 v56, 0xffffff00, v56
	v_sub_i16 v54, v57, v54 clamp
	v_or_b32_sdwa v54, v54, v56 dst_sel:DWORD dst_unused:UNUSED_PAD src0_sel:BYTE_1 src1_sel:DWORD
	v_and_b32_sdwa v56, v43, s22 dst_sel:DWORD dst_unused:UNUSED_PAD src0_sel:WORD_1 src1_sel:DWORD
	v_sub_i16 v53, v56, v53 clamp
	v_lshlrev_b16_sdwa v43, v32, v43 dst_sel:DWORD dst_unused:UNUSED_PAD src0_sel:DWORD src1_sel:WORD_1
	v_lshlrev_b16_e32 v8, 8, v8
	v_and_b32_e32 v53, 0xffffff00, v53
	v_sub_i16 v8, v43, v8 clamp
	v_or_b32_sdwa v8, v8, v53 dst_sel:WORD_1 dst_unused:UNUSED_PAD src0_sel:BYTE_1 src1_sel:DWORD
	v_dot4c_i32_i8_e32 v47, v37, v9
	v_or_b32_sdwa v43, v54, v8 dst_sel:DWORD dst_unused:UNUSED_PAD src0_sel:WORD_0 src1_sel:DWORD
	v_bfe_u32 v8, v49, 21, 8
	v_dot4c_i32_i8_e32 v50, v15, v9
	v_bcnt_u32_b32 v9, v8, 0
	v_and_b32_e32 v9, 1, v9
	v_lshlrev_b32_e32 v9, 7, v9
	v_xor_b32_e32 v8, v9, v8
	v_mul_lo_u32 v8, v8, s20
	v_and_b32_e32 v9, 0x8000000, v8
	v_lshrrev_b32_e32 v53, 8, v8
	v_lshrrev_b16_e32 v54, 1, v53
	v_cmp_ne_u16_sdwa s[16:17], v9, v19 src0_sel:BYTE_3 src1_sel:DWORD
	v_bfe_i32 v54, v54, 0, 1
	v_lshrrev_b32_e32 v56, 18, v8
	v_cndmask_b32_e64 v9, 0, -1, s[16:17]
	v_dot4c_i32_i8_e32 v47, v38, v10
	v_dot4c_i32_i8_e32 v50, v43, v10
	v_bfe_i32 v10, v55, 5, 1
	v_bfe_i32 v56, v56, 0, 1
	v_lshlrev_b16_e32 v9, 8, v9
	v_lshlrev_b16_e32 v54, 8, v54
	v_or_b32_sdwa v57, v56, v9 dst_sel:WORD_1 dst_unused:UNUSED_PAD src0_sel:BYTE_0 src1_sel:DWORD
	v_or_b32_sdwa v58, v10, v54 dst_sel:DWORD dst_unused:UNUSED_PAD src0_sel:BYTE_0 src1_sel:DWORD
	v_or_b32_sdwa v57, v58, v57 dst_sel:DWORD dst_unused:UNUSED_PAD src0_sel:WORD_0 src1_sel:DWORD
	s_waitcnt vmcnt(2)
	v_xor_b32_e32 v51, v51, v57
	v_and_b32_e32 v57, 0xffffff00, v51
	v_sub_i16 v54, v57, v54 clamp
	v_lshlrev_b16_e32 v57, 8, v51
	v_lshlrev_b16_e32 v10, 8, v10
	v_and_b32_e32 v54, 0xffffff00, v54
	v_sub_i16 v10, v57, v10 clamp
	v_or_b32_sdwa v10, v10, v54 dst_sel:DWORD dst_unused:UNUSED_PAD src0_sel:BYTE_1 src1_sel:DWORD
	v_and_b32_sdwa v54, v51, s22 dst_sel:DWORD dst_unused:UNUSED_PAD src0_sel:WORD_1 src1_sel:DWORD
	v_sub_i16 v9, v54, v9 clamp
	v_lshlrev_b16_sdwa v51, v32, v51 dst_sel:DWORD dst_unused:UNUSED_PAD src0_sel:DWORD src1_sel:WORD_1
	v_lshlrev_b16_e32 v54, 8, v56
	v_and_b32_e32 v9, 0xffffff00, v9
	v_sub_i16 v51, v51, v54 clamp
	v_or_b32_sdwa v9, v51, v9 dst_sel:WORD_1 dst_unused:UNUSED_PAD src0_sel:BYTE_1 src1_sel:DWORD
	v_lshrrev_b16_e32 v53, 5, v53
	v_or_b32_sdwa v10, v10, v9 dst_sel:DWORD dst_unused:UNUSED_PAD src0_sel:WORD_0 src1_sel:DWORD
	v_and_b32_e32 v9, 0x80000000, v8
	v_cmp_ne_u16_sdwa s[16:17], v9, v19 src0_sel:BYTE_3 src1_sel:DWORD
	v_bfe_i32 v53, v53, 0, 1
	v_lshrrev_b32_e32 v8, 22, v8
	v_cndmask_b32_e64 v9, 0, -1, s[16:17]
	v_bfe_i32 v51, v55, 9, 1
	v_bfe_i32 v8, v8, 0, 1
	v_lshlrev_b16_e32 v9, 8, v9
	v_lshlrev_b16_e32 v53, 8, v53
	v_or_b32_sdwa v54, v8, v9 dst_sel:WORD_1 dst_unused:UNUSED_PAD src0_sel:BYTE_0 src1_sel:DWORD
	v_or_b32_sdwa v55, v51, v53 dst_sel:DWORD dst_unused:UNUSED_PAD src0_sel:BYTE_0 src1_sel:DWORD
	v_or_b32_sdwa v54, v55, v54 dst_sel:DWORD dst_unused:UNUSED_PAD src0_sel:WORD_0 src1_sel:DWORD
	s_waitcnt vmcnt(1)
	v_xor_b32_e32 v45, v45, v54
	v_and_b32_e32 v54, 0xffffff00, v45
	v_sub_i16 v53, v54, v53 clamp
	v_lshlrev_b16_e32 v54, 8, v45
	v_lshlrev_b16_e32 v51, 8, v51
	v_and_b32_e32 v53, 0xffffff00, v53
	v_sub_i16 v51, v54, v51 clamp
	v_or_b32_sdwa v51, v51, v53 dst_sel:DWORD dst_unused:UNUSED_PAD src0_sel:BYTE_1 src1_sel:DWORD
	v_and_b32_sdwa v53, v45, s22 dst_sel:DWORD dst_unused:UNUSED_PAD src0_sel:WORD_1 src1_sel:DWORD
	v_sub_i16 v9, v53, v9 clamp
	v_lshlrev_b16_sdwa v45, v32, v45 dst_sel:DWORD dst_unused:UNUSED_PAD src0_sel:DWORD src1_sel:WORD_1
	v_lshlrev_b16_e32 v8, 8, v8
	v_and_b32_e32 v9, 0xffffff00, v9
	v_sub_i16 v8, v45, v8 clamp
	v_dot4c_i32_i8_e32 v47, v39, v11
	v_or_b32_sdwa v8, v8, v9 dst_sel:WORD_1 dst_unused:UNUSED_PAD src0_sel:BYTE_1 src1_sel:DWORD
	v_dot4c_i32_i8_e32 v47, v40, v44
	v_or_b32_sdwa v45, v51, v8 dst_sel:DWORD dst_unused:UNUSED_PAD src0_sel:WORD_0 src1_sel:DWORD
	v_dot4c_i32_i8_e32 v50, v10, v11
	v_dot4c_i32_i8_e32 v50, v45, v44
	v_lshrrev_b32_e32 v8, 31, v47
	v_add_u32_e32 v8, v47, v8
	v_lshrrev_b32_e32 v11, 28, v46
	v_lshrrev_b32_e32 v9, 31, v50
	v_ashrrev_i32_e32 v8, 1, v8
	v_add_u32_e32 v9, v50, v9
	v_ashrrev_i32_e32 v46, 1, v9
	v_mad_u64_u32 v[8:9], s[16:17], v47, v11, v[8:9]
	v_lshrrev_b32_e32 v44, 28, v49
	v_lshrrev_b32_e32 v9, 31, v8
	v_mad_u64_u32 v[50:51], s[16:17], v50, v44, v[46:47]
	v_add_u32_e32 v8, v8, v9
	v_ashrrev_i32_e32 v51, 1, v8
	v_lshrrev_b32_e32 v8, 31, v50
	v_add_u32_e32 v8, v50, v8
	v_ashrrev_i32_e32 v49, 1, v8
	s_waitcnt vmcnt(0)
	v_cvt_f32_f16_e32 v9, v52
	v_cvt_f32_f16_e32 v8, v48
	v_cvt_f32_i32_e32 v49, v49
	v_cvt_f32_i32_e32 v48, v51
	v_pk_mul_f32 v[46:47], v[12:13], v[8:9] op_sel_hi:[0,1]
	v_pk_fma_f32 v[0:1], v[46:47], v[48:49], v[0:1]
	v_mad_u64_u32 v[46:47], s[16:17], v30, 36, s[24:25]
	v_mad_u64_u32 v[54:55], s[16:17], v20, 36, v[46:47]
	global_load_dword v56, v[54:55], off offset:32
	global_load_dwordx4 v[46:49], v[54:55], off offset:16
	global_load_dwordx4 v[50:53], v[54:55], off
	v_mov_b32_e32 v54, 0
	v_add_u32_e32 v30, 0x80, v30
	s_waitcnt vmcnt(0)
	v_cvt_f32_f16_e32 v12, v50
	v_mov_b32_e32 v50, 0
	v_dot4c_i32_i8_e32 v50, v33, v51
	v_dot4c_i32_i8_e32 v50, v34, v52
	;; [unrolled: 1-line block ×16, first 2 shown]
	s_nop 0
	v_lshrrev_b32_e32 v46, 31, v50
	v_add_u32_e32 v46, v50, v46
	v_lshrrev_b32_e32 v47, 31, v54
	v_ashrrev_i32_e32 v46, 1, v46
	v_add_u32_e32 v47, v54, v47
	v_ashrrev_i32_e32 v48, 1, v47
	v_mad_u64_u32 v[46:47], s[16:17], v50, v11, v[46:47]
	v_lshrrev_b32_e32 v47, 31, v46
	v_mad_u64_u32 v[48:49], s[16:17], v54, v44, v[48:49]
	v_add_u32_e32 v46, v46, v47
	v_ashrrev_i32_e32 v50, 1, v46
	v_lshrrev_b32_e32 v46, 31, v48
	v_add_u32_e32 v46, v48, v46
	v_ashrrev_i32_e32 v48, 1, v46
	v_cvt_f32_i32_e32 v49, v48
	v_cvt_f32_i32_e32 v48, v50
	v_pk_mul_f32 v[46:47], v[12:13], v[8:9] op_sel_hi:[0,1]
	v_pk_fma_f32 v[2:3], v[46:47], v[48:49], v[2:3]
	v_mad_u64_u32 v[46:47], s[16:17], v31, 36, s[24:25]
	v_mad_u64_u32 v[54:55], s[16:17], v20, 36, v[46:47]
	global_load_dword v56, v[54:55], off offset:32
	global_load_dwordx4 v[46:49], v[54:55], off offset:16
	global_load_dwordx4 v[50:53], v[54:55], off
	v_mov_b32_e32 v54, 0
	v_add_u32_e32 v31, 0x80, v31
	s_waitcnt vmcnt(0)
	v_cvt_f32_f16_e32 v12, v50
	v_mov_b32_e32 v50, 0
	v_dot4c_i32_i8_e32 v50, v33, v51
	v_dot4c_i32_i8_e32 v50, v34, v52
	;; [unrolled: 1-line block ×16, first 2 shown]
	s_nop 0
	v_lshrrev_b32_e32 v46, 31, v50
	v_add_u32_e32 v46, v50, v46
	v_lshrrev_b32_e32 v47, 31, v54
	v_ashrrev_i32_e32 v46, 1, v46
	v_add_u32_e32 v47, v54, v47
	v_ashrrev_i32_e32 v48, 1, v47
	v_mad_u64_u32 v[46:47], s[16:17], v50, v11, v[46:47]
	v_lshrrev_b32_e32 v47, 31, v46
	v_mad_u64_u32 v[48:49], s[16:17], v54, v44, v[48:49]
	v_add_u32_e32 v46, v46, v47
	v_ashrrev_i32_e32 v50, 1, v46
	v_lshrrev_b32_e32 v46, 31, v48
	v_add_u32_e32 v46, v48, v46
	v_ashrrev_i32_e32 v48, 1, v46
	v_cvt_f32_i32_e32 v49, v48
	v_cvt_f32_i32_e32 v48, v50
	v_pk_mul_f32 v[46:47], v[12:13], v[8:9] op_sel_hi:[0,1]
	v_pk_fma_f32 v[4:5], v[46:47], v[48:49], v[4:5]
	v_mad_u64_u32 v[46:47], s[16:17], v22, 36, s[24:25]
	v_mad_u64_u32 v[54:55], s[16:17], v20, 36, v[46:47]
	global_load_dword v56, v[54:55], off offset:32
	global_load_dwordx4 v[46:49], v[54:55], off offset:16
	global_load_dwordx4 v[50:53], v[54:55], off
	v_add_u32_e32 v22, 0x80, v22
	s_waitcnt vmcnt(0)
	v_cvt_f32_f16_e32 v12, v50
	v_mov_b32_e32 v50, 0
	v_dot4c_i32_i8_e32 v50, v33, v51
	v_mov_b32_e32 v33, 0
	v_dot4c_i32_i8_e32 v50, v34, v52
	v_dot4c_i32_i8_e32 v33, v35, v51
	;; [unrolled: 1-line block ×15, first 2 shown]
	s_nop 0
	v_lshrrev_b32_e32 v10, 31, v50
	v_add_u32_e32 v10, v50, v10
	v_lshrrev_b32_e32 v13, 31, v33
	v_ashrrev_i32_e32 v10, 1, v10
	v_add_u32_e32 v13, v33, v13
	v_ashrrev_i32_e32 v14, 1, v13
	v_mad_u64_u32 v[10:11], s[16:17], v50, v11, v[10:11]
	v_mad_u64_u32 v[14:15], s[16:17], v33, v44, v[14:15]
	v_lshrrev_b32_e32 v11, 31, v10
	v_add_u32_e32 v10, v10, v11
	v_lshrrev_b32_e32 v11, 31, v14
	v_add_u32_e32 v11, v14, v11
	v_ashrrev_i32_e32 v10, 1, v10
	v_ashrrev_i32_e32 v11, 1, v11
	v_cvt_f32_i32_e32 v11, v11
	v_cvt_f32_i32_e32 v10, v10
	v_pk_mul_f32 v[8:9], v[12:13], v[8:9] op_sel_hi:[0,1]
	v_pk_fma_f32 v[6:7], v[8:9], v[10:11], v[6:7]
	s_andn2_b64 exec, exec, s[8:9]
	s_cbranch_execnz .LBB199_2
; %bb.3:
	s_or_b64 exec, exec, s[8:9]
	scratch_store_dwordx4 off, v[0:3], off
	scratch_store_dwordx4 off, v[4:7], off offset:16
.LBB199_4:
	s_or_b64 exec, exec, s[6:7]
	v_cmp_eq_u32_e32 vcc, 0, v17
	v_cmp_ne_u32_e64 s[6:7], 0, v17
	v_lshlrev_b32_e32 v8, 2, v16
	s_and_saveexec_b64 s[8:9], s[6:7]
	s_cbranch_execz .LBB199_6
; %bb.5:
	v_lshlrev_b32_e32 v9, 11, v17
	s_movk_i32 s2, 0xf800
	v_add3_u32 v9, v9, v8, s2
	ds_write2st64_b32 v9, v0, v1 offset1:1
	ds_write2st64_b32 v9, v2, v3 offset0:2 offset1:3
	ds_write2st64_b32 v9, v4, v5 offset0:4 offset1:5
	;; [unrolled: 1-line block ×3, first 2 shown]
.LBB199_6:
	s_or_b64 exec, exec, s[8:9]
	s_waitcnt lgkmcnt(0)
	s_barrier
	s_and_saveexec_b64 s[6:7], vcc
	s_cbranch_execz .LBB199_15
; %bb.7:
	scratch_load_dwordx2 v[2:3], off, off
	v_mbcnt_lo_u32_b32 v0, -1, 0
	ds_read2st64_b32 v[4:5], v8 offset1:1
	v_mbcnt_hi_u32_b32 v9, -1, v0
	v_and_b32_e32 v0, 64, v9
	v_xor_b32_e32 v1, 32, v9
	v_add_u32_e32 v12, 64, v0
	v_cmp_lt_i32_e32 vcc, v1, v12
	v_xor_b32_e32 v6, 16, v9
	v_xor_b32_e32 v10, 8, v9
	v_cndmask_b32_e32 v0, v9, v1, vcc
	v_lshlrev_b32_e32 v0, 2, v0
	v_cmp_lt_i32_e32 vcc, v6, v12
	v_xor_b32_e32 v11, 4, v9
	v_xor_b32_e32 v13, 2, v9
	v_cndmask_b32_e32 v1, v9, v6, vcc
	v_lshlrev_b32_e32 v1, 2, v1
	v_cmp_lt_i32_e32 vcc, v10, v12
	v_xor_b32_e32 v14, 1, v9
	s_load_dwordx2 s[0:1], s[0:1], 0x38
	s_mul_i32 s2, s3, s14
	s_mul_i32 s4, s4, s18
	s_add_i32 s2, s2, s5
	s_mov_b32 s3, 0
	s_add_i32 s2, s2, s4
	s_lshl_b64 s[2:3], s[2:3], 2
	s_waitcnt lgkmcnt(0)
	s_add_u32 s2, s0, s2
	s_addc_u32 s3, s1, s3
	s_waitcnt vmcnt(0)
	v_pk_add_f32 v[2:3], v[4:5], v[2:3]
	ds_bpermute_b32 v4, v0, v2
	ds_bpermute_b32 v5, v0, v3
	s_waitcnt lgkmcnt(0)
	v_pk_add_f32 v[4:5], v[2:3], v[4:5]
	ds_bpermute_b32 v6, v1, v4
	ds_bpermute_b32 v7, v1, v5
	v_cndmask_b32_e32 v2, v9, v10, vcc
	v_lshlrev_b32_e32 v2, 2, v2
	v_cmp_lt_i32_e32 vcc, v11, v12
	s_waitcnt lgkmcnt(0)
	v_pk_add_f32 v[4:5], v[4:5], v[6:7]
	ds_bpermute_b32 v6, v2, v4
	ds_bpermute_b32 v7, v2, v5
	v_cndmask_b32_e32 v3, v9, v11, vcc
	v_lshlrev_b32_e32 v3, 2, v3
	v_cmp_lt_i32_e32 vcc, v13, v12
	;; [unrolled: 7-line block ×3, first 2 shown]
	s_waitcnt lgkmcnt(0)
	v_pk_add_f32 v[6:7], v[6:7], v[10:11]
	ds_bpermute_b32 v10, v4, v6
	ds_bpermute_b32 v11, v4, v7
	v_cndmask_b32_e32 v5, v9, v14, vcc
	v_lshlrev_b32_e32 v5, 2, v5
	v_or_b32_e32 v9, s5, v16
	v_cmp_gt_u32_e32 vcc, 2, v16
	s_waitcnt lgkmcnt(0)
	v_pk_add_f32 v[6:7], v[6:7], v[10:11]
	ds_bpermute_b32 v10, v5, v6
	ds_bpermute_b32 v11, v5, v7
	v_cmp_gt_u32_e64 s[0:1], s10, v9
	s_and_b64 s[0:1], vcc, s[0:1]
	s_waitcnt lgkmcnt(0)
	v_pk_add_f32 v[6:7], v[6:7], v[10:11]
	scratch_store_dwordx2 off, v[6:7], off
	s_and_saveexec_b64 s[4:5], s[0:1]
	s_cbranch_execz .LBB199_9
; %bb.8:
	scratch_load_dword v6, v8, off
	s_waitcnt vmcnt(0)
	global_store_dword v8, v6, s[2:3]
.LBB199_9:
	s_or_b64 exec, exec, s[4:5]
	scratch_load_dwordx2 v[6:7], off, off offset:8
	ds_read2st64_b32 v[10:11], v8 offset0:2 offset1:3
	s_waitcnt vmcnt(0) lgkmcnt(0)
	v_pk_add_f32 v[6:7], v[10:11], v[6:7]
	ds_bpermute_b32 v10, v0, v6
	ds_bpermute_b32 v11, v0, v7
	s_waitcnt lgkmcnt(0)
	v_pk_add_f32 v[6:7], v[6:7], v[10:11]
	ds_bpermute_b32 v10, v1, v6
	ds_bpermute_b32 v11, v1, v7
	s_waitcnt lgkmcnt(0)
	v_pk_add_f32 v[6:7], v[6:7], v[10:11]
	ds_bpermute_b32 v10, v2, v6
	ds_bpermute_b32 v11, v2, v7
	s_waitcnt lgkmcnt(0)
	v_pk_add_f32 v[6:7], v[6:7], v[10:11]
	ds_bpermute_b32 v10, v3, v6
	ds_bpermute_b32 v11, v3, v7
	s_waitcnt lgkmcnt(0)
	v_pk_add_f32 v[6:7], v[6:7], v[10:11]
	ds_bpermute_b32 v10, v4, v6
	ds_bpermute_b32 v11, v4, v7
	s_waitcnt lgkmcnt(0)
	v_pk_add_f32 v[6:7], v[6:7], v[10:11]
	ds_bpermute_b32 v10, v5, v6
	ds_bpermute_b32 v11, v5, v7
	s_waitcnt lgkmcnt(0)
	v_pk_add_f32 v[6:7], v[6:7], v[10:11]
	scratch_store_dwordx2 off, v[6:7], off offset:8
	s_and_saveexec_b64 s[4:5], s[0:1]
	s_cbranch_execz .LBB199_11
; %bb.10:
	scratch_load_dword v9, v8, off offset:8
	v_add_u32_e32 v6, s10, v16
	v_mov_b32_e32 v7, 0
	v_lshl_add_u64 v[6:7], v[6:7], 2, s[2:3]
	s_waitcnt vmcnt(0)
	global_store_dword v[6:7], v9, off
.LBB199_11:
	s_or_b64 exec, exec, s[4:5]
	scratch_load_dwordx2 v[6:7], off, off offset:16
	ds_read2st64_b32 v[10:11], v8 offset0:4 offset1:5
	s_waitcnt vmcnt(0) lgkmcnt(0)
	v_pk_add_f32 v[6:7], v[10:11], v[6:7]
	ds_bpermute_b32 v10, v0, v6
	ds_bpermute_b32 v11, v0, v7
	s_waitcnt lgkmcnt(0)
	v_pk_add_f32 v[6:7], v[6:7], v[10:11]
	ds_bpermute_b32 v10, v1, v6
	ds_bpermute_b32 v11, v1, v7
	s_waitcnt lgkmcnt(0)
	;; [unrolled: 4-line block ×6, first 2 shown]
	v_pk_add_f32 v[6:7], v[6:7], v[10:11]
	scratch_store_dwordx2 off, v[6:7], off offset:16
	s_and_saveexec_b64 s[4:5], s[0:1]
	s_cbranch_execz .LBB199_13
; %bb.12:
	scratch_load_dword v9, v8, off offset:16
	v_lshl_or_b32 v6, s10, 1, v16
	v_mov_b32_e32 v7, 0
	v_lshl_add_u64 v[6:7], v[6:7], 2, s[2:3]
	s_waitcnt vmcnt(0)
	global_store_dword v[6:7], v9, off
.LBB199_13:
	s_or_b64 exec, exec, s[4:5]
	scratch_load_dwordx2 v[6:7], off, off offset:24
	ds_read2st64_b32 v[10:11], v8 offset0:6 offset1:7
	s_waitcnt vmcnt(0) lgkmcnt(0)
	v_pk_add_f32 v[6:7], v[10:11], v[6:7]
	ds_bpermute_b32 v10, v0, v6
	ds_bpermute_b32 v11, v0, v7
	s_waitcnt lgkmcnt(0)
	v_pk_add_f32 v[6:7], v[6:7], v[10:11]
	ds_bpermute_b32 v0, v1, v6
	ds_bpermute_b32 v1, v1, v7
	s_waitcnt lgkmcnt(0)
	;; [unrolled: 4-line block ×6, first 2 shown]
	v_pk_add_f32 v[0:1], v[0:1], v[2:3]
	scratch_store_dwordx2 off, v[0:1], off offset:24
	s_and_b64 exec, exec, s[0:1]
	s_cbranch_execz .LBB199_15
; %bb.14:
	scratch_load_dword v2, v8, off offset:24
	v_mad_u64_u32 v[0:1], s[0:1], s10, 3, v[16:17]
	v_mov_b32_e32 v1, 0
	v_lshl_add_u64 v[0:1], v[0:1], 2, s[2:3]
	s_waitcnt vmcnt(0)
	global_store_dword v[0:1], v2, off
.LBB199_15:
	s_endpgm
	.section	.rodata,"a",@progbits
	.p2align	6, 0x0
	.amdhsa_kernel _ZL13mul_mat_vec_qIL9ggml_type18ELi4ELb0ELb0EEvPKvS2_PKi31ggml_cuda_mm_fusion_args_devicePfj15HIP_vector_typeIjLj3EEjjjS8_jjjS8_jjjj
		.amdhsa_group_segment_fixed_size 2048
		.amdhsa_private_segment_fixed_size 48
		.amdhsa_kernarg_size 144
		.amdhsa_user_sgpr_count 2
		.amdhsa_user_sgpr_dispatch_ptr 0
		.amdhsa_user_sgpr_queue_ptr 0
		.amdhsa_user_sgpr_kernarg_segment_ptr 1
		.amdhsa_user_sgpr_dispatch_id 0
		.amdhsa_user_sgpr_kernarg_preload_length 0
		.amdhsa_user_sgpr_kernarg_preload_offset 0
		.amdhsa_user_sgpr_private_segment_size 0
		.amdhsa_uses_dynamic_stack 0
		.amdhsa_enable_private_segment 1
		.amdhsa_system_sgpr_workgroup_id_x 1
		.amdhsa_system_sgpr_workgroup_id_y 1
		.amdhsa_system_sgpr_workgroup_id_z 1
		.amdhsa_system_sgpr_workgroup_info 0
		.amdhsa_system_vgpr_workitem_id 1
		.amdhsa_next_free_vgpr 68
		.amdhsa_next_free_sgpr 30
		.amdhsa_accum_offset 68
		.amdhsa_reserve_vcc 1
		.amdhsa_float_round_mode_32 0
		.amdhsa_float_round_mode_16_64 0
		.amdhsa_float_denorm_mode_32 3
		.amdhsa_float_denorm_mode_16_64 3
		.amdhsa_dx10_clamp 1
		.amdhsa_ieee_mode 1
		.amdhsa_fp16_overflow 0
		.amdhsa_tg_split 0
		.amdhsa_exception_fp_ieee_invalid_op 0
		.amdhsa_exception_fp_denorm_src 0
		.amdhsa_exception_fp_ieee_div_zero 0
		.amdhsa_exception_fp_ieee_overflow 0
		.amdhsa_exception_fp_ieee_underflow 0
		.amdhsa_exception_fp_ieee_inexact 0
		.amdhsa_exception_int_div_zero 0
	.end_amdhsa_kernel
	.section	.text._ZL13mul_mat_vec_qIL9ggml_type18ELi4ELb0ELb0EEvPKvS2_PKi31ggml_cuda_mm_fusion_args_devicePfj15HIP_vector_typeIjLj3EEjjjS8_jjjS8_jjjj,"axG",@progbits,_ZL13mul_mat_vec_qIL9ggml_type18ELi4ELb0ELb0EEvPKvS2_PKi31ggml_cuda_mm_fusion_args_devicePfj15HIP_vector_typeIjLj3EEjjjS8_jjjS8_jjjj,comdat
.Lfunc_end199:
	.size	_ZL13mul_mat_vec_qIL9ggml_type18ELi4ELb0ELb0EEvPKvS2_PKi31ggml_cuda_mm_fusion_args_devicePfj15HIP_vector_typeIjLj3EEjjjS8_jjjS8_jjjj, .Lfunc_end199-_ZL13mul_mat_vec_qIL9ggml_type18ELi4ELb0ELb0EEvPKvS2_PKi31ggml_cuda_mm_fusion_args_devicePfj15HIP_vector_typeIjLj3EEjjjS8_jjjS8_jjjj
                                        ; -- End function
	.section	.AMDGPU.csdata,"",@progbits
; Kernel info:
; codeLenInByte = 6660
; NumSgprs: 36
; NumVgprs: 68
; NumAgprs: 0
; TotalNumVgprs: 68
; ScratchSize: 48
; MemoryBound: 0
; FloatMode: 240
; IeeeMode: 1
; LDSByteSize: 2048 bytes/workgroup (compile time only)
; SGPRBlocks: 4
; VGPRBlocks: 8
; NumSGPRsForWavesPerEU: 36
; NumVGPRsForWavesPerEU: 68
; AccumOffset: 68
; Occupancy: 7
; WaveLimiterHint : 0
; COMPUTE_PGM_RSRC2:SCRATCH_EN: 1
; COMPUTE_PGM_RSRC2:USER_SGPR: 2
; COMPUTE_PGM_RSRC2:TRAP_HANDLER: 0
; COMPUTE_PGM_RSRC2:TGID_X_EN: 1
; COMPUTE_PGM_RSRC2:TGID_Y_EN: 1
; COMPUTE_PGM_RSRC2:TGID_Z_EN: 1
; COMPUTE_PGM_RSRC2:TIDIG_COMP_CNT: 1
; COMPUTE_PGM_RSRC3_GFX90A:ACCUM_OFFSET: 16
; COMPUTE_PGM_RSRC3_GFX90A:TG_SPLIT: 0
	.section	.text._ZL13mul_mat_vec_qIL9ggml_type18ELi5ELb0ELb0EEvPKvS2_PKi31ggml_cuda_mm_fusion_args_devicePfj15HIP_vector_typeIjLj3EEjjjS8_jjjS8_jjjj,"axG",@progbits,_ZL13mul_mat_vec_qIL9ggml_type18ELi5ELb0ELb0EEvPKvS2_PKi31ggml_cuda_mm_fusion_args_devicePfj15HIP_vector_typeIjLj3EEjjjS8_jjjS8_jjjj,comdat
	.globl	_ZL13mul_mat_vec_qIL9ggml_type18ELi5ELb0ELb0EEvPKvS2_PKi31ggml_cuda_mm_fusion_args_devicePfj15HIP_vector_typeIjLj3EEjjjS8_jjjS8_jjjj ; -- Begin function _ZL13mul_mat_vec_qIL9ggml_type18ELi5ELb0ELb0EEvPKvS2_PKi31ggml_cuda_mm_fusion_args_devicePfj15HIP_vector_typeIjLj3EEjjjS8_jjjS8_jjjj
	.p2align	8
	.type	_ZL13mul_mat_vec_qIL9ggml_type18ELi5ELb0ELb0EEvPKvS2_PKi31ggml_cuda_mm_fusion_args_devicePfj15HIP_vector_typeIjLj3EEjjjS8_jjjS8_jjjj,@function
_ZL13mul_mat_vec_qIL9ggml_type18ELi5ELb0ELb0EEvPKvS2_PKi31ggml_cuda_mm_fusion_args_devicePfj15HIP_vector_typeIjLj3EEjjjS8_jjjS8_jjjj: ; @_ZL13mul_mat_vec_qIL9ggml_type18ELi5ELb0ELb0EEvPKvS2_PKi31ggml_cuda_mm_fusion_args_devicePfj15HIP_vector_typeIjLj3EEjjjS8_jjjS8_jjjj
; %bb.0:
	v_bfe_u32 v17, v0, 10, 10
	v_and_b32_e32 v16, 0x3ff, v0
	s_mov_b32 s20, 0
	s_load_dword s5, s[0:1], 0x40
	s_load_dwordx4 s[8:11], s[0:1], 0x50
	s_load_dword s27, s[0:1], 0x60
	s_load_dwordx4 s[12:15], s[0:1], 0x68
	;; [unrolled: 2-line block ×3, first 2 shown]
	v_lshl_or_b32 v4, v17, 6, v16
	s_mov_b32 s21, s20
	s_waitcnt lgkmcnt(0)
	s_lshr_b32 s5, s5, 8
	v_mov_b32_e32 v19, 0
	s_mov_b32 s22, s20
	s_mov_b32 s23, s20
	v_mov_b64_e32 v[0:1], s[20:21]
	v_lshrrev_b32_e32 v21, 3, v4
	s_lshl_b32 s2, s2, 1
	v_mov_b32_e32 v18, v19
	v_mov_b64_e32 v[2:3], s[22:23]
	v_cmp_gt_u32_e32 vcc, s5, v21
	scratch_store_dwordx2 off, v[18:19], off offset:32
	scratch_store_dwordx4 off, v[0:3], off offset:16
	scratch_store_dwordx4 off, v[0:3], off
	s_and_saveexec_b64 s[6:7], vcc
	s_cbranch_execz .LBB200_4
; %bb.1:
	s_load_dwordx4 s[20:23], s[0:1], 0x0
	s_mul_i32 s17, s4, s17
	s_mul_i32 s24, s17, 36
	;; [unrolled: 1-line block ×3, first 2 shown]
	s_mul_hi_u32 s19, s17, 36
	s_waitcnt lgkmcnt(0)
	s_add_u32 s24, s22, s24
	s_addc_u32 s19, s23, s19
	s_mul_i32 s28, s13, 36
	s_mul_hi_u32 s29, s13, 36
	s_add_u32 s24, s24, s28
	s_mul_hi_u32 s11, s11, s3
	s_addc_u32 s25, s19, s29
	s_add_i32 s11, s3, s11
	s_lshr_b32 s11, s11, s27
	s_mul_i32 s12, s11, s12
	s_mul_hi_u32 s11, s15, s4
	s_add_i32 s11, s4, s11
	s_lshr_b32 s11, s11, s26
	s_mul_i32 s13, s11, s16
	s_add_i32 s12, s13, s12
	s_add_i32 s13, s2, 1
	s_mul_i32 s16, s2, s8
	s_mul_i32 s8, s8, s13
	v_lshl_add_u32 v1, v17, 6, v16
	s_add_i32 s26, s12, s16
	s_add_i32 s8, s12, s8
	v_lshrrev_b32_e32 v1, 3, v1
	s_movk_i32 s12, 0x120
	v_mov_b64_e32 v[4:5], s[28:29]
	v_mad_u64_u32 v[4:5], s[12:13], v1, s12, v[4:5]
	v_lshlrev_b32_e32 v0, 1, v16
	v_and_b32_e32 v20, 7, v16
	v_mad_u64_u32 v[4:5], s[12:13], s17, 36, v[4:5]
	v_and_b32_e32 v0, 14, v0
	v_mad_u64_u32 v[4:5], s[12:13], v20, 36, v[4:5]
	v_lshlrev_b32_e32 v2, 1, v0
	v_lshl_add_u64 v[4:5], v[4:5], 0, s[22:23]
	s_lshl_b32 s11, s9, 1
	s_mul_i32 s15, s9, 3
	s_lshl_b32 s19, s9, 2
	v_lshlrev_b32_e32 v30, 3, v21
	v_lshl_add_u64 v[22:23], v[4:5], 0, 16
	s_mov_b64 s[12:13], 0
	s_movk_i32 s22, 0x62
	v_mov_b64_e32 v[24:25], s[20:21]
	v_lshlrev_b32_e32 v18, 1, v0
	v_lshlrev_b32_e32 v26, 1, v2
	s_mov_b32 s23, 0x1010101
	s_mov_b32 s27, 0xffff
	s_movk_i32 s28, 0xff00
	s_mov_b64 s[16:17], 0x900
	v_mov_b32_e32 v27, v19
	v_mov_b32_e32 v31, 2
	v_mov_b32_e32 v32, 8
	v_mov_b32_e32 v4, v19
	v_mov_b32_e32 v5, v19
	v_mov_b32_e32 v6, v19
	v_mov_b32_e32 v7, v19
	v_mov_b32_e32 v0, v19
	v_mov_b32_e32 v1, v19
	v_mov_b32_e32 v2, v19
	v_mov_b32_e32 v3, v19
	v_mov_b32_e32 v28, v19
	v_mov_b32_e32 v29, v19
.LBB200_2:                              ; =>This Inner Loop Header: Depth=1
	v_add_u32_e32 v33, s26, v21
	v_mad_i64_i32 v[44:45], s[20:21], v33, s22, v[24:25]
	v_lshl_add_u64 v[40:41], v[44:45], 0, v[26:27]
	global_load_dword v37, v[22:23], off offset:16
	global_load_dwordx4 v[8:11], v[22:23], off
	global_load_dwordx4 v[12:15], v[22:23], off offset:-16
	v_lshl_add_u64 v[34:35], v[44:45], 0, v[18:19]
	global_load_dwordx2 v[42:43], v[40:41], off offset:2
	global_load_dword v38, v[34:35], off offset:66
	s_getpc_b64 s[20:21]
	s_add_u32 s20, s20, _ZL11iq3xxs_grid@rel32@lo+4
	s_addc_u32 s21, s21, _ZL11iq3xxs_grid@rel32@hi+12
	v_lshl_add_u64 v[22:23], v[22:23], 0, s[16:17]
	s_waitcnt vmcnt(2)
	v_cvt_f32_f16_e32 v12, v12
	s_waitcnt vmcnt(1)
	v_lshlrev_b32_sdwa v33, v31, v42 dst_sel:DWORD dst_unused:UNUSED_PAD src0_sel:DWORD src1_sel:BYTE_0
	global_load_dword v33, v33, s[20:21]
	v_lshlrev_b32_sdwa v34, v31, v42 dst_sel:DWORD dst_unused:UNUSED_PAD src0_sel:DWORD src1_sel:BYTE_1
	global_load_dword v34, v34, s[20:21]
	s_waitcnt vmcnt(2)
	v_and_b32_e32 v35, 0xff, v38
	v_bcnt_u32_b32 v36, v35, 0
	v_and_b32_e32 v36, 1, v36
	v_lshlrev_b32_e32 v36, 7, v36
	v_xor_b32_e32 v35, v36, v35
	v_mul_lo_u32 v35, v35, s23
	v_and_b32_e32 v36, 0x8000000, v35
	v_lshrrev_b32_e32 v40, 8, v35
	v_lshrrev_b16_e32 v41, 1, v40
	v_cmp_ne_u16_sdwa s[30:31], v36, v19 src0_sel:BYTE_3 src1_sel:DWORD
	v_and_b32_e32 v39, 1, v38
	v_bfe_i32 v41, v41, 0, 1
	v_lshrrev_b32_e32 v46, 18, v35
	v_cndmask_b32_e64 v36, 0, -1, s[30:31]
	v_sub_u16_e32 v39, 0, v39
	v_bfe_i32 v46, v46, 0, 1
	v_lshlrev_b16_e32 v36, 8, v36
	v_lshlrev_b16_e32 v41, 8, v41
	v_or_b32_sdwa v47, v46, v36 dst_sel:WORD_1 dst_unused:UNUSED_PAD src0_sel:BYTE_0 src1_sel:DWORD
	v_or_b32_sdwa v48, v39, v41 dst_sel:DWORD dst_unused:UNUSED_PAD src0_sel:BYTE_0 src1_sel:DWORD
	v_or_b32_sdwa v47, v48, v47 dst_sel:DWORD dst_unused:UNUSED_PAD src0_sel:WORD_0 src1_sel:DWORD
	v_lshlrev_b16_e32 v39, 8, v39
	v_lshrrev_b16_e32 v40, 5, v40
	v_bfe_i32 v40, v40, 0, 1
	v_lshlrev_b16_e32 v40, 8, v40
	v_bfe_i32 v60, v38, 7, 1
	v_lshrrev_b32_e32 v59, 16, v38
	s_waitcnt vmcnt(1)
	v_xor_b32_e32 v33, v33, v47
	v_and_b32_e32 v47, 0xffffff00, v33
	v_sub_i16 v41, v47, v41 clamp
	v_lshlrev_b16_e32 v47, 8, v33
	v_and_b32_e32 v41, 0xffffff00, v41
	v_sub_i16 v39, v47, v39 clamp
	v_or_b32_sdwa v39, v39, v41 dst_sel:DWORD dst_unused:UNUSED_PAD src0_sel:BYTE_1 src1_sel:DWORD
	v_and_b32_sdwa v41, v33, s28 dst_sel:DWORD dst_unused:UNUSED_PAD src0_sel:WORD_1 src1_sel:DWORD
	v_sub_i16 v36, v41, v36 clamp
	v_lshlrev_b16_sdwa v33, v32, v33 dst_sel:DWORD dst_unused:UNUSED_PAD src0_sel:DWORD src1_sel:WORD_1
	v_lshlrev_b16_e32 v41, 8, v46
	v_and_b32_e32 v36, 0xffffff00, v36
	v_sub_i16 v33, v33, v41 clamp
	v_or_b32_sdwa v33, v33, v36 dst_sel:WORD_1 dst_unused:UNUSED_PAD src0_sel:BYTE_1 src1_sel:DWORD
	v_and_b32_e32 v36, 0x80000000, v35
	v_cmp_ne_u16_sdwa s[30:31], v36, v19 src0_sel:BYTE_3 src1_sel:DWORD
	v_lshrrev_b32_e32 v35, 22, v35
	v_or_b32_sdwa v33, v39, v33 dst_sel:DWORD dst_unused:UNUSED_PAD src0_sel:WORD_0 src1_sel:DWORD
	v_cndmask_b32_e64 v36, 0, -1, s[30:31]
	v_bfe_i32 v39, v38, 4, 1
	v_bfe_i32 v35, v35, 0, 1
	v_lshlrev_b16_e32 v36, 8, v36
	v_or_b32_sdwa v41, v35, v36 dst_sel:WORD_1 dst_unused:UNUSED_PAD src0_sel:BYTE_0 src1_sel:DWORD
	v_or_b32_sdwa v46, v39, v40 dst_sel:DWORD dst_unused:UNUSED_PAD src0_sel:BYTE_0 src1_sel:DWORD
	v_or_b32_sdwa v41, v46, v41 dst_sel:DWORD dst_unused:UNUSED_PAD src0_sel:WORD_0 src1_sel:DWORD
	s_waitcnt vmcnt(0)
	v_xor_b32_e32 v34, v34, v41
	v_and_b32_e32 v41, 0xffffff00, v34
	v_sub_i16 v40, v41, v40 clamp
	v_lshlrev_b16_e32 v41, 8, v34
	v_lshlrev_b16_e32 v39, 8, v39
	v_and_b32_e32 v40, 0xffffff00, v40
	v_sub_i16 v39, v41, v39 clamp
	v_or_b32_sdwa v39, v39, v40 dst_sel:DWORD dst_unused:UNUSED_PAD src0_sel:BYTE_1 src1_sel:DWORD
	v_and_b32_sdwa v40, v34, s28 dst_sel:DWORD dst_unused:UNUSED_PAD src0_sel:WORD_1 src1_sel:DWORD
	v_lshlrev_b16_sdwa v34, v32, v34 dst_sel:DWORD dst_unused:UNUSED_PAD src0_sel:DWORD src1_sel:WORD_1
	v_lshlrev_b16_e32 v35, 8, v35
	v_sub_i16 v34, v34, v35 clamp
	v_lshlrev_b32_sdwa v35, v31, v42 dst_sel:DWORD dst_unused:UNUSED_PAD src0_sel:DWORD src1_sel:BYTE_2
	global_load_dword v61, v35, s[20:21]
	v_lshlrev_b32_sdwa v35, v31, v42 dst_sel:DWORD dst_unused:UNUSED_PAD src0_sel:DWORD src1_sel:BYTE_3
	global_load_dword v58, v35, s[20:21]
	v_lshlrev_b32_sdwa v35, v31, v43 dst_sel:DWORD dst_unused:UNUSED_PAD src0_sel:DWORD src1_sel:BYTE_0
	global_load_dword v57, v35, s[20:21]
	v_lshlrev_b32_sdwa v35, v31, v43 dst_sel:DWORD dst_unused:UNUSED_PAD src0_sel:DWORD src1_sel:BYTE_1
	global_load_dword v42, v35, s[20:21]
	v_lshlrev_b32_sdwa v35, v31, v43 dst_sel:DWORD dst_unused:UNUSED_PAD src0_sel:DWORD src1_sel:BYTE_2
	global_load_dword v46, v35, s[20:21]
	v_lshlrev_b32_sdwa v35, v31, v43 dst_sel:DWORD dst_unused:UNUSED_PAD src0_sel:DWORD src1_sel:BYTE_3
	global_load_dword v47, v35, s[20:21]
	global_load_ushort v41, v[44:45], off
	v_add_u32_e32 v35, s8, v21
	v_mad_i64_i32 v[62:63], s[30:31], v35, s22, v[24:25]
	v_lshl_add_u64 v[48:49], v[62:63], 0, v[26:27]
	v_lshl_add_u64 v[44:45], v[62:63], 0, v[18:19]
	global_load_dwordx2 v[64:65], v[48:49], off offset:2
	global_load_dword v43, v[44:45], off offset:66
	v_sub_i16 v36, v40, v36 clamp
	v_and_b32_e32 v36, 0xffffff00, v36
	v_or_b32_sdwa v34, v34, v36 dst_sel:WORD_1 dst_unused:UNUSED_PAD src0_sel:BYTE_1 src1_sel:DWORD
	v_bfe_i32 v40, v38, 14, 1
	v_or_b32_sdwa v34, v39, v34 dst_sel:DWORD dst_unused:UNUSED_PAD src0_sel:WORD_0 src1_sel:DWORD
	v_mov_b32_e32 v39, 0
	v_dot4c_i32_i8_e32 v39, v33, v13
	v_dot4c_i32_i8_e32 v39, v34, v14
	v_add_u32_e32 v21, 8, v21
	v_cmp_le_u32_e32 vcc, s5, v21
	s_or_b64 s[12:13], vcc, s[12:13]
	s_waitcnt vmcnt(1)
	v_lshlrev_b32_sdwa v35, v31, v64 dst_sel:DWORD dst_unused:UNUSED_PAD src0_sel:DWORD src1_sel:BYTE_0
	global_load_dword v35, v35, s[20:21]
	v_lshlrev_b32_sdwa v36, v31, v64 dst_sel:DWORD dst_unused:UNUSED_PAD src0_sel:DWORD src1_sel:BYTE_1
	global_load_dword v36, v36, s[20:21]
	s_waitcnt vmcnt(2)
	v_and_b32_e32 v44, 0xff, v43
	v_bcnt_u32_b32 v45, v44, 0
	v_and_b32_e32 v45, 1, v45
	v_lshlrev_b32_e32 v45, 7, v45
	v_xor_b32_e32 v44, v45, v44
	v_mul_lo_u32 v44, v44, s23
	v_and_b32_e32 v45, 0x8000000, v44
	v_lshrrev_b32_e32 v49, 8, v44
	v_lshrrev_b16_e32 v50, 1, v49
	v_cmp_ne_u16_sdwa s[30:31], v45, v19 src0_sel:BYTE_3 src1_sel:DWORD
	v_and_b32_e32 v48, 1, v43
	v_bfe_i32 v50, v50, 0, 1
	v_lshrrev_b32_e32 v51, 18, v44
	v_cndmask_b32_e64 v45, 0, -1, s[30:31]
	v_sub_u16_e32 v48, 0, v48
	v_bfe_i32 v51, v51, 0, 1
	v_lshlrev_b16_e32 v45, 8, v45
	v_lshlrev_b16_e32 v50, 8, v50
	v_or_b32_sdwa v52, v51, v45 dst_sel:WORD_1 dst_unused:UNUSED_PAD src0_sel:BYTE_0 src1_sel:DWORD
	v_or_b32_sdwa v53, v48, v50 dst_sel:DWORD dst_unused:UNUSED_PAD src0_sel:BYTE_0 src1_sel:DWORD
	v_or_b32_sdwa v52, v53, v52 dst_sel:DWORD dst_unused:UNUSED_PAD src0_sel:WORD_0 src1_sel:DWORD
	v_lshlrev_b16_e32 v48, 8, v48
	v_lshrrev_b16_e32 v49, 5, v49
	v_bfe_i32 v49, v49, 0, 1
	v_lshlrev_b16_e32 v49, 8, v49
	v_bfe_i32 v54, v43, 14, 1
	s_waitcnt vmcnt(1)
	v_xor_b32_e32 v35, v35, v52
	v_and_b32_e32 v52, 0xffffff00, v35
	v_sub_i16 v50, v52, v50 clamp
	v_lshlrev_b16_e32 v52, 8, v35
	v_and_b32_e32 v50, 0xffffff00, v50
	v_sub_i16 v48, v52, v48 clamp
	v_or_b32_sdwa v48, v48, v50 dst_sel:DWORD dst_unused:UNUSED_PAD src0_sel:BYTE_1 src1_sel:DWORD
	v_and_b32_sdwa v50, v35, s28 dst_sel:DWORD dst_unused:UNUSED_PAD src0_sel:WORD_1 src1_sel:DWORD
	v_sub_i16 v45, v50, v45 clamp
	v_lshlrev_b16_sdwa v35, v32, v35 dst_sel:DWORD dst_unused:UNUSED_PAD src0_sel:DWORD src1_sel:WORD_1
	v_lshlrev_b16_e32 v50, 8, v51
	v_and_b32_e32 v45, 0xffffff00, v45
	v_sub_i16 v35, v35, v50 clamp
	v_or_b32_sdwa v35, v35, v45 dst_sel:WORD_1 dst_unused:UNUSED_PAD src0_sel:BYTE_1 src1_sel:DWORD
	v_and_b32_e32 v45, 0x80000000, v44
	v_cmp_ne_u16_sdwa s[30:31], v45, v19 src0_sel:BYTE_3 src1_sel:DWORD
	v_lshrrev_b32_e32 v44, 22, v44
	v_or_b32_sdwa v35, v48, v35 dst_sel:DWORD dst_unused:UNUSED_PAD src0_sel:WORD_0 src1_sel:DWORD
	v_cndmask_b32_e64 v45, 0, -1, s[30:31]
	v_bfe_i32 v48, v43, 4, 1
	v_bfe_i32 v44, v44, 0, 1
	v_lshlrev_b16_e32 v45, 8, v45
	v_or_b32_sdwa v50, v44, v45 dst_sel:WORD_1 dst_unused:UNUSED_PAD src0_sel:BYTE_0 src1_sel:DWORD
	v_or_b32_sdwa v51, v48, v49 dst_sel:DWORD dst_unused:UNUSED_PAD src0_sel:BYTE_0 src1_sel:DWORD
	v_or_b32_sdwa v50, v51, v50 dst_sel:DWORD dst_unused:UNUSED_PAD src0_sel:WORD_0 src1_sel:DWORD
	s_waitcnt vmcnt(0)
	v_xor_b32_e32 v36, v36, v50
	v_and_b32_e32 v50, 0xffffff00, v36
	v_sub_i16 v49, v50, v49 clamp
	v_lshlrev_b16_e32 v50, 8, v36
	v_lshlrev_b16_e32 v48, 8, v48
	v_and_b32_e32 v49, 0xffffff00, v49
	v_sub_i16 v48, v50, v48 clamp
	v_or_b32_sdwa v48, v48, v49 dst_sel:DWORD dst_unused:UNUSED_PAD src0_sel:BYTE_1 src1_sel:DWORD
	v_and_b32_sdwa v49, v36, s28 dst_sel:DWORD dst_unused:UNUSED_PAD src0_sel:WORD_1 src1_sel:DWORD
	v_lshlrev_b16_sdwa v36, v32, v36 dst_sel:DWORD dst_unused:UNUSED_PAD src0_sel:DWORD src1_sel:WORD_1
	v_lshlrev_b16_e32 v44, 8, v44
	v_sub_i16 v36, v36, v44 clamp
	v_mov_b32_e32 v44, 0
	v_dot4c_i32_i8_e32 v44, v35, v13
	v_lshlrev_b32_sdwa v13, v31, v64 dst_sel:DWORD dst_unused:UNUSED_PAD src0_sel:DWORD src1_sel:BYTE_2
	global_load_dword v56, v13, s[20:21]
	v_lshlrev_b32_sdwa v13, v31, v64 dst_sel:DWORD dst_unused:UNUSED_PAD src0_sel:DWORD src1_sel:BYTE_3
	global_load_dword v51, v13, s[20:21]
	v_lshlrev_b32_sdwa v13, v31, v65 dst_sel:DWORD dst_unused:UNUSED_PAD src0_sel:DWORD src1_sel:BYTE_0
	v_sub_i16 v45, v49, v45 clamp
	global_load_dword v55, v13, s[20:21]
	v_lshlrev_b32_sdwa v13, v31, v65 dst_sel:DWORD dst_unused:UNUSED_PAD src0_sel:DWORD src1_sel:BYTE_1
	v_and_b32_e32 v45, 0xffffff00, v45
	global_load_dword v52, v13, s[20:21]
	v_lshlrev_b32_sdwa v13, v31, v65 dst_sel:DWORD dst_unused:UNUSED_PAD src0_sel:DWORD src1_sel:BYTE_2
	v_or_b32_sdwa v36, v36, v45 dst_sel:WORD_1 dst_unused:UNUSED_PAD src0_sel:BYTE_1 src1_sel:DWORD
	global_load_dword v53, v13, s[20:21]
	v_lshlrev_b32_sdwa v13, v31, v65 dst_sel:DWORD dst_unused:UNUSED_PAD src0_sel:DWORD src1_sel:BYTE_3
	v_or_b32_sdwa v36, v48, v36 dst_sel:DWORD dst_unused:UNUSED_PAD src0_sel:WORD_0 src1_sel:DWORD
	global_load_dword v45, v13, s[20:21]
	global_load_ushort v48, v[62:63], off
	v_and_b32_e32 v13, 0xffff0000, v38
	v_and_or_b32 v62, v38, s27, v13
	v_bfe_u32 v13, v38, 7, 8
	v_dot4c_i32_i8_e32 v44, v36, v14
	v_bcnt_u32_b32 v14, v13, 0
	v_and_b32_e32 v14, 1, v14
	v_lshlrev_b32_e32 v14, 7, v14
	v_xor_b32_e32 v13, v14, v13
	v_mul_lo_u32 v14, v13, s23
	v_and_b32_e32 v13, 0x8000000, v14
	v_lshrrev_b32_e32 v63, 8, v14
	v_lshrrev_b16_e32 v64, 1, v63
	v_cmp_ne_u16_sdwa s[20:21], v13, v19 src0_sel:BYTE_3 src1_sel:DWORD
	v_bfe_i32 v64, v64, 0, 1
	v_lshrrev_b32_e32 v65, 18, v14
	v_cndmask_b32_e64 v13, 0, -1, s[20:21]
	v_bfe_i32 v65, v65, 0, 1
	v_lshlrev_b16_e32 v13, 8, v13
	v_lshlrev_b16_e32 v64, 8, v64
	v_or_b32_sdwa v66, v65, v13 dst_sel:WORD_1 dst_unused:UNUSED_PAD src0_sel:BYTE_0 src1_sel:DWORD
	v_or_b32_sdwa v67, v60, v64 dst_sel:DWORD dst_unused:UNUSED_PAD src0_sel:BYTE_0 src1_sel:DWORD
	v_or_b32_sdwa v66, v67, v66 dst_sel:DWORD dst_unused:UNUSED_PAD src0_sel:WORD_0 src1_sel:DWORD
	v_xor_b32_e32 v61, v61, v66
	v_and_b32_e32 v66, 0xffffff00, v61
	v_sub_i16 v64, v66, v64 clamp
	v_lshlrev_b16_e32 v66, 8, v61
	v_lshlrev_b16_e32 v60, 8, v60
	v_and_b32_e32 v64, 0xffffff00, v64
	v_sub_i16 v60, v66, v60 clamp
	v_or_b32_sdwa v60, v60, v64 dst_sel:DWORD dst_unused:UNUSED_PAD src0_sel:BYTE_1 src1_sel:DWORD
	v_and_b32_sdwa v64, v61, s28 dst_sel:DWORD dst_unused:UNUSED_PAD src0_sel:WORD_1 src1_sel:DWORD
	v_sub_i16 v13, v64, v13 clamp
	v_lshlrev_b16_sdwa v61, v32, v61 dst_sel:DWORD dst_unused:UNUSED_PAD src0_sel:DWORD src1_sel:WORD_1
	v_lshlrev_b16_e32 v64, 8, v65
	v_and_b32_e32 v13, 0xffffff00, v13
	v_sub_i16 v61, v61, v64 clamp
	v_or_b32_sdwa v13, v61, v13 dst_sel:WORD_1 dst_unused:UNUSED_PAD src0_sel:BYTE_1 src1_sel:DWORD
	v_lshrrev_b16_e32 v63, 5, v63
	v_or_b32_sdwa v13, v60, v13 dst_sel:DWORD dst_unused:UNUSED_PAD src0_sel:WORD_0 src1_sel:DWORD
	v_and_b32_e32 v60, 0x80000000, v14
	v_cmp_ne_u16_sdwa s[20:21], v60, v19 src0_sel:BYTE_3 src1_sel:DWORD
	v_bfe_i32 v63, v63, 0, 1
	v_lshrrev_b32_e32 v14, 22, v14
	v_cndmask_b32_e64 v60, 0, -1, s[20:21]
	v_bfe_i32 v61, v38, 11, 1
	v_bfe_i32 v14, v14, 0, 1
	v_lshlrev_b16_e32 v60, 8, v60
	v_lshlrev_b16_e32 v63, 8, v63
	v_or_b32_sdwa v64, v14, v60 dst_sel:WORD_1 dst_unused:UNUSED_PAD src0_sel:BYTE_0 src1_sel:DWORD
	v_or_b32_sdwa v65, v61, v63 dst_sel:DWORD dst_unused:UNUSED_PAD src0_sel:BYTE_0 src1_sel:DWORD
	v_or_b32_sdwa v64, v65, v64 dst_sel:DWORD dst_unused:UNUSED_PAD src0_sel:WORD_0 src1_sel:DWORD
	v_xor_b32_e32 v58, v58, v64
	v_and_b32_e32 v64, 0xffffff00, v58
	v_sub_i16 v63, v64, v63 clamp
	v_lshlrev_b16_e32 v64, 8, v58
	v_lshlrev_b16_e32 v61, 8, v61
	v_and_b32_e32 v63, 0xffffff00, v63
	v_sub_i16 v61, v64, v61 clamp
	v_or_b32_sdwa v61, v61, v63 dst_sel:DWORD dst_unused:UNUSED_PAD src0_sel:BYTE_1 src1_sel:DWORD
	v_and_b32_sdwa v63, v58, s28 dst_sel:DWORD dst_unused:UNUSED_PAD src0_sel:WORD_1 src1_sel:DWORD
	v_sub_i16 v60, v63, v60 clamp
	v_lshlrev_b16_sdwa v58, v32, v58 dst_sel:DWORD dst_unused:UNUSED_PAD src0_sel:DWORD src1_sel:WORD_1
	v_lshlrev_b16_e32 v14, 8, v14
	v_and_b32_e32 v60, 0xffffff00, v60
	v_sub_i16 v14, v58, v14 clamp
	v_bfe_u32 v58, v62, 14, 8
	v_or_b32_sdwa v14, v14, v60 dst_sel:WORD_1 dst_unused:UNUSED_PAD src0_sel:BYTE_1 src1_sel:DWORD
	v_bcnt_u32_b32 v60, v58, 0
	v_and_b32_e32 v60, 1, v60
	v_lshlrev_b32_e32 v60, 7, v60
	v_xor_b32_e32 v58, v60, v58
	v_mul_lo_u32 v58, v58, s23
	v_or_b32_sdwa v14, v61, v14 dst_sel:DWORD dst_unused:UNUSED_PAD src0_sel:WORD_0 src1_sel:DWORD
	v_and_b32_e32 v60, 0x8000000, v58
	v_lshrrev_b32_e32 v61, 8, v58
	v_lshrrev_b16_e32 v62, 1, v61
	v_cmp_ne_u16_sdwa s[20:21], v60, v19 src0_sel:BYTE_3 src1_sel:DWORD
	v_bfe_i32 v62, v62, 0, 1
	v_lshrrev_b32_e32 v63, 18, v58
	v_cndmask_b32_e64 v60, 0, -1, s[20:21]
	v_bfe_i32 v63, v63, 0, 1
	v_lshlrev_b16_e32 v60, 8, v60
	v_lshlrev_b16_e32 v62, 8, v62
	v_or_b32_sdwa v64, v63, v60 dst_sel:WORD_1 dst_unused:UNUSED_PAD src0_sel:BYTE_0 src1_sel:DWORD
	v_or_b32_sdwa v65, v40, v62 dst_sel:DWORD dst_unused:UNUSED_PAD src0_sel:BYTE_0 src1_sel:DWORD
	v_or_b32_sdwa v64, v65, v64 dst_sel:DWORD dst_unused:UNUSED_PAD src0_sel:WORD_0 src1_sel:DWORD
	v_xor_b32_e32 v57, v57, v64
	v_and_b32_e32 v64, 0xffffff00, v57
	v_sub_i16 v62, v64, v62 clamp
	v_lshlrev_b16_e32 v64, 8, v57
	v_lshlrev_b16_e32 v40, 8, v40
	v_and_b32_e32 v62, 0xffffff00, v62
	v_sub_i16 v40, v64, v40 clamp
	v_or_b32_sdwa v40, v40, v62 dst_sel:DWORD dst_unused:UNUSED_PAD src0_sel:BYTE_1 src1_sel:DWORD
	v_and_b32_sdwa v62, v57, s28 dst_sel:DWORD dst_unused:UNUSED_PAD src0_sel:WORD_1 src1_sel:DWORD
	v_sub_i16 v60, v62, v60 clamp
	v_lshlrev_b16_sdwa v57, v32, v57 dst_sel:DWORD dst_unused:UNUSED_PAD src0_sel:DWORD src1_sel:WORD_1
	v_lshlrev_b16_e32 v62, 8, v63
	v_and_b32_e32 v60, 0xffffff00, v60
	v_sub_i16 v57, v57, v62 clamp
	v_or_b32_sdwa v57, v57, v60 dst_sel:WORD_1 dst_unused:UNUSED_PAD src0_sel:BYTE_1 src1_sel:DWORD
	v_lshrrev_b16_e32 v61, 5, v61
	v_or_b32_sdwa v40, v40, v57 dst_sel:DWORD dst_unused:UNUSED_PAD src0_sel:WORD_0 src1_sel:DWORD
	v_and_b32_e32 v57, 0x80000000, v58
	v_cmp_ne_u16_sdwa s[20:21], v57, v19 src0_sel:BYTE_3 src1_sel:DWORD
	v_bfe_i32 v61, v61, 0, 1
	v_lshrrev_b32_e32 v58, 22, v58
	v_cndmask_b32_e64 v57, 0, -1, s[20:21]
	v_bfe_i32 v60, v59, 2, 1
	v_bfe_i32 v58, v58, 0, 1
	v_lshlrev_b16_e32 v57, 8, v57
	v_lshlrev_b16_e32 v61, 8, v61
	v_or_b32_sdwa v62, v58, v57 dst_sel:WORD_1 dst_unused:UNUSED_PAD src0_sel:BYTE_0 src1_sel:DWORD
	v_or_b32_sdwa v63, v60, v61 dst_sel:DWORD dst_unused:UNUSED_PAD src0_sel:BYTE_0 src1_sel:DWORD
	v_or_b32_sdwa v62, v63, v62 dst_sel:DWORD dst_unused:UNUSED_PAD src0_sel:WORD_0 src1_sel:DWORD
	v_xor_b32_e32 v42, v42, v62
	v_and_b32_e32 v62, 0xffffff00, v42
	v_sub_i16 v61, v62, v61 clamp
	v_lshlrev_b16_e32 v62, 8, v42
	v_lshlrev_b16_e32 v60, 8, v60
	v_and_b32_e32 v61, 0xffffff00, v61
	v_sub_i16 v60, v62, v60 clamp
	v_or_b32_sdwa v60, v60, v61 dst_sel:DWORD dst_unused:UNUSED_PAD src0_sel:BYTE_1 src1_sel:DWORD
	v_and_b32_sdwa v61, v42, s28 dst_sel:DWORD dst_unused:UNUSED_PAD src0_sel:WORD_1 src1_sel:DWORD
	v_sub_i16 v57, v61, v57 clamp
	v_lshlrev_b16_sdwa v42, v32, v42 dst_sel:DWORD dst_unused:UNUSED_PAD src0_sel:DWORD src1_sel:WORD_1
	v_lshlrev_b16_e32 v58, 8, v58
	v_and_b32_e32 v57, 0xffffff00, v57
	v_sub_i16 v42, v42, v58 clamp
	v_or_b32_sdwa v42, v42, v57 dst_sel:WORD_1 dst_unused:UNUSED_PAD src0_sel:BYTE_1 src1_sel:DWORD
	v_bfe_u32 v57, v38, 21, 8
	v_bcnt_u32_b32 v58, v57, 0
	v_and_b32_e32 v58, 1, v58
	v_lshlrev_b32_e32 v58, 7, v58
	v_xor_b32_e32 v57, v58, v57
	v_mul_lo_u32 v57, v57, s23
	v_and_b32_e32 v58, 0x8000000, v57
	v_lshrrev_b32_e32 v61, 8, v57
	v_lshrrev_b16_e32 v62, 1, v61
	v_cmp_ne_u16_sdwa s[20:21], v58, v19 src0_sel:BYTE_3 src1_sel:DWORD
	v_bfe_i32 v62, v62, 0, 1
	v_lshrrev_b32_e32 v63, 18, v57
	v_cndmask_b32_e64 v58, 0, -1, s[20:21]
	v_or_b32_sdwa v42, v60, v42 dst_sel:DWORD dst_unused:UNUSED_PAD src0_sel:WORD_0 src1_sel:DWORD
	v_bfe_i32 v60, v59, 5, 1
	v_bfe_i32 v63, v63, 0, 1
	v_lshlrev_b16_e32 v58, 8, v58
	v_lshlrev_b16_e32 v62, 8, v62
	v_or_b32_sdwa v64, v63, v58 dst_sel:WORD_1 dst_unused:UNUSED_PAD src0_sel:BYTE_0 src1_sel:DWORD
	v_or_b32_sdwa v65, v60, v62 dst_sel:DWORD dst_unused:UNUSED_PAD src0_sel:BYTE_0 src1_sel:DWORD
	v_or_b32_sdwa v64, v65, v64 dst_sel:DWORD dst_unused:UNUSED_PAD src0_sel:WORD_0 src1_sel:DWORD
	v_xor_b32_e32 v46, v46, v64
	v_and_b32_e32 v64, 0xffffff00, v46
	v_sub_i16 v62, v64, v62 clamp
	v_lshlrev_b16_e32 v64, 8, v46
	v_lshlrev_b16_e32 v60, 8, v60
	v_and_b32_e32 v62, 0xffffff00, v62
	v_sub_i16 v60, v64, v60 clamp
	v_or_b32_sdwa v60, v60, v62 dst_sel:DWORD dst_unused:UNUSED_PAD src0_sel:BYTE_1 src1_sel:DWORD
	v_and_b32_sdwa v62, v46, s28 dst_sel:DWORD dst_unused:UNUSED_PAD src0_sel:WORD_1 src1_sel:DWORD
	v_sub_i16 v58, v62, v58 clamp
	v_lshlrev_b16_sdwa v46, v32, v46 dst_sel:DWORD dst_unused:UNUSED_PAD src0_sel:DWORD src1_sel:WORD_1
	v_lshlrev_b16_e32 v62, 8, v63
	v_and_b32_e32 v58, 0xffffff00, v58
	v_sub_i16 v46, v46, v62 clamp
	v_or_b32_sdwa v46, v46, v58 dst_sel:WORD_1 dst_unused:UNUSED_PAD src0_sel:BYTE_1 src1_sel:DWORD
	v_and_b32_e32 v58, 0x80000000, v57
	v_or_b32_sdwa v46, v60, v46 dst_sel:DWORD dst_unused:UNUSED_PAD src0_sel:WORD_0 src1_sel:DWORD
	v_lshrrev_b16_e32 v60, 5, v61
	v_cmp_ne_u16_sdwa s[20:21], v58, v19 src0_sel:BYTE_3 src1_sel:DWORD
	v_bfe_i32 v60, v60, 0, 1
	v_lshrrev_b32_e32 v57, 22, v57
	v_cndmask_b32_e64 v58, 0, -1, s[20:21]
	v_bfe_i32 v59, v59, 9, 1
	v_bfe_i32 v57, v57, 0, 1
	v_lshlrev_b16_e32 v58, 8, v58
	v_lshlrev_b16_e32 v60, 8, v60
	v_or_b32_sdwa v61, v57, v58 dst_sel:WORD_1 dst_unused:UNUSED_PAD src0_sel:BYTE_0 src1_sel:DWORD
	v_or_b32_sdwa v62, v59, v60 dst_sel:DWORD dst_unused:UNUSED_PAD src0_sel:BYTE_0 src1_sel:DWORD
	v_or_b32_sdwa v61, v62, v61 dst_sel:DWORD dst_unused:UNUSED_PAD src0_sel:WORD_0 src1_sel:DWORD
	v_xor_b32_e32 v47, v47, v61
	v_and_b32_e32 v61, 0xffffff00, v47
	v_sub_i16 v60, v61, v60 clamp
	v_lshlrev_b16_e32 v61, 8, v47
	v_lshlrev_b16_e32 v59, 8, v59
	v_and_b32_e32 v60, 0xffffff00, v60
	v_sub_i16 v59, v61, v59 clamp
	v_or_b32_sdwa v59, v59, v60 dst_sel:DWORD dst_unused:UNUSED_PAD src0_sel:BYTE_1 src1_sel:DWORD
	v_and_b32_sdwa v60, v47, s28 dst_sel:DWORD dst_unused:UNUSED_PAD src0_sel:WORD_1 src1_sel:DWORD
	v_sub_i16 v58, v60, v58 clamp
	v_lshlrev_b16_sdwa v47, v32, v47 dst_sel:DWORD dst_unused:UNUSED_PAD src0_sel:DWORD src1_sel:WORD_1
	v_lshlrev_b16_e32 v57, 8, v57
	v_and_b32_e32 v58, 0xffffff00, v58
	v_sub_i16 v47, v47, v57 clamp
	v_or_b32_sdwa v47, v47, v58 dst_sel:WORD_1 dst_unused:UNUSED_PAD src0_sel:BYTE_1 src1_sel:DWORD
	v_bfe_u32 v58, v43, 7, 8
	v_or_b32_sdwa v47, v59, v47 dst_sel:DWORD dst_unused:UNUSED_PAD src0_sel:WORD_0 src1_sel:DWORD
	v_bcnt_u32_b32 v59, v58, 0
	v_and_b32_e32 v59, 1, v59
	v_lshlrev_b32_e32 v59, 7, v59
	v_xor_b32_e32 v58, v59, v58
	v_mul_lo_u32 v58, v58, s23
	v_and_b32_e32 v59, 0x8000000, v58
	v_lshrrev_b32_e32 v60, 8, v58
	v_lshrrev_b16_e32 v61, 1, v60
	v_cmp_ne_u16_sdwa s[20:21], v59, v19 src0_sel:BYTE_3 src1_sel:DWORD
	v_bfe_i32 v61, v61, 0, 1
	v_lshrrev_b32_e32 v62, 18, v58
	v_cndmask_b32_e64 v59, 0, -1, s[20:21]
	v_bfe_i32 v50, v43, 7, 1
	v_bfe_i32 v62, v62, 0, 1
	v_lshlrev_b16_e32 v59, 8, v59
	v_lshlrev_b16_e32 v61, 8, v61
	v_or_b32_sdwa v63, v62, v59 dst_sel:WORD_1 dst_unused:UNUSED_PAD src0_sel:BYTE_0 src1_sel:DWORD
	v_or_b32_sdwa v64, v50, v61 dst_sel:DWORD dst_unused:UNUSED_PAD src0_sel:BYTE_0 src1_sel:DWORD
	v_or_b32_sdwa v63, v64, v63 dst_sel:DWORD dst_unused:UNUSED_PAD src0_sel:WORD_0 src1_sel:DWORD
	s_waitcnt vmcnt(6)
	v_xor_b32_e32 v56, v56, v63
	v_and_b32_e32 v63, 0xffffff00, v56
	v_sub_i16 v61, v63, v61 clamp
	v_lshlrev_b16_e32 v63, 8, v56
	v_lshlrev_b16_e32 v50, 8, v50
	v_and_b32_e32 v61, 0xffffff00, v61
	v_sub_i16 v50, v63, v50 clamp
	v_or_b32_sdwa v50, v50, v61 dst_sel:DWORD dst_unused:UNUSED_PAD src0_sel:BYTE_1 src1_sel:DWORD
	v_and_b32_sdwa v61, v56, s28 dst_sel:DWORD dst_unused:UNUSED_PAD src0_sel:WORD_1 src1_sel:DWORD
	v_sub_i16 v59, v61, v59 clamp
	v_lshlrev_b16_sdwa v56, v32, v56 dst_sel:DWORD dst_unused:UNUSED_PAD src0_sel:DWORD src1_sel:WORD_1
	v_lshlrev_b16_e32 v61, 8, v62
	v_and_b32_e32 v59, 0xffffff00, v59
	v_sub_i16 v56, v56, v61 clamp
	v_or_b32_sdwa v56, v56, v59 dst_sel:WORD_1 dst_unused:UNUSED_PAD src0_sel:BYTE_1 src1_sel:DWORD
	v_lshrrev_b16_e32 v60, 5, v60
	v_or_b32_sdwa v50, v50, v56 dst_sel:DWORD dst_unused:UNUSED_PAD src0_sel:WORD_0 src1_sel:DWORD
	v_and_b32_e32 v56, 0x80000000, v58
	v_cmp_ne_u16_sdwa s[20:21], v56, v19 src0_sel:BYTE_3 src1_sel:DWORD
	v_bfe_i32 v60, v60, 0, 1
	v_lshrrev_b32_e32 v58, 22, v58
	v_cndmask_b32_e64 v56, 0, -1, s[20:21]
	v_bfe_i32 v59, v43, 11, 1
	v_bfe_i32 v58, v58, 0, 1
	v_lshlrev_b16_e32 v56, 8, v56
	v_lshlrev_b16_e32 v60, 8, v60
	v_or_b32_sdwa v61, v58, v56 dst_sel:WORD_1 dst_unused:UNUSED_PAD src0_sel:BYTE_0 src1_sel:DWORD
	v_or_b32_sdwa v62, v59, v60 dst_sel:DWORD dst_unused:UNUSED_PAD src0_sel:BYTE_0 src1_sel:DWORD
	v_or_b32_sdwa v61, v62, v61 dst_sel:DWORD dst_unused:UNUSED_PAD src0_sel:WORD_0 src1_sel:DWORD
	s_waitcnt vmcnt(5)
	v_xor_b32_e32 v51, v51, v61
	v_and_b32_e32 v61, 0xffffff00, v51
	v_sub_i16 v60, v61, v60 clamp
	v_lshlrev_b16_e32 v61, 8, v51
	v_lshlrev_b16_e32 v59, 8, v59
	v_and_b32_e32 v60, 0xffffff00, v60
	v_sub_i16 v59, v61, v59 clamp
	v_or_b32_sdwa v59, v59, v60 dst_sel:DWORD dst_unused:UNUSED_PAD src0_sel:BYTE_1 src1_sel:DWORD
	v_and_b32_sdwa v60, v51, s28 dst_sel:DWORD dst_unused:UNUSED_PAD src0_sel:WORD_1 src1_sel:DWORD
	v_sub_i16 v56, v60, v56 clamp
	v_lshlrev_b16_sdwa v51, v32, v51 dst_sel:DWORD dst_unused:UNUSED_PAD src0_sel:DWORD src1_sel:WORD_1
	v_lshlrev_b16_e32 v58, 8, v58
	v_and_b32_e32 v56, 0xffffff00, v56
	v_sub_i16 v51, v51, v58 clamp
	v_and_b32_e32 v57, 0xffff0000, v43
	v_or_b32_sdwa v51, v51, v56 dst_sel:WORD_1 dst_unused:UNUSED_PAD src0_sel:BYTE_1 src1_sel:DWORD
	v_dot4c_i32_i8_e32 v39, v13, v15
	v_and_or_b32 v57, v43, s27, v57
	v_or_b32_sdwa v51, v59, v51 dst_sel:DWORD dst_unused:UNUSED_PAD src0_sel:WORD_0 src1_sel:DWORD
	v_dot4c_i32_i8_e32 v44, v50, v15
	v_dot4c_i32_i8_e32 v39, v14, v8
	;; [unrolled: 1-line block ×3, first 2 shown]
	v_bfe_u32 v8, v57, 14, 8
	v_bcnt_u32_b32 v15, v8, 0
	v_and_b32_e32 v15, 1, v15
	v_lshlrev_b32_e32 v15, 7, v15
	v_xor_b32_e32 v8, v15, v8
	v_mul_lo_u32 v8, v8, s23
	v_and_b32_e32 v15, 0x8000000, v8
	v_lshrrev_b32_e32 v56, 8, v8
	v_lshrrev_b16_e32 v57, 1, v56
	v_cmp_ne_u16_sdwa s[20:21], v15, v19 src0_sel:BYTE_3 src1_sel:DWORD
	v_bfe_i32 v57, v57, 0, 1
	v_lshrrev_b32_e32 v58, 18, v8
	v_cndmask_b32_e64 v15, 0, -1, s[20:21]
	v_bfe_i32 v58, v58, 0, 1
	v_lshlrev_b16_e32 v15, 8, v15
	v_lshlrev_b16_e32 v57, 8, v57
	v_or_b32_sdwa v59, v58, v15 dst_sel:WORD_1 dst_unused:UNUSED_PAD src0_sel:BYTE_0 src1_sel:DWORD
	v_or_b32_sdwa v60, v54, v57 dst_sel:DWORD dst_unused:UNUSED_PAD src0_sel:BYTE_0 src1_sel:DWORD
	v_or_b32_sdwa v59, v60, v59 dst_sel:DWORD dst_unused:UNUSED_PAD src0_sel:WORD_0 src1_sel:DWORD
	s_waitcnt vmcnt(4)
	v_xor_b32_e32 v55, v55, v59
	v_and_b32_e32 v59, 0xffffff00, v55
	v_sub_i16 v57, v59, v57 clamp
	v_lshlrev_b16_e32 v59, 8, v55
	v_lshlrev_b16_e32 v54, 8, v54
	v_and_b32_e32 v57, 0xffffff00, v57
	v_sub_i16 v54, v59, v54 clamp
	v_or_b32_sdwa v54, v54, v57 dst_sel:DWORD dst_unused:UNUSED_PAD src0_sel:BYTE_1 src1_sel:DWORD
	v_and_b32_sdwa v57, v55, s28 dst_sel:DWORD dst_unused:UNUSED_PAD src0_sel:WORD_1 src1_sel:DWORD
	v_sub_i16 v15, v57, v15 clamp
	v_lshlrev_b16_sdwa v55, v32, v55 dst_sel:DWORD dst_unused:UNUSED_PAD src0_sel:DWORD src1_sel:WORD_1
	v_lshlrev_b16_e32 v57, 8, v58
	v_and_b32_e32 v15, 0xffffff00, v15
	v_sub_i16 v55, v55, v57 clamp
	v_or_b32_sdwa v15, v55, v15 dst_sel:WORD_1 dst_unused:UNUSED_PAD src0_sel:BYTE_1 src1_sel:DWORD
	v_lshrrev_b16_e32 v56, 5, v56
	v_or_b32_sdwa v15, v54, v15 dst_sel:DWORD dst_unused:UNUSED_PAD src0_sel:WORD_0 src1_sel:DWORD
	v_and_b32_e32 v54, 0x80000000, v8
	v_cmp_ne_u16_sdwa s[20:21], v54, v19 src0_sel:BYTE_3 src1_sel:DWORD
	v_lshrrev_b32_e32 v49, 16, v43
	v_bfe_i32 v56, v56, 0, 1
	v_lshrrev_b32_e32 v8, 22, v8
	v_cndmask_b32_e64 v54, 0, -1, s[20:21]
	v_bfe_i32 v55, v49, 2, 1
	v_bfe_i32 v8, v8, 0, 1
	v_lshlrev_b16_e32 v54, 8, v54
	v_lshlrev_b16_e32 v56, 8, v56
	v_or_b32_sdwa v57, v8, v54 dst_sel:WORD_1 dst_unused:UNUSED_PAD src0_sel:BYTE_0 src1_sel:DWORD
	v_or_b32_sdwa v58, v55, v56 dst_sel:DWORD dst_unused:UNUSED_PAD src0_sel:BYTE_0 src1_sel:DWORD
	v_or_b32_sdwa v57, v58, v57 dst_sel:DWORD dst_unused:UNUSED_PAD src0_sel:WORD_0 src1_sel:DWORD
	s_waitcnt vmcnt(3)
	v_xor_b32_e32 v52, v52, v57
	v_and_b32_e32 v57, 0xffffff00, v52
	v_sub_i16 v56, v57, v56 clamp
	v_lshlrev_b16_e32 v57, 8, v52
	v_lshlrev_b16_e32 v55, 8, v55
	v_and_b32_e32 v56, 0xffffff00, v56
	v_sub_i16 v55, v57, v55 clamp
	v_or_b32_sdwa v55, v55, v56 dst_sel:DWORD dst_unused:UNUSED_PAD src0_sel:BYTE_1 src1_sel:DWORD
	v_and_b32_sdwa v56, v52, s28 dst_sel:DWORD dst_unused:UNUSED_PAD src0_sel:WORD_1 src1_sel:DWORD
	v_sub_i16 v54, v56, v54 clamp
	v_lshlrev_b16_sdwa v52, v32, v52 dst_sel:DWORD dst_unused:UNUSED_PAD src0_sel:DWORD src1_sel:WORD_1
	v_lshlrev_b16_e32 v8, 8, v8
	v_and_b32_e32 v54, 0xffffff00, v54
	v_sub_i16 v8, v52, v8 clamp
	v_or_b32_sdwa v8, v8, v54 dst_sel:WORD_1 dst_unused:UNUSED_PAD src0_sel:BYTE_1 src1_sel:DWORD
	v_dot4c_i32_i8_e32 v39, v40, v9
	v_or_b32_sdwa v52, v55, v8 dst_sel:DWORD dst_unused:UNUSED_PAD src0_sel:WORD_0 src1_sel:DWORD
	v_bfe_u32 v8, v43, 21, 8
	v_dot4c_i32_i8_e32 v44, v15, v9
	v_bcnt_u32_b32 v9, v8, 0
	v_and_b32_e32 v9, 1, v9
	v_lshlrev_b32_e32 v9, 7, v9
	v_xor_b32_e32 v8, v9, v8
	v_mul_lo_u32 v8, v8, s23
	v_and_b32_e32 v55, 0x8000000, v8
	v_lshrrev_b32_e32 v9, 8, v8
	v_dot4c_i32_i8_e32 v39, v42, v10
	v_dot4c_i32_i8_e32 v44, v52, v10
	v_lshrrev_b16_e32 v10, 1, v9
	v_cmp_ne_u16_sdwa s[20:21], v55, v19 src0_sel:BYTE_3 src1_sel:DWORD
	v_bfe_i32 v56, v10, 0, 1
	v_lshrrev_b32_e32 v10, 18, v8
	v_cndmask_b32_e64 v55, 0, -1, s[20:21]
	v_bfe_i32 v54, v49, 5, 1
	v_bfe_i32 v10, v10, 0, 1
	v_lshlrev_b16_e32 v55, 8, v55
	v_lshlrev_b16_e32 v56, 8, v56
	v_or_b32_sdwa v57, v10, v55 dst_sel:WORD_1 dst_unused:UNUSED_PAD src0_sel:BYTE_0 src1_sel:DWORD
	v_or_b32_sdwa v58, v54, v56 dst_sel:DWORD dst_unused:UNUSED_PAD src0_sel:BYTE_0 src1_sel:DWORD
	v_or_b32_sdwa v57, v58, v57 dst_sel:DWORD dst_unused:UNUSED_PAD src0_sel:WORD_0 src1_sel:DWORD
	s_waitcnt vmcnt(2)
	v_xor_b32_e32 v53, v53, v57
	v_and_b32_e32 v57, 0xffffff00, v53
	v_sub_i16 v56, v57, v56 clamp
	v_lshlrev_b16_e32 v57, 8, v53
	v_lshlrev_b16_e32 v54, 8, v54
	v_and_b32_e32 v56, 0xffffff00, v56
	v_sub_i16 v54, v57, v54 clamp
	v_or_b32_sdwa v54, v54, v56 dst_sel:DWORD dst_unused:UNUSED_PAD src0_sel:BYTE_1 src1_sel:DWORD
	v_and_b32_sdwa v56, v53, s28 dst_sel:DWORD dst_unused:UNUSED_PAD src0_sel:WORD_1 src1_sel:DWORD
	v_lshlrev_b16_sdwa v53, v32, v53 dst_sel:DWORD dst_unused:UNUSED_PAD src0_sel:DWORD src1_sel:WORD_1
	v_lshlrev_b16_e32 v10, 8, v10
	v_sub_i16 v10, v53, v10 clamp
	v_and_b32_e32 v53, 0x80000000, v8
	v_sub_i16 v55, v56, v55 clamp
	v_lshrrev_b16_e32 v9, 5, v9
	v_cmp_ne_u16_sdwa s[20:21], v53, v19 src0_sel:BYTE_3 src1_sel:DWORD
	v_and_b32_e32 v55, 0xffffff00, v55
	v_bfe_i32 v9, v9, 0, 1
	v_lshrrev_b32_e32 v8, 22, v8
	v_cndmask_b32_e64 v53, 0, -1, s[20:21]
	v_or_b32_sdwa v10, v10, v55 dst_sel:WORD_1 dst_unused:UNUSED_PAD src0_sel:BYTE_1 src1_sel:DWORD
	v_bfe_i32 v49, v49, 9, 1
	v_bfe_i32 v8, v8, 0, 1
	v_lshlrev_b16_e32 v53, 8, v53
	v_lshlrev_b16_e32 v9, 8, v9
	v_or_b32_sdwa v10, v54, v10 dst_sel:DWORD dst_unused:UNUSED_PAD src0_sel:WORD_0 src1_sel:DWORD
	v_or_b32_sdwa v54, v8, v53 dst_sel:WORD_1 dst_unused:UNUSED_PAD src0_sel:BYTE_0 src1_sel:DWORD
	v_or_b32_sdwa v55, v49, v9 dst_sel:DWORD dst_unused:UNUSED_PAD src0_sel:BYTE_0 src1_sel:DWORD
	v_or_b32_sdwa v54, v55, v54 dst_sel:DWORD dst_unused:UNUSED_PAD src0_sel:WORD_0 src1_sel:DWORD
	s_waitcnt vmcnt(1)
	v_xor_b32_e32 v45, v45, v54
	v_and_b32_e32 v54, 0xffffff00, v45
	v_sub_i16 v9, v54, v9 clamp
	v_lshlrev_b16_e32 v54, 8, v45
	v_lshlrev_b16_e32 v49, 8, v49
	v_and_b32_e32 v9, 0xffffff00, v9
	v_sub_i16 v49, v54, v49 clamp
	v_or_b32_sdwa v9, v49, v9 dst_sel:DWORD dst_unused:UNUSED_PAD src0_sel:BYTE_1 src1_sel:DWORD
	v_and_b32_sdwa v49, v45, s28 dst_sel:DWORD dst_unused:UNUSED_PAD src0_sel:WORD_1 src1_sel:DWORD
	v_sub_i16 v49, v49, v53 clamp
	v_lshlrev_b16_sdwa v45, v32, v45 dst_sel:DWORD dst_unused:UNUSED_PAD src0_sel:DWORD src1_sel:WORD_1
	v_lshlrev_b16_e32 v8, 8, v8
	v_and_b32_e32 v49, 0xffffff00, v49
	v_sub_i16 v8, v45, v8 clamp
	v_dot4c_i32_i8_e32 v39, v46, v11
	v_or_b32_sdwa v8, v8, v49 dst_sel:WORD_1 dst_unused:UNUSED_PAD src0_sel:BYTE_1 src1_sel:DWORD
	v_dot4c_i32_i8_e32 v39, v47, v37
	v_or_b32_sdwa v45, v9, v8 dst_sel:DWORD dst_unused:UNUSED_PAD src0_sel:WORD_0 src1_sel:DWORD
	v_dot4c_i32_i8_e32 v44, v10, v11
	v_dot4c_i32_i8_e32 v44, v45, v37
	v_lshrrev_b32_e32 v8, 31, v39
	v_add_u32_e32 v8, v39, v8
	v_lshrrev_b32_e32 v11, 28, v38
	v_lshrrev_b32_e32 v9, 31, v44
	v_ashrrev_i32_e32 v8, 1, v8
	v_add_u32_e32 v9, v44, v9
	v_ashrrev_i32_e32 v38, 1, v9
	v_mad_u64_u32 v[8:9], s[20:21], v39, v11, v[8:9]
	v_lshrrev_b32_e32 v37, 28, v43
	v_lshrrev_b32_e32 v9, 31, v8
	v_mad_u64_u32 v[54:55], s[20:21], v44, v37, v[38:39]
	v_add_u32_e32 v8, v8, v9
	v_ashrrev_i32_e32 v43, 1, v8
	v_lshrrev_b32_e32 v8, 31, v54
	v_add_u32_e32 v8, v54, v8
	v_ashrrev_i32_e32 v44, 1, v8
	s_waitcnt vmcnt(0)
	v_cvt_f32_f16_e32 v9, v48
	v_cvt_f32_f16_e32 v8, v41
	v_cvt_f32_i32_e32 v49, v44
	v_cvt_f32_i32_e32 v48, v43
	v_mov_b32_e32 v43, 0
	v_pk_mul_f32 v[38:39], v[12:13], v[8:9] op_sel_hi:[0,1]
	v_add_u32_e32 v12, s9, v30
	v_pk_fma_f32 v[4:5], v[38:39], v[48:49], v[4:5]
	v_mad_u64_u32 v[38:39], s[20:21], v12, 36, s[24:25]
	v_mad_u64_u32 v[38:39], s[20:21], v20, 36, v[38:39]
	global_load_dword v41, v[38:39], off offset:32
	global_load_dwordx4 v[54:57], v[38:39], off offset:16
	global_load_dwordx4 v[58:61], v[38:39], off
	v_mov_b32_e32 v39, 0
	s_waitcnt vmcnt(0)
	v_dot4c_i32_i8_e32 v39, v33, v59
	v_dot4c_i32_i8_e32 v39, v34, v60
	;; [unrolled: 1-line block ×16, first 2 shown]
	v_lshrrev_b32_e32 v38, 31, v39
	v_add_u32_e32 v38, v39, v38
	v_ashrrev_i32_e32 v38, 1, v38
	v_lshrrev_b32_e32 v41, 31, v43
	v_add_u32_e32 v41, v43, v41
	v_mad_u64_u32 v[38:39], s[20:21], v39, v11, v[38:39]
	v_ashrrev_i32_e32 v44, 1, v41
	v_lshrrev_b32_e32 v39, 31, v38
	v_mad_u64_u32 v[48:49], s[20:21], v43, v37, v[44:45]
	v_add_u32_e32 v38, v38, v39
	v_ashrrev_i32_e32 v41, 1, v38
	v_lshrrev_b32_e32 v38, 31, v48
	v_add_u32_e32 v38, v48, v38
	v_cvt_f32_f16_e32 v12, v58
	v_ashrrev_i32_e32 v43, 1, v38
	v_cvt_f32_i32_e32 v49, v43
	v_cvt_f32_i32_e32 v48, v41
	v_pk_mul_f32 v[38:39], v[12:13], v[8:9] op_sel_hi:[0,1]
	v_add_u32_e32 v12, s11, v30
	v_mov_b32_e32 v43, 0
	v_pk_fma_f32 v[6:7], v[38:39], v[48:49], v[6:7]
	v_mad_u64_u32 v[38:39], s[20:21], v12, 36, s[24:25]
	v_mad_u64_u32 v[38:39], s[20:21], v20, 36, v[38:39]
	global_load_dword v41, v[38:39], off offset:32
	global_load_dwordx4 v[54:57], v[38:39], off offset:16
	global_load_dwordx4 v[58:61], v[38:39], off
	v_mov_b32_e32 v39, 0
	s_waitcnt vmcnt(0)
	v_dot4c_i32_i8_e32 v39, v33, v59
	v_dot4c_i32_i8_e32 v39, v34, v60
	;; [unrolled: 1-line block ×16, first 2 shown]
	v_lshrrev_b32_e32 v38, 31, v39
	v_add_u32_e32 v38, v39, v38
	v_ashrrev_i32_e32 v38, 1, v38
	v_lshrrev_b32_e32 v41, 31, v43
	v_add_u32_e32 v41, v43, v41
	v_mad_u64_u32 v[38:39], s[20:21], v39, v11, v[38:39]
	v_ashrrev_i32_e32 v44, 1, v41
	v_lshrrev_b32_e32 v39, 31, v38
	v_mad_u64_u32 v[48:49], s[20:21], v43, v37, v[44:45]
	v_add_u32_e32 v38, v38, v39
	v_ashrrev_i32_e32 v41, 1, v38
	v_lshrrev_b32_e32 v38, 31, v48
	v_add_u32_e32 v38, v48, v38
	v_cvt_f32_f16_e32 v12, v58
	v_ashrrev_i32_e32 v43, 1, v38
	v_cvt_f32_i32_e32 v49, v43
	v_cvt_f32_i32_e32 v48, v41
	v_pk_mul_f32 v[38:39], v[12:13], v[8:9] op_sel_hi:[0,1]
	v_add_u32_e32 v12, s15, v30
	v_mov_b32_e32 v43, 0
	v_pk_fma_f32 v[0:1], v[38:39], v[48:49], v[0:1]
	v_mad_u64_u32 v[38:39], s[20:21], v12, 36, s[24:25]
	v_mad_u64_u32 v[38:39], s[20:21], v20, 36, v[38:39]
	global_load_dword v41, v[38:39], off offset:32
	global_load_dwordx4 v[54:57], v[38:39], off offset:16
	global_load_dwordx4 v[58:61], v[38:39], off
	v_mov_b32_e32 v39, 0
	s_waitcnt vmcnt(0)
	v_dot4c_i32_i8_e32 v39, v33, v59
	v_dot4c_i32_i8_e32 v39, v34, v60
	;; [unrolled: 1-line block ×16, first 2 shown]
	v_lshrrev_b32_e32 v38, 31, v39
	v_add_u32_e32 v38, v39, v38
	v_ashrrev_i32_e32 v38, 1, v38
	v_lshrrev_b32_e32 v41, 31, v43
	v_add_u32_e32 v41, v43, v41
	v_mad_u64_u32 v[38:39], s[20:21], v39, v11, v[38:39]
	v_ashrrev_i32_e32 v44, 1, v41
	v_lshrrev_b32_e32 v39, 31, v38
	v_mad_u64_u32 v[48:49], s[20:21], v43, v37, v[44:45]
	v_add_u32_e32 v38, v38, v39
	v_ashrrev_i32_e32 v41, 1, v38
	v_lshrrev_b32_e32 v38, 31, v48
	v_add_u32_e32 v38, v48, v38
	v_cvt_f32_f16_e32 v12, v58
	v_ashrrev_i32_e32 v43, 1, v38
	v_cvt_f32_i32_e32 v49, v43
	v_cvt_f32_i32_e32 v48, v41
	v_pk_mul_f32 v[38:39], v[12:13], v[8:9] op_sel_hi:[0,1]
	v_add_u32_e32 v12, s19, v30
	v_add_u32_e32 v30, 64, v30
	v_pk_fma_f32 v[2:3], v[38:39], v[48:49], v[2:3]
	v_mad_u64_u32 v[38:39], s[20:21], v12, 36, s[24:25]
	v_mad_u64_u32 v[38:39], s[20:21], v20, 36, v[38:39]
	global_load_dword v41, v[38:39], off offset:32
	global_load_dwordx4 v[54:57], v[38:39], off offset:16
	global_load_dwordx4 v[58:61], v[38:39], off
	v_mov_b32_e32 v38, 0
	s_waitcnt vmcnt(0)
	v_dot4c_i32_i8_e32 v38, v33, v59
	v_mov_b32_e32 v33, 0
	v_dot4c_i32_i8_e32 v38, v34, v60
	v_dot4c_i32_i8_e32 v33, v35, v59
	;; [unrolled: 1-line block ×15, first 2 shown]
	v_cvt_f32_f16_e32 v12, v58
	v_lshrrev_b32_e32 v10, 31, v38
	v_add_u32_e32 v10, v38, v10
	v_lshrrev_b32_e32 v13, 31, v33
	v_ashrrev_i32_e32 v10, 1, v10
	v_add_u32_e32 v13, v33, v13
	v_ashrrev_i32_e32 v14, 1, v13
	v_mad_u64_u32 v[10:11], s[20:21], v38, v11, v[10:11]
	v_mad_u64_u32 v[14:15], s[20:21], v33, v37, v[14:15]
	v_lshrrev_b32_e32 v11, 31, v10
	v_add_u32_e32 v10, v10, v11
	v_lshrrev_b32_e32 v11, 31, v14
	v_add_u32_e32 v11, v14, v11
	v_ashrrev_i32_e32 v10, 1, v10
	v_ashrrev_i32_e32 v11, 1, v11
	v_cvt_f32_i32_e32 v11, v11
	v_cvt_f32_i32_e32 v10, v10
	v_pk_mul_f32 v[8:9], v[12:13], v[8:9] op_sel_hi:[0,1]
	v_pk_fma_f32 v[28:29], v[8:9], v[10:11], v[28:29]
	s_andn2_b64 exec, exec, s[12:13]
	s_cbranch_execnz .LBB200_2
; %bb.3:
	s_or_b64 exec, exec, s[12:13]
	scratch_store_dwordx4 off, v[4:7], off
	scratch_store_dwordx4 off, v[0:3], off offset:16
	scratch_store_dwordx2 off, v[28:29], off offset:32
.LBB200_4:
	s_or_b64 exec, exec, s[6:7]
	s_mov_b32 s5, 0
	v_cmp_eq_u32_e32 vcc, 0, v17
	s_waitcnt lgkmcnt(0)
	; wave barrier
	s_and_saveexec_b64 s[6:7], vcc
	s_cbranch_execz .LBB200_15
; %bb.5:
	scratch_load_dwordx2 v[2:3], off, off
	v_mbcnt_lo_u32_b32 v0, -1, 0
	v_mbcnt_hi_u32_b32 v12, -1, v0
	s_load_dwordx2 s[6:7], s[0:1], 0x38
	s_mul_i32 s0, s3, s14
	v_or_b32_e32 v1, s2, v16
	v_and_b32_e32 v0, 64, v12
	s_mul_i32 s4, s4, s18
	s_add_i32 s2, s0, s2
	v_cmp_gt_u32_e64 s[0:1], s10, v1
	v_xor_b32_e32 v1, 32, v12
	v_add_u32_e32 v13, 64, v0
	s_add_i32 s4, s2, s4
	v_cmp_lt_i32_e64 s[2:3], v1, v13
	v_cmp_gt_u32_e32 vcc, 2, v16
	s_nop 0
	v_cndmask_b32_e64 v0, v12, v1, s[2:3]
	v_lshlrev_b32_e32 v0, 2, v0
	v_xor_b32_e32 v1, 16, v12
	v_cmp_lt_i32_e64 s[2:3], v1, v13
	s_waitcnt vmcnt(0)
	ds_bpermute_b32 v4, v0, v2
	ds_bpermute_b32 v5, v0, v3
	v_cndmask_b32_e64 v1, v12, v1, s[2:3]
	v_lshlrev_b32_e32 v1, 2, v1
	s_waitcnt lgkmcnt(0)
	v_pk_add_f32 v[4:5], v[2:3], v[4:5]
	ds_bpermute_b32 v6, v1, v4
	ds_bpermute_b32 v7, v1, v5
	v_xor_b32_e32 v2, 8, v12
	v_cmp_lt_i32_e64 s[2:3], v2, v13
	v_xor_b32_e32 v3, 4, v12
	s_waitcnt lgkmcnt(0)
	v_pk_add_f32 v[4:5], v[4:5], v[6:7]
	v_cndmask_b32_e64 v2, v12, v2, s[2:3]
	v_lshlrev_b32_e32 v2, 2, v2
	ds_bpermute_b32 v6, v2, v4
	ds_bpermute_b32 v7, v2, v5
	v_cmp_lt_i32_e64 s[2:3], v3, v13
	s_waitcnt lgkmcnt(0)
	v_pk_add_f32 v[6:7], v[4:5], v[6:7]
	v_cndmask_b32_e64 v3, v12, v3, s[2:3]
	v_lshlrev_b32_e32 v3, 2, v3
	ds_bpermute_b32 v8, v3, v6
	ds_bpermute_b32 v9, v3, v7
	v_xor_b32_e32 v4, 2, v12
	v_cmp_lt_i32_e64 s[2:3], v4, v13
	v_xor_b32_e32 v5, 1, v12
	s_waitcnt lgkmcnt(0)
	v_pk_add_f32 v[8:9], v[6:7], v[8:9]
	v_cndmask_b32_e64 v4, v12, v4, s[2:3]
	v_lshlrev_b32_e32 v4, 2, v4
	ds_bpermute_b32 v10, v4, v8
	ds_bpermute_b32 v11, v4, v9
	v_cmp_lt_i32_e64 s[2:3], v5, v13
	s_waitcnt lgkmcnt(0)
	v_pk_add_f32 v[8:9], v[8:9], v[10:11]
	v_cndmask_b32_e64 v5, v12, v5, s[2:3]
	v_lshlrev_b32_e32 v6, 2, v5
	ds_bpermute_b32 v10, v6, v8
	ds_bpermute_b32 v11, v6, v9
	s_lshl_b64 s[2:3], s[4:5], 2
	s_add_u32 s2, s6, s2
	s_addc_u32 s3, s7, s3
	s_and_b64 s[0:1], vcc, s[0:1]
	s_waitcnt lgkmcnt(0)
	v_pk_add_f32 v[8:9], v[8:9], v[10:11]
	v_lshlrev_b32_e32 v5, 2, v16
	scratch_store_dwordx2 off, v[8:9], off
	s_and_saveexec_b64 s[4:5], s[0:1]
	s_cbranch_execz .LBB200_7
; %bb.6:
	scratch_load_dword v7, v5, off
	s_waitcnt vmcnt(0)
	global_store_dword v5, v7, s[2:3]
.LBB200_7:
	s_or_b64 exec, exec, s[4:5]
	scratch_load_dwordx2 v[8:9], off, off offset:8
	s_waitcnt vmcnt(0)
	ds_bpermute_b32 v10, v0, v8
	ds_bpermute_b32 v11, v0, v9
	s_waitcnt lgkmcnt(0)
	v_pk_add_f32 v[8:9], v[8:9], v[10:11]
	ds_bpermute_b32 v10, v1, v8
	ds_bpermute_b32 v11, v1, v9
	s_waitcnt lgkmcnt(0)
	v_pk_add_f32 v[8:9], v[8:9], v[10:11]
	;; [unrolled: 4-line block ×6, first 2 shown]
	scratch_store_dwordx2 off, v[8:9], off offset:8
	s_and_saveexec_b64 s[4:5], s[0:1]
	s_cbranch_execz .LBB200_9
; %bb.8:
	scratch_load_dword v7, v5, off offset:8
	v_add_u32_e32 v8, s10, v16
	v_mov_b32_e32 v9, 0
	v_lshl_add_u64 v[8:9], v[8:9], 2, s[2:3]
	s_waitcnt vmcnt(0)
	global_store_dword v[8:9], v7, off
.LBB200_9:
	s_or_b64 exec, exec, s[4:5]
	scratch_load_dwordx2 v[8:9], off, off offset:16
	s_waitcnt vmcnt(0)
	ds_bpermute_b32 v10, v0, v8
	ds_bpermute_b32 v11, v0, v9
	s_waitcnt lgkmcnt(0)
	v_pk_add_f32 v[8:9], v[8:9], v[10:11]
	ds_bpermute_b32 v10, v1, v8
	ds_bpermute_b32 v11, v1, v9
	s_waitcnt lgkmcnt(0)
	v_pk_add_f32 v[8:9], v[8:9], v[10:11]
	;; [unrolled: 4-line block ×6, first 2 shown]
	scratch_store_dwordx2 off, v[8:9], off offset:16
	s_and_saveexec_b64 s[4:5], s[0:1]
	s_cbranch_execz .LBB200_11
; %bb.10:
	scratch_load_dword v7, v5, off offset:16
	v_lshl_or_b32 v8, s10, 1, v16
	v_mov_b32_e32 v9, 0
	v_lshl_add_u64 v[8:9], v[8:9], 2, s[2:3]
	s_waitcnt vmcnt(0)
	global_store_dword v[8:9], v7, off
.LBB200_11:
	s_or_b64 exec, exec, s[4:5]
	scratch_load_dwordx2 v[8:9], off, off offset:24
	s_waitcnt vmcnt(0)
	ds_bpermute_b32 v10, v0, v8
	ds_bpermute_b32 v11, v0, v9
	s_waitcnt lgkmcnt(0)
	v_pk_add_f32 v[8:9], v[8:9], v[10:11]
	ds_bpermute_b32 v10, v1, v8
	ds_bpermute_b32 v11, v1, v9
	s_waitcnt lgkmcnt(0)
	v_pk_add_f32 v[8:9], v[8:9], v[10:11]
	;; [unrolled: 4-line block ×6, first 2 shown]
	scratch_store_dwordx2 off, v[8:9], off offset:24
	s_and_saveexec_b64 s[4:5], s[0:1]
	s_cbranch_execz .LBB200_13
; %bb.12:
	scratch_load_dword v7, v5, off offset:24
	v_mad_u64_u32 v[8:9], s[6:7], s10, 3, v[16:17]
	v_mov_b32_e32 v9, 0
	v_lshl_add_u64 v[8:9], v[8:9], 2, s[2:3]
	s_waitcnt vmcnt(0)
	global_store_dword v[8:9], v7, off
.LBB200_13:
	s_or_b64 exec, exec, s[4:5]
	scratch_load_dwordx2 v[8:9], off, off offset:32
	s_waitcnt vmcnt(0)
	ds_bpermute_b32 v10, v0, v8
	ds_bpermute_b32 v11, v0, v9
	s_waitcnt lgkmcnt(0)
	v_pk_add_f32 v[8:9], v[8:9], v[10:11]
	ds_bpermute_b32 v0, v1, v8
	ds_bpermute_b32 v1, v1, v9
	s_waitcnt lgkmcnt(0)
	v_pk_add_f32 v[0:1], v[8:9], v[0:1]
	;; [unrolled: 4-line block ×6, first 2 shown]
	scratch_store_dwordx2 off, v[0:1], off offset:32
	s_and_b64 exec, exec, s[0:1]
	s_cbranch_execz .LBB200_15
; %bb.14:
	scratch_load_dword v2, v5, off offset:32
	v_lshl_or_b32 v0, s10, 2, v16
	v_mov_b32_e32 v1, 0
	v_lshl_add_u64 v[0:1], v[0:1], 2, s[2:3]
	s_waitcnt vmcnt(0)
	global_store_dword v[0:1], v2, off
.LBB200_15:
	s_endpgm
	.section	.rodata,"a",@progbits
	.p2align	6, 0x0
	.amdhsa_kernel _ZL13mul_mat_vec_qIL9ggml_type18ELi5ELb0ELb0EEvPKvS2_PKi31ggml_cuda_mm_fusion_args_devicePfj15HIP_vector_typeIjLj3EEjjjS8_jjjS8_jjjj
		.amdhsa_group_segment_fixed_size 0
		.amdhsa_private_segment_fixed_size 48
		.amdhsa_kernarg_size 144
		.amdhsa_user_sgpr_count 2
		.amdhsa_user_sgpr_dispatch_ptr 0
		.amdhsa_user_sgpr_queue_ptr 0
		.amdhsa_user_sgpr_kernarg_segment_ptr 1
		.amdhsa_user_sgpr_dispatch_id 0
		.amdhsa_user_sgpr_kernarg_preload_length 0
		.amdhsa_user_sgpr_kernarg_preload_offset 0
		.amdhsa_user_sgpr_private_segment_size 0
		.amdhsa_uses_dynamic_stack 0
		.amdhsa_enable_private_segment 1
		.amdhsa_system_sgpr_workgroup_id_x 1
		.amdhsa_system_sgpr_workgroup_id_y 1
		.amdhsa_system_sgpr_workgroup_id_z 1
		.amdhsa_system_sgpr_workgroup_info 0
		.amdhsa_system_vgpr_workitem_id 1
		.amdhsa_next_free_vgpr 68
		.amdhsa_next_free_sgpr 32
		.amdhsa_accum_offset 68
		.amdhsa_reserve_vcc 1
		.amdhsa_float_round_mode_32 0
		.amdhsa_float_round_mode_16_64 0
		.amdhsa_float_denorm_mode_32 3
		.amdhsa_float_denorm_mode_16_64 3
		.amdhsa_dx10_clamp 1
		.amdhsa_ieee_mode 1
		.amdhsa_fp16_overflow 0
		.amdhsa_tg_split 0
		.amdhsa_exception_fp_ieee_invalid_op 0
		.amdhsa_exception_fp_denorm_src 0
		.amdhsa_exception_fp_ieee_div_zero 0
		.amdhsa_exception_fp_ieee_overflow 0
		.amdhsa_exception_fp_ieee_underflow 0
		.amdhsa_exception_fp_ieee_inexact 0
		.amdhsa_exception_int_div_zero 0
	.end_amdhsa_kernel
	.section	.text._ZL13mul_mat_vec_qIL9ggml_type18ELi5ELb0ELb0EEvPKvS2_PKi31ggml_cuda_mm_fusion_args_devicePfj15HIP_vector_typeIjLj3EEjjjS8_jjjS8_jjjj,"axG",@progbits,_ZL13mul_mat_vec_qIL9ggml_type18ELi5ELb0ELb0EEvPKvS2_PKi31ggml_cuda_mm_fusion_args_devicePfj15HIP_vector_typeIjLj3EEjjjS8_jjjS8_jjjj,comdat
.Lfunc_end200:
	.size	_ZL13mul_mat_vec_qIL9ggml_type18ELi5ELb0ELb0EEvPKvS2_PKi31ggml_cuda_mm_fusion_args_devicePfj15HIP_vector_typeIjLj3EEjjjS8_jjjS8_jjjj, .Lfunc_end200-_ZL13mul_mat_vec_qIL9ggml_type18ELi5ELb0ELb0EEvPKvS2_PKi31ggml_cuda_mm_fusion_args_devicePfj15HIP_vector_typeIjLj3EEjjjS8_jjjS8_jjjj
                                        ; -- End function
	.section	.AMDGPU.csdata,"",@progbits
; Kernel info:
; codeLenInByte = 7004
; NumSgprs: 38
; NumVgprs: 68
; NumAgprs: 0
; TotalNumVgprs: 68
; ScratchSize: 48
; MemoryBound: 0
; FloatMode: 240
; IeeeMode: 1
; LDSByteSize: 0 bytes/workgroup (compile time only)
; SGPRBlocks: 4
; VGPRBlocks: 8
; NumSGPRsForWavesPerEU: 38
; NumVGPRsForWavesPerEU: 68
; AccumOffset: 68
; Occupancy: 7
; WaveLimiterHint : 0
; COMPUTE_PGM_RSRC2:SCRATCH_EN: 1
; COMPUTE_PGM_RSRC2:USER_SGPR: 2
; COMPUTE_PGM_RSRC2:TRAP_HANDLER: 0
; COMPUTE_PGM_RSRC2:TGID_X_EN: 1
; COMPUTE_PGM_RSRC2:TGID_Y_EN: 1
; COMPUTE_PGM_RSRC2:TGID_Z_EN: 1
; COMPUTE_PGM_RSRC2:TIDIG_COMP_CNT: 1
; COMPUTE_PGM_RSRC3_GFX90A:ACCUM_OFFSET: 16
; COMPUTE_PGM_RSRC3_GFX90A:TG_SPLIT: 0
	.section	.text._ZL13mul_mat_vec_qIL9ggml_type18ELi6ELb0ELb0EEvPKvS2_PKi31ggml_cuda_mm_fusion_args_devicePfj15HIP_vector_typeIjLj3EEjjjS8_jjjS8_jjjj,"axG",@progbits,_ZL13mul_mat_vec_qIL9ggml_type18ELi6ELb0ELb0EEvPKvS2_PKi31ggml_cuda_mm_fusion_args_devicePfj15HIP_vector_typeIjLj3EEjjjS8_jjjS8_jjjj,comdat
	.globl	_ZL13mul_mat_vec_qIL9ggml_type18ELi6ELb0ELb0EEvPKvS2_PKi31ggml_cuda_mm_fusion_args_devicePfj15HIP_vector_typeIjLj3EEjjjS8_jjjS8_jjjj ; -- Begin function _ZL13mul_mat_vec_qIL9ggml_type18ELi6ELb0ELb0EEvPKvS2_PKi31ggml_cuda_mm_fusion_args_devicePfj15HIP_vector_typeIjLj3EEjjjS8_jjjS8_jjjj
	.p2align	8
	.type	_ZL13mul_mat_vec_qIL9ggml_type18ELi6ELb0ELb0EEvPKvS2_PKi31ggml_cuda_mm_fusion_args_devicePfj15HIP_vector_typeIjLj3EEjjjS8_jjjS8_jjjj,@function
_ZL13mul_mat_vec_qIL9ggml_type18ELi6ELb0ELb0EEvPKvS2_PKi31ggml_cuda_mm_fusion_args_devicePfj15HIP_vector_typeIjLj3EEjjjS8_jjjS8_jjjj: ; @_ZL13mul_mat_vec_qIL9ggml_type18ELi6ELb0ELb0EEvPKvS2_PKi31ggml_cuda_mm_fusion_args_devicePfj15HIP_vector_typeIjLj3EEjjjS8_jjjS8_jjjj
; %bb.0:
	v_bfe_u32 v21, v0, 10, 10
	v_and_b32_e32 v20, 0x3ff, v0
	s_mov_b32 s20, 0
	s_load_dword s5, s[0:1], 0x40
	s_load_dwordx4 s[8:11], s[0:1], 0x50
	s_load_dword s27, s[0:1], 0x60
	s_load_dwordx4 s[12:15], s[0:1], 0x68
	;; [unrolled: 2-line block ×3, first 2 shown]
	v_lshl_or_b32 v4, v21, 6, v20
	s_mov_b32 s21, s20
	s_waitcnt lgkmcnt(0)
	s_lshr_b32 s5, s5, 8
	s_mov_b32 s22, s20
	s_mov_b32 s23, s20
	v_mov_b64_e32 v[0:1], s[20:21]
	v_lshrrev_b32_e32 v25, 3, v4
	s_lshl_b32 s2, s2, 1
	v_mov_b64_e32 v[2:3], s[22:23]
	v_cmp_gt_u32_e32 vcc, s5, v25
	scratch_store_dwordx4 off, v[0:3], off offset:32
	scratch_store_dwordx4 off, v[0:3], off offset:16
	scratch_store_dwordx4 off, v[0:3], off
	s_and_saveexec_b64 s[6:7], vcc
	s_cbranch_execz .LBB201_4
; %bb.1:
	s_load_dwordx4 s[20:23], s[0:1], 0x0
	s_mul_i32 s17, s4, s17
	s_mul_i32 s24, s17, 36
	;; [unrolled: 1-line block ×3, first 2 shown]
	s_mul_hi_u32 s19, s17, 36
	s_waitcnt lgkmcnt(0)
	s_add_u32 s24, s22, s24
	s_addc_u32 s19, s23, s19
	s_mul_i32 s28, s13, 36
	s_mul_hi_u32 s29, s13, 36
	s_add_u32 s24, s24, s28
	s_mul_hi_u32 s11, s11, s3
	s_addc_u32 s25, s19, s29
	s_add_i32 s11, s3, s11
	s_lshr_b32 s11, s11, s27
	s_mul_i32 s12, s11, s12
	s_mul_hi_u32 s11, s15, s4
	s_add_i32 s11, s4, s11
	s_lshr_b32 s11, s11, s26
	s_mul_i32 s13, s11, s16
	s_add_i32 s12, s13, s12
	s_add_i32 s13, s2, 1
	s_mul_i32 s16, s2, s8
	s_mul_i32 s8, s8, s13
	v_lshl_add_u32 v1, v21, 6, v20
	s_add_i32 s27, s12, s16
	s_add_i32 s8, s12, s8
	v_lshrrev_b32_e32 v1, 3, v1
	s_movk_i32 s12, 0x120
	v_mov_b64_e32 v[4:5], s[28:29]
	v_mad_u64_u32 v[4:5], s[12:13], v1, s12, v[4:5]
	v_lshlrev_b32_e32 v0, 1, v20
	v_and_b32_e32 v24, 7, v20
	v_mad_u64_u32 v[4:5], s[12:13], s17, 36, v[4:5]
	v_and_b32_e32 v0, 14, v0
	v_mad_u64_u32 v[4:5], s[12:13], v24, 36, v[4:5]
	v_lshlrev_b32_e32 v2, 1, v0
	v_mov_b32_e32 v23, 0
	v_lshl_add_u64 v[4:5], v[4:5], 0, s[22:23]
	s_lshl_b32 s11, s9, 1
	s_mul_i32 s15, s9, 3
	s_lshl_b32 s19, s9, 2
	s_mul_i32 s26, s9, 5
	v_lshlrev_b32_e32 v32, 3, v25
	v_lshl_add_u64 v[26:27], v[4:5], 0, 16
	s_mov_b64 s[12:13], 0
	s_movk_i32 s22, 0x62
	v_mov_b64_e32 v[28:29], s[20:21]
	v_lshlrev_b32_e32 v22, 1, v0
	v_lshlrev_b32_e32 v30, 1, v2
	s_mov_b32 s23, 0x1010101
	s_mov_b32 s28, 0xffff
	s_movk_i32 s29, 0xff00
	s_mov_b64 s[16:17], 0x900
	v_mov_b32_e32 v31, v23
	v_mov_b32_e32 v33, 2
	;; [unrolled: 1-line block ×15, first 2 shown]
.LBB201_2:                              ; =>This Inner Loop Header: Depth=1
	v_add_u32_e32 v35, s27, v25
	v_mad_i64_i32 v[48:49], s[20:21], v35, s22, v[28:29]
	v_lshl_add_u64 v[38:39], v[48:49], 0, v[30:31]
	global_load_dword v41, v[26:27], off offset:16
	global_load_dwordx4 v[12:15], v[26:27], off
	global_load_dwordx4 v[16:19], v[26:27], off offset:-16
	v_lshl_add_u64 v[36:37], v[48:49], 0, v[22:23]
	global_load_dwordx2 v[46:47], v[38:39], off offset:2
	global_load_dword v42, v[36:37], off offset:66
	s_getpc_b64 s[20:21]
	s_add_u32 s20, s20, _ZL11iq3xxs_grid@rel32@lo+4
	s_addc_u32 s21, s21, _ZL11iq3xxs_grid@rel32@hi+12
	v_lshl_add_u64 v[26:27], v[26:27], 0, s[16:17]
	s_waitcnt vmcnt(2)
	v_cvt_f32_f16_e32 v16, v16
	s_waitcnt vmcnt(1)
	v_lshlrev_b32_sdwa v35, v33, v46 dst_sel:DWORD dst_unused:UNUSED_PAD src0_sel:DWORD src1_sel:BYTE_0
	global_load_dword v35, v35, s[20:21]
	v_lshlrev_b32_sdwa v36, v33, v46 dst_sel:DWORD dst_unused:UNUSED_PAD src0_sel:DWORD src1_sel:BYTE_1
	global_load_dword v36, v36, s[20:21]
	s_waitcnt vmcnt(2)
	v_and_b32_e32 v37, 0xff, v42
	v_bcnt_u32_b32 v38, v37, 0
	v_and_b32_e32 v38, 1, v38
	v_lshlrev_b32_e32 v38, 7, v38
	v_xor_b32_e32 v37, v38, v37
	v_mul_lo_u32 v37, v37, s23
	v_and_b32_e32 v38, 0x8000000, v37
	v_lshrrev_b32_e32 v40, 8, v37
	v_lshrrev_b16_e32 v43, 1, v40
	v_cmp_ne_u16_sdwa s[30:31], v38, v23 src0_sel:BYTE_3 src1_sel:DWORD
	v_and_b32_e32 v39, 1, v42
	v_bfe_i32 v43, v43, 0, 1
	v_lshrrev_b32_e32 v44, 18, v37
	v_cndmask_b32_e64 v38, 0, -1, s[30:31]
	v_sub_u16_e32 v39, 0, v39
	v_bfe_i32 v44, v44, 0, 1
	v_lshlrev_b16_e32 v38, 8, v38
	v_lshlrev_b16_e32 v43, 8, v43
	v_or_b32_sdwa v45, v44, v38 dst_sel:WORD_1 dst_unused:UNUSED_PAD src0_sel:BYTE_0 src1_sel:DWORD
	v_or_b32_sdwa v50, v39, v43 dst_sel:DWORD dst_unused:UNUSED_PAD src0_sel:BYTE_0 src1_sel:DWORD
	v_or_b32_sdwa v45, v50, v45 dst_sel:DWORD dst_unused:UNUSED_PAD src0_sel:WORD_0 src1_sel:DWORD
	v_lshlrev_b16_e32 v39, 8, v39
	v_lshrrev_b16_e32 v40, 5, v40
	v_bfe_i32 v40, v40, 0, 1
	v_lshlrev_b16_e32 v40, 8, v40
	v_bfe_i32 v62, v42, 7, 1
	v_lshrrev_b32_e32 v61, 16, v42
	s_waitcnt vmcnt(1)
	v_xor_b32_e32 v35, v35, v45
	v_and_b32_e32 v45, 0xffffff00, v35
	v_sub_i16 v43, v45, v43 clamp
	v_lshlrev_b16_e32 v45, 8, v35
	v_and_b32_e32 v43, 0xffffff00, v43
	v_sub_i16 v39, v45, v39 clamp
	v_or_b32_sdwa v39, v39, v43 dst_sel:DWORD dst_unused:UNUSED_PAD src0_sel:BYTE_1 src1_sel:DWORD
	v_and_b32_sdwa v43, v35, s29 dst_sel:DWORD dst_unused:UNUSED_PAD src0_sel:WORD_1 src1_sel:DWORD
	v_sub_i16 v38, v43, v38 clamp
	v_lshlrev_b16_sdwa v35, v34, v35 dst_sel:DWORD dst_unused:UNUSED_PAD src0_sel:DWORD src1_sel:WORD_1
	v_lshlrev_b16_e32 v43, 8, v44
	v_and_b32_e32 v38, 0xffffff00, v38
	v_sub_i16 v35, v35, v43 clamp
	v_or_b32_sdwa v35, v35, v38 dst_sel:WORD_1 dst_unused:UNUSED_PAD src0_sel:BYTE_1 src1_sel:DWORD
	v_and_b32_e32 v38, 0x80000000, v37
	v_cmp_ne_u16_sdwa s[30:31], v38, v23 src0_sel:BYTE_3 src1_sel:DWORD
	v_lshrrev_b32_e32 v37, 22, v37
	v_or_b32_sdwa v35, v39, v35 dst_sel:DWORD dst_unused:UNUSED_PAD src0_sel:WORD_0 src1_sel:DWORD
	v_cndmask_b32_e64 v38, 0, -1, s[30:31]
	v_bfe_i32 v39, v42, 4, 1
	v_bfe_i32 v37, v37, 0, 1
	v_lshlrev_b16_e32 v38, 8, v38
	v_or_b32_sdwa v43, v37, v38 dst_sel:WORD_1 dst_unused:UNUSED_PAD src0_sel:BYTE_0 src1_sel:DWORD
	v_or_b32_sdwa v44, v39, v40 dst_sel:DWORD dst_unused:UNUSED_PAD src0_sel:BYTE_0 src1_sel:DWORD
	v_or_b32_sdwa v43, v44, v43 dst_sel:DWORD dst_unused:UNUSED_PAD src0_sel:WORD_0 src1_sel:DWORD
	s_waitcnt vmcnt(0)
	v_xor_b32_e32 v36, v36, v43
	v_and_b32_e32 v43, 0xffffff00, v36
	v_sub_i16 v40, v43, v40 clamp
	v_lshlrev_b16_e32 v43, 8, v36
	v_lshlrev_b16_e32 v39, 8, v39
	v_and_b32_e32 v40, 0xffffff00, v40
	v_sub_i16 v39, v43, v39 clamp
	v_or_b32_sdwa v39, v39, v40 dst_sel:DWORD dst_unused:UNUSED_PAD src0_sel:BYTE_1 src1_sel:DWORD
	v_and_b32_sdwa v40, v36, s29 dst_sel:DWORD dst_unused:UNUSED_PAD src0_sel:WORD_1 src1_sel:DWORD
	v_lshlrev_b16_sdwa v36, v34, v36 dst_sel:DWORD dst_unused:UNUSED_PAD src0_sel:DWORD src1_sel:WORD_1
	v_lshlrev_b16_e32 v37, 8, v37
	v_sub_i16 v36, v36, v37 clamp
	v_lshlrev_b32_sdwa v37, v33, v46 dst_sel:DWORD dst_unused:UNUSED_PAD src0_sel:DWORD src1_sel:BYTE_2
	global_load_dword v63, v37, s[20:21]
	v_lshlrev_b32_sdwa v37, v33, v46 dst_sel:DWORD dst_unused:UNUSED_PAD src0_sel:DWORD src1_sel:BYTE_3
	global_load_dword v60, v37, s[20:21]
	v_lshlrev_b32_sdwa v37, v33, v47 dst_sel:DWORD dst_unused:UNUSED_PAD src0_sel:DWORD src1_sel:BYTE_0
	global_load_dword v59, v37, s[20:21]
	v_lshlrev_b32_sdwa v37, v33, v47 dst_sel:DWORD dst_unused:UNUSED_PAD src0_sel:DWORD src1_sel:BYTE_1
	v_sub_i16 v38, v40, v38 clamp
	global_load_dword v40, v37, s[20:21]
	v_lshlrev_b32_sdwa v37, v33, v47 dst_sel:DWORD dst_unused:UNUSED_PAD src0_sel:DWORD src1_sel:BYTE_2
	global_load_dword v45, v37, s[20:21]
	v_lshlrev_b32_sdwa v37, v33, v47 dst_sel:DWORD dst_unused:UNUSED_PAD src0_sel:DWORD src1_sel:BYTE_3
	global_load_dword v47, v37, s[20:21]
	global_load_ushort v44, v[48:49], off
	v_add_u32_e32 v37, s8, v25
	v_mad_i64_i32 v[64:65], s[30:31], v37, s22, v[28:29]
	v_lshl_add_u64 v[50:51], v[64:65], 0, v[30:31]
	v_lshl_add_u64 v[48:49], v[64:65], 0, v[22:23]
	global_load_dwordx2 v[66:67], v[50:51], off offset:2
	global_load_dword v46, v[48:49], off offset:66
	v_and_b32_e32 v38, 0xffffff00, v38
	v_or_b32_sdwa v36, v36, v38 dst_sel:WORD_1 dst_unused:UNUSED_PAD src0_sel:BYTE_1 src1_sel:DWORD
	v_mov_b32_e32 v43, 0
	v_dot4c_i32_i8_e32 v43, v35, v17
	v_or_b32_sdwa v36, v39, v36 dst_sel:DWORD dst_unused:UNUSED_PAD src0_sel:WORD_0 src1_sel:DWORD
	v_dot4c_i32_i8_e32 v43, v36, v18
	v_bfe_i32 v39, v42, 14, 1
	v_add_u32_e32 v25, 8, v25
	v_cmp_le_u32_e32 vcc, s5, v25
	s_or_b64 s[12:13], vcc, s[12:13]
	s_waitcnt vmcnt(1)
	v_lshlrev_b32_sdwa v37, v33, v66 dst_sel:DWORD dst_unused:UNUSED_PAD src0_sel:DWORD src1_sel:BYTE_0
	global_load_dword v37, v37, s[20:21]
	v_lshlrev_b32_sdwa v38, v33, v66 dst_sel:DWORD dst_unused:UNUSED_PAD src0_sel:DWORD src1_sel:BYTE_1
	global_load_dword v38, v38, s[20:21]
	s_waitcnt vmcnt(2)
	v_and_b32_e32 v48, 0xff, v46
	v_bcnt_u32_b32 v49, v48, 0
	v_and_b32_e32 v49, 1, v49
	v_lshlrev_b32_e32 v49, 7, v49
	v_xor_b32_e32 v48, v49, v48
	v_mul_lo_u32 v48, v48, s23
	v_and_b32_e32 v49, 0x8000000, v48
	v_lshrrev_b32_e32 v51, 8, v48
	v_lshrrev_b16_e32 v52, 1, v51
	v_cmp_ne_u16_sdwa s[30:31], v49, v23 src0_sel:BYTE_3 src1_sel:DWORD
	v_and_b32_e32 v50, 1, v46
	v_bfe_i32 v52, v52, 0, 1
	v_lshrrev_b32_e32 v53, 18, v48
	v_cndmask_b32_e64 v49, 0, -1, s[30:31]
	v_sub_u16_e32 v50, 0, v50
	v_bfe_i32 v53, v53, 0, 1
	v_lshlrev_b16_e32 v49, 8, v49
	v_lshlrev_b16_e32 v52, 8, v52
	v_or_b32_sdwa v54, v53, v49 dst_sel:WORD_1 dst_unused:UNUSED_PAD src0_sel:BYTE_0 src1_sel:DWORD
	v_or_b32_sdwa v55, v50, v52 dst_sel:DWORD dst_unused:UNUSED_PAD src0_sel:BYTE_0 src1_sel:DWORD
	v_or_b32_sdwa v54, v55, v54 dst_sel:DWORD dst_unused:UNUSED_PAD src0_sel:WORD_0 src1_sel:DWORD
	v_lshlrev_b16_e32 v50, 8, v50
	v_lshrrev_b16_e32 v51, 5, v51
	v_bfe_i32 v51, v51, 0, 1
	v_lshlrev_b16_e32 v51, 8, v51
	v_bfe_i32 v56, v46, 14, 1
	s_waitcnt vmcnt(1)
	v_xor_b32_e32 v37, v37, v54
	v_and_b32_e32 v54, 0xffffff00, v37
	v_sub_i16 v52, v54, v52 clamp
	v_lshlrev_b16_e32 v54, 8, v37
	v_and_b32_e32 v52, 0xffffff00, v52
	v_sub_i16 v50, v54, v50 clamp
	v_or_b32_sdwa v50, v50, v52 dst_sel:DWORD dst_unused:UNUSED_PAD src0_sel:BYTE_1 src1_sel:DWORD
	v_and_b32_sdwa v52, v37, s29 dst_sel:DWORD dst_unused:UNUSED_PAD src0_sel:WORD_1 src1_sel:DWORD
	v_sub_i16 v49, v52, v49 clamp
	v_lshlrev_b16_sdwa v37, v34, v37 dst_sel:DWORD dst_unused:UNUSED_PAD src0_sel:DWORD src1_sel:WORD_1
	v_lshlrev_b16_e32 v52, 8, v53
	v_and_b32_e32 v49, 0xffffff00, v49
	v_sub_i16 v37, v37, v52 clamp
	v_or_b32_sdwa v37, v37, v49 dst_sel:WORD_1 dst_unused:UNUSED_PAD src0_sel:BYTE_1 src1_sel:DWORD
	v_and_b32_e32 v49, 0x80000000, v48
	v_cmp_ne_u16_sdwa s[30:31], v49, v23 src0_sel:BYTE_3 src1_sel:DWORD
	v_lshrrev_b32_e32 v48, 22, v48
	v_or_b32_sdwa v37, v50, v37 dst_sel:DWORD dst_unused:UNUSED_PAD src0_sel:WORD_0 src1_sel:DWORD
	v_cndmask_b32_e64 v49, 0, -1, s[30:31]
	v_bfe_i32 v50, v46, 4, 1
	v_bfe_i32 v48, v48, 0, 1
	v_lshlrev_b16_e32 v49, 8, v49
	v_or_b32_sdwa v52, v48, v49 dst_sel:WORD_1 dst_unused:UNUSED_PAD src0_sel:BYTE_0 src1_sel:DWORD
	v_or_b32_sdwa v53, v50, v51 dst_sel:DWORD dst_unused:UNUSED_PAD src0_sel:BYTE_0 src1_sel:DWORD
	v_or_b32_sdwa v52, v53, v52 dst_sel:DWORD dst_unused:UNUSED_PAD src0_sel:WORD_0 src1_sel:DWORD
	s_waitcnt vmcnt(0)
	v_xor_b32_e32 v38, v38, v52
	v_and_b32_e32 v52, 0xffffff00, v38
	v_sub_i16 v51, v52, v51 clamp
	v_lshlrev_b16_e32 v52, 8, v38
	v_lshlrev_b16_e32 v50, 8, v50
	v_and_b32_e32 v51, 0xffffff00, v51
	v_sub_i16 v50, v52, v50 clamp
	v_or_b32_sdwa v50, v50, v51 dst_sel:DWORD dst_unused:UNUSED_PAD src0_sel:BYTE_1 src1_sel:DWORD
	v_and_b32_sdwa v51, v38, s29 dst_sel:DWORD dst_unused:UNUSED_PAD src0_sel:WORD_1 src1_sel:DWORD
	v_lshlrev_b16_sdwa v38, v34, v38 dst_sel:DWORD dst_unused:UNUSED_PAD src0_sel:DWORD src1_sel:WORD_1
	v_lshlrev_b16_e32 v48, 8, v48
	v_sub_i16 v38, v38, v48 clamp
	v_mov_b32_e32 v48, 0
	v_dot4c_i32_i8_e32 v48, v37, v17
	v_lshlrev_b32_sdwa v17, v33, v66 dst_sel:DWORD dst_unused:UNUSED_PAD src0_sel:DWORD src1_sel:BYTE_2
	global_load_dword v58, v17, s[20:21]
	v_lshlrev_b32_sdwa v17, v33, v66 dst_sel:DWORD dst_unused:UNUSED_PAD src0_sel:DWORD src1_sel:BYTE_3
	global_load_dword v53, v17, s[20:21]
	v_lshlrev_b32_sdwa v17, v33, v67 dst_sel:DWORD dst_unused:UNUSED_PAD src0_sel:DWORD src1_sel:BYTE_0
	v_sub_i16 v49, v51, v49 clamp
	global_load_dword v57, v17, s[20:21]
	v_lshlrev_b32_sdwa v17, v33, v67 dst_sel:DWORD dst_unused:UNUSED_PAD src0_sel:DWORD src1_sel:BYTE_1
	v_and_b32_e32 v49, 0xffffff00, v49
	global_load_dword v54, v17, s[20:21]
	v_lshlrev_b32_sdwa v17, v33, v67 dst_sel:DWORD dst_unused:UNUSED_PAD src0_sel:DWORD src1_sel:BYTE_2
	v_or_b32_sdwa v38, v38, v49 dst_sel:WORD_1 dst_unused:UNUSED_PAD src0_sel:BYTE_1 src1_sel:DWORD
	global_load_dword v55, v17, s[20:21]
	v_lshlrev_b32_sdwa v17, v33, v67 dst_sel:DWORD dst_unused:UNUSED_PAD src0_sel:DWORD src1_sel:BYTE_3
	v_or_b32_sdwa v38, v50, v38 dst_sel:DWORD dst_unused:UNUSED_PAD src0_sel:WORD_0 src1_sel:DWORD
	global_load_dword v49, v17, s[20:21]
	global_load_ushort v50, v[64:65], off
	v_and_b32_e32 v17, 0xffff0000, v42
	v_and_or_b32 v64, v42, s28, v17
	v_bfe_u32 v17, v42, 7, 8
	v_dot4c_i32_i8_e32 v48, v38, v18
	v_bcnt_u32_b32 v18, v17, 0
	v_and_b32_e32 v18, 1, v18
	v_lshlrev_b32_e32 v18, 7, v18
	v_xor_b32_e32 v17, v18, v17
	v_mul_lo_u32 v18, v17, s23
	v_and_b32_e32 v17, 0x8000000, v18
	v_lshrrev_b32_e32 v65, 8, v18
	v_lshrrev_b16_e32 v66, 1, v65
	v_cmp_ne_u16_sdwa s[20:21], v17, v23 src0_sel:BYTE_3 src1_sel:DWORD
	v_bfe_i32 v66, v66, 0, 1
	v_lshrrev_b32_e32 v67, 18, v18
	v_cndmask_b32_e64 v17, 0, -1, s[20:21]
	v_bfe_i32 v67, v67, 0, 1
	v_lshlrev_b16_e32 v17, 8, v17
	v_lshlrev_b16_e32 v66, 8, v66
	v_or_b32_sdwa v68, v67, v17 dst_sel:WORD_1 dst_unused:UNUSED_PAD src0_sel:BYTE_0 src1_sel:DWORD
	v_or_b32_sdwa v69, v62, v66 dst_sel:DWORD dst_unused:UNUSED_PAD src0_sel:BYTE_0 src1_sel:DWORD
	v_or_b32_sdwa v68, v69, v68 dst_sel:DWORD dst_unused:UNUSED_PAD src0_sel:WORD_0 src1_sel:DWORD
	v_xor_b32_e32 v63, v63, v68
	v_and_b32_e32 v68, 0xffffff00, v63
	v_sub_i16 v66, v68, v66 clamp
	v_lshlrev_b16_e32 v68, 8, v63
	v_lshlrev_b16_e32 v62, 8, v62
	v_and_b32_e32 v66, 0xffffff00, v66
	v_sub_i16 v62, v68, v62 clamp
	v_or_b32_sdwa v62, v62, v66 dst_sel:DWORD dst_unused:UNUSED_PAD src0_sel:BYTE_1 src1_sel:DWORD
	v_and_b32_sdwa v66, v63, s29 dst_sel:DWORD dst_unused:UNUSED_PAD src0_sel:WORD_1 src1_sel:DWORD
	v_sub_i16 v17, v66, v17 clamp
	v_lshlrev_b16_sdwa v63, v34, v63 dst_sel:DWORD dst_unused:UNUSED_PAD src0_sel:DWORD src1_sel:WORD_1
	v_lshlrev_b16_e32 v66, 8, v67
	v_and_b32_e32 v17, 0xffffff00, v17
	v_sub_i16 v63, v63, v66 clamp
	v_or_b32_sdwa v17, v63, v17 dst_sel:WORD_1 dst_unused:UNUSED_PAD src0_sel:BYTE_1 src1_sel:DWORD
	v_lshrrev_b16_e32 v65, 5, v65
	v_or_b32_sdwa v17, v62, v17 dst_sel:DWORD dst_unused:UNUSED_PAD src0_sel:WORD_0 src1_sel:DWORD
	v_and_b32_e32 v62, 0x80000000, v18
	v_cmp_ne_u16_sdwa s[20:21], v62, v23 src0_sel:BYTE_3 src1_sel:DWORD
	v_bfe_i32 v65, v65, 0, 1
	v_lshrrev_b32_e32 v18, 22, v18
	v_cndmask_b32_e64 v62, 0, -1, s[20:21]
	v_bfe_i32 v63, v42, 11, 1
	v_bfe_i32 v18, v18, 0, 1
	v_lshlrev_b16_e32 v62, 8, v62
	v_lshlrev_b16_e32 v65, 8, v65
	v_or_b32_sdwa v66, v18, v62 dst_sel:WORD_1 dst_unused:UNUSED_PAD src0_sel:BYTE_0 src1_sel:DWORD
	v_or_b32_sdwa v67, v63, v65 dst_sel:DWORD dst_unused:UNUSED_PAD src0_sel:BYTE_0 src1_sel:DWORD
	v_or_b32_sdwa v66, v67, v66 dst_sel:DWORD dst_unused:UNUSED_PAD src0_sel:WORD_0 src1_sel:DWORD
	v_xor_b32_e32 v60, v60, v66
	v_and_b32_e32 v66, 0xffffff00, v60
	v_sub_i16 v65, v66, v65 clamp
	v_lshlrev_b16_e32 v66, 8, v60
	v_lshlrev_b16_e32 v63, 8, v63
	v_and_b32_e32 v65, 0xffffff00, v65
	v_sub_i16 v63, v66, v63 clamp
	v_or_b32_sdwa v63, v63, v65 dst_sel:DWORD dst_unused:UNUSED_PAD src0_sel:BYTE_1 src1_sel:DWORD
	v_and_b32_sdwa v65, v60, s29 dst_sel:DWORD dst_unused:UNUSED_PAD src0_sel:WORD_1 src1_sel:DWORD
	v_sub_i16 v62, v65, v62 clamp
	v_lshlrev_b16_sdwa v60, v34, v60 dst_sel:DWORD dst_unused:UNUSED_PAD src0_sel:DWORD src1_sel:WORD_1
	v_lshlrev_b16_e32 v18, 8, v18
	v_and_b32_e32 v62, 0xffffff00, v62
	v_sub_i16 v18, v60, v18 clamp
	v_bfe_u32 v60, v64, 14, 8
	v_or_b32_sdwa v18, v18, v62 dst_sel:WORD_1 dst_unused:UNUSED_PAD src0_sel:BYTE_1 src1_sel:DWORD
	v_bcnt_u32_b32 v62, v60, 0
	v_and_b32_e32 v62, 1, v62
	v_lshlrev_b32_e32 v62, 7, v62
	v_xor_b32_e32 v60, v62, v60
	v_mul_lo_u32 v60, v60, s23
	v_or_b32_sdwa v18, v63, v18 dst_sel:DWORD dst_unused:UNUSED_PAD src0_sel:WORD_0 src1_sel:DWORD
	v_and_b32_e32 v62, 0x8000000, v60
	v_lshrrev_b32_e32 v63, 8, v60
	v_lshrrev_b16_e32 v64, 1, v63
	v_cmp_ne_u16_sdwa s[20:21], v62, v23 src0_sel:BYTE_3 src1_sel:DWORD
	v_bfe_i32 v64, v64, 0, 1
	v_lshrrev_b32_e32 v65, 18, v60
	v_cndmask_b32_e64 v62, 0, -1, s[20:21]
	v_bfe_i32 v65, v65, 0, 1
	v_lshlrev_b16_e32 v62, 8, v62
	v_lshlrev_b16_e32 v64, 8, v64
	v_or_b32_sdwa v66, v65, v62 dst_sel:WORD_1 dst_unused:UNUSED_PAD src0_sel:BYTE_0 src1_sel:DWORD
	v_or_b32_sdwa v67, v39, v64 dst_sel:DWORD dst_unused:UNUSED_PAD src0_sel:BYTE_0 src1_sel:DWORD
	v_or_b32_sdwa v66, v67, v66 dst_sel:DWORD dst_unused:UNUSED_PAD src0_sel:WORD_0 src1_sel:DWORD
	v_xor_b32_e32 v59, v59, v66
	v_and_b32_e32 v66, 0xffffff00, v59
	v_sub_i16 v64, v66, v64 clamp
	v_lshlrev_b16_e32 v66, 8, v59
	v_lshlrev_b16_e32 v39, 8, v39
	v_and_b32_e32 v64, 0xffffff00, v64
	v_sub_i16 v39, v66, v39 clamp
	v_or_b32_sdwa v39, v39, v64 dst_sel:DWORD dst_unused:UNUSED_PAD src0_sel:BYTE_1 src1_sel:DWORD
	v_and_b32_sdwa v64, v59, s29 dst_sel:DWORD dst_unused:UNUSED_PAD src0_sel:WORD_1 src1_sel:DWORD
	v_sub_i16 v62, v64, v62 clamp
	v_lshlrev_b16_sdwa v59, v34, v59 dst_sel:DWORD dst_unused:UNUSED_PAD src0_sel:DWORD src1_sel:WORD_1
	v_lshlrev_b16_e32 v64, 8, v65
	v_and_b32_e32 v62, 0xffffff00, v62
	v_sub_i16 v59, v59, v64 clamp
	v_or_b32_sdwa v59, v59, v62 dst_sel:WORD_1 dst_unused:UNUSED_PAD src0_sel:BYTE_1 src1_sel:DWORD
	v_lshrrev_b16_e32 v63, 5, v63
	v_or_b32_sdwa v39, v39, v59 dst_sel:DWORD dst_unused:UNUSED_PAD src0_sel:WORD_0 src1_sel:DWORD
	v_and_b32_e32 v59, 0x80000000, v60
	v_cmp_ne_u16_sdwa s[20:21], v59, v23 src0_sel:BYTE_3 src1_sel:DWORD
	v_bfe_i32 v63, v63, 0, 1
	v_lshrrev_b32_e32 v60, 22, v60
	v_cndmask_b32_e64 v59, 0, -1, s[20:21]
	v_bfe_i32 v62, v61, 2, 1
	v_bfe_i32 v60, v60, 0, 1
	v_lshlrev_b16_e32 v59, 8, v59
	v_lshlrev_b16_e32 v63, 8, v63
	v_or_b32_sdwa v64, v60, v59 dst_sel:WORD_1 dst_unused:UNUSED_PAD src0_sel:BYTE_0 src1_sel:DWORD
	v_or_b32_sdwa v65, v62, v63 dst_sel:DWORD dst_unused:UNUSED_PAD src0_sel:BYTE_0 src1_sel:DWORD
	v_or_b32_sdwa v64, v65, v64 dst_sel:DWORD dst_unused:UNUSED_PAD src0_sel:WORD_0 src1_sel:DWORD
	v_xor_b32_e32 v40, v40, v64
	v_and_b32_e32 v64, 0xffffff00, v40
	v_sub_i16 v63, v64, v63 clamp
	v_lshlrev_b16_e32 v64, 8, v40
	v_lshlrev_b16_e32 v62, 8, v62
	v_and_b32_e32 v63, 0xffffff00, v63
	v_sub_i16 v62, v64, v62 clamp
	v_or_b32_sdwa v62, v62, v63 dst_sel:DWORD dst_unused:UNUSED_PAD src0_sel:BYTE_1 src1_sel:DWORD
	v_and_b32_sdwa v63, v40, s29 dst_sel:DWORD dst_unused:UNUSED_PAD src0_sel:WORD_1 src1_sel:DWORD
	v_sub_i16 v59, v63, v59 clamp
	v_lshlrev_b16_sdwa v40, v34, v40 dst_sel:DWORD dst_unused:UNUSED_PAD src0_sel:DWORD src1_sel:WORD_1
	v_lshlrev_b16_e32 v60, 8, v60
	v_and_b32_e32 v59, 0xffffff00, v59
	v_sub_i16 v40, v40, v60 clamp
	v_or_b32_sdwa v40, v40, v59 dst_sel:WORD_1 dst_unused:UNUSED_PAD src0_sel:BYTE_1 src1_sel:DWORD
	v_bfe_u32 v59, v42, 21, 8
	v_bcnt_u32_b32 v60, v59, 0
	v_and_b32_e32 v60, 1, v60
	v_lshlrev_b32_e32 v60, 7, v60
	v_xor_b32_e32 v59, v60, v59
	v_mul_lo_u32 v59, v59, s23
	v_and_b32_e32 v60, 0x8000000, v59
	v_lshrrev_b32_e32 v63, 8, v59
	v_lshrrev_b16_e32 v64, 1, v63
	v_cmp_ne_u16_sdwa s[20:21], v60, v23 src0_sel:BYTE_3 src1_sel:DWORD
	v_bfe_i32 v64, v64, 0, 1
	v_lshrrev_b32_e32 v65, 18, v59
	v_cndmask_b32_e64 v60, 0, -1, s[20:21]
	v_or_b32_sdwa v40, v62, v40 dst_sel:DWORD dst_unused:UNUSED_PAD src0_sel:WORD_0 src1_sel:DWORD
	v_bfe_i32 v62, v61, 5, 1
	v_bfe_i32 v65, v65, 0, 1
	v_lshlrev_b16_e32 v60, 8, v60
	v_lshlrev_b16_e32 v64, 8, v64
	v_or_b32_sdwa v66, v65, v60 dst_sel:WORD_1 dst_unused:UNUSED_PAD src0_sel:BYTE_0 src1_sel:DWORD
	v_or_b32_sdwa v67, v62, v64 dst_sel:DWORD dst_unused:UNUSED_PAD src0_sel:BYTE_0 src1_sel:DWORD
	v_or_b32_sdwa v66, v67, v66 dst_sel:DWORD dst_unused:UNUSED_PAD src0_sel:WORD_0 src1_sel:DWORD
	v_xor_b32_e32 v45, v45, v66
	v_and_b32_e32 v66, 0xffffff00, v45
	v_sub_i16 v64, v66, v64 clamp
	v_lshlrev_b16_e32 v66, 8, v45
	v_lshlrev_b16_e32 v62, 8, v62
	v_and_b32_e32 v64, 0xffffff00, v64
	v_sub_i16 v62, v66, v62 clamp
	v_or_b32_sdwa v62, v62, v64 dst_sel:DWORD dst_unused:UNUSED_PAD src0_sel:BYTE_1 src1_sel:DWORD
	v_and_b32_sdwa v64, v45, s29 dst_sel:DWORD dst_unused:UNUSED_PAD src0_sel:WORD_1 src1_sel:DWORD
	v_sub_i16 v60, v64, v60 clamp
	v_lshlrev_b16_sdwa v45, v34, v45 dst_sel:DWORD dst_unused:UNUSED_PAD src0_sel:DWORD src1_sel:WORD_1
	v_lshlrev_b16_e32 v64, 8, v65
	v_and_b32_e32 v60, 0xffffff00, v60
	v_sub_i16 v45, v45, v64 clamp
	v_or_b32_sdwa v45, v45, v60 dst_sel:WORD_1 dst_unused:UNUSED_PAD src0_sel:BYTE_1 src1_sel:DWORD
	v_and_b32_e32 v60, 0x80000000, v59
	v_or_b32_sdwa v45, v62, v45 dst_sel:DWORD dst_unused:UNUSED_PAD src0_sel:WORD_0 src1_sel:DWORD
	v_lshrrev_b16_e32 v62, 5, v63
	v_cmp_ne_u16_sdwa s[20:21], v60, v23 src0_sel:BYTE_3 src1_sel:DWORD
	v_bfe_i32 v62, v62, 0, 1
	v_lshrrev_b32_e32 v59, 22, v59
	v_cndmask_b32_e64 v60, 0, -1, s[20:21]
	v_bfe_i32 v61, v61, 9, 1
	v_bfe_i32 v59, v59, 0, 1
	v_lshlrev_b16_e32 v60, 8, v60
	v_lshlrev_b16_e32 v62, 8, v62
	v_or_b32_sdwa v63, v59, v60 dst_sel:WORD_1 dst_unused:UNUSED_PAD src0_sel:BYTE_0 src1_sel:DWORD
	v_or_b32_sdwa v64, v61, v62 dst_sel:DWORD dst_unused:UNUSED_PAD src0_sel:BYTE_0 src1_sel:DWORD
	v_or_b32_sdwa v63, v64, v63 dst_sel:DWORD dst_unused:UNUSED_PAD src0_sel:WORD_0 src1_sel:DWORD
	v_xor_b32_e32 v47, v47, v63
	v_and_b32_e32 v63, 0xffffff00, v47
	v_sub_i16 v62, v63, v62 clamp
	v_lshlrev_b16_e32 v63, 8, v47
	v_lshlrev_b16_e32 v61, 8, v61
	v_and_b32_e32 v62, 0xffffff00, v62
	v_sub_i16 v61, v63, v61 clamp
	v_or_b32_sdwa v61, v61, v62 dst_sel:DWORD dst_unused:UNUSED_PAD src0_sel:BYTE_1 src1_sel:DWORD
	v_and_b32_sdwa v62, v47, s29 dst_sel:DWORD dst_unused:UNUSED_PAD src0_sel:WORD_1 src1_sel:DWORD
	v_sub_i16 v60, v62, v60 clamp
	v_lshlrev_b16_sdwa v47, v34, v47 dst_sel:DWORD dst_unused:UNUSED_PAD src0_sel:DWORD src1_sel:WORD_1
	v_lshlrev_b16_e32 v59, 8, v59
	v_and_b32_e32 v60, 0xffffff00, v60
	v_sub_i16 v47, v47, v59 clamp
	v_or_b32_sdwa v47, v47, v60 dst_sel:WORD_1 dst_unused:UNUSED_PAD src0_sel:BYTE_1 src1_sel:DWORD
	v_bfe_u32 v60, v46, 7, 8
	v_or_b32_sdwa v47, v61, v47 dst_sel:DWORD dst_unused:UNUSED_PAD src0_sel:WORD_0 src1_sel:DWORD
	v_bcnt_u32_b32 v61, v60, 0
	v_and_b32_e32 v61, 1, v61
	v_lshlrev_b32_e32 v61, 7, v61
	v_xor_b32_e32 v60, v61, v60
	v_mul_lo_u32 v60, v60, s23
	v_and_b32_e32 v61, 0x8000000, v60
	v_lshrrev_b32_e32 v62, 8, v60
	v_lshrrev_b16_e32 v63, 1, v62
	v_cmp_ne_u16_sdwa s[20:21], v61, v23 src0_sel:BYTE_3 src1_sel:DWORD
	v_bfe_i32 v63, v63, 0, 1
	v_lshrrev_b32_e32 v64, 18, v60
	v_cndmask_b32_e64 v61, 0, -1, s[20:21]
	v_bfe_i32 v51, v46, 7, 1
	v_bfe_i32 v64, v64, 0, 1
	v_lshlrev_b16_e32 v61, 8, v61
	v_lshlrev_b16_e32 v63, 8, v63
	v_or_b32_sdwa v65, v64, v61 dst_sel:WORD_1 dst_unused:UNUSED_PAD src0_sel:BYTE_0 src1_sel:DWORD
	v_or_b32_sdwa v66, v51, v63 dst_sel:DWORD dst_unused:UNUSED_PAD src0_sel:BYTE_0 src1_sel:DWORD
	v_or_b32_sdwa v65, v66, v65 dst_sel:DWORD dst_unused:UNUSED_PAD src0_sel:WORD_0 src1_sel:DWORD
	s_waitcnt vmcnt(6)
	v_xor_b32_e32 v58, v58, v65
	v_and_b32_e32 v65, 0xffffff00, v58
	v_sub_i16 v63, v65, v63 clamp
	v_lshlrev_b16_e32 v65, 8, v58
	v_lshlrev_b16_e32 v51, 8, v51
	v_and_b32_e32 v63, 0xffffff00, v63
	v_sub_i16 v51, v65, v51 clamp
	v_or_b32_sdwa v51, v51, v63 dst_sel:DWORD dst_unused:UNUSED_PAD src0_sel:BYTE_1 src1_sel:DWORD
	v_and_b32_sdwa v63, v58, s29 dst_sel:DWORD dst_unused:UNUSED_PAD src0_sel:WORD_1 src1_sel:DWORD
	v_sub_i16 v61, v63, v61 clamp
	v_lshlrev_b16_sdwa v58, v34, v58 dst_sel:DWORD dst_unused:UNUSED_PAD src0_sel:DWORD src1_sel:WORD_1
	v_lshlrev_b16_e32 v63, 8, v64
	v_and_b32_e32 v61, 0xffffff00, v61
	v_sub_i16 v58, v58, v63 clamp
	v_or_b32_sdwa v58, v58, v61 dst_sel:WORD_1 dst_unused:UNUSED_PAD src0_sel:BYTE_1 src1_sel:DWORD
	v_lshrrev_b16_e32 v62, 5, v62
	v_or_b32_sdwa v51, v51, v58 dst_sel:DWORD dst_unused:UNUSED_PAD src0_sel:WORD_0 src1_sel:DWORD
	v_and_b32_e32 v58, 0x80000000, v60
	v_cmp_ne_u16_sdwa s[20:21], v58, v23 src0_sel:BYTE_3 src1_sel:DWORD
	v_bfe_i32 v62, v62, 0, 1
	v_lshrrev_b32_e32 v60, 22, v60
	v_cndmask_b32_e64 v58, 0, -1, s[20:21]
	v_bfe_i32 v61, v46, 11, 1
	v_bfe_i32 v60, v60, 0, 1
	v_lshlrev_b16_e32 v58, 8, v58
	v_lshlrev_b16_e32 v62, 8, v62
	v_or_b32_sdwa v63, v60, v58 dst_sel:WORD_1 dst_unused:UNUSED_PAD src0_sel:BYTE_0 src1_sel:DWORD
	v_or_b32_sdwa v64, v61, v62 dst_sel:DWORD dst_unused:UNUSED_PAD src0_sel:BYTE_0 src1_sel:DWORD
	v_or_b32_sdwa v63, v64, v63 dst_sel:DWORD dst_unused:UNUSED_PAD src0_sel:WORD_0 src1_sel:DWORD
	s_waitcnt vmcnt(5)
	v_xor_b32_e32 v53, v53, v63
	v_and_b32_e32 v63, 0xffffff00, v53
	v_sub_i16 v62, v63, v62 clamp
	v_lshlrev_b16_e32 v63, 8, v53
	v_lshlrev_b16_e32 v61, 8, v61
	v_and_b32_e32 v62, 0xffffff00, v62
	v_sub_i16 v61, v63, v61 clamp
	v_or_b32_sdwa v61, v61, v62 dst_sel:DWORD dst_unused:UNUSED_PAD src0_sel:BYTE_1 src1_sel:DWORD
	v_and_b32_sdwa v62, v53, s29 dst_sel:DWORD dst_unused:UNUSED_PAD src0_sel:WORD_1 src1_sel:DWORD
	v_sub_i16 v58, v62, v58 clamp
	v_lshlrev_b16_sdwa v53, v34, v53 dst_sel:DWORD dst_unused:UNUSED_PAD src0_sel:DWORD src1_sel:WORD_1
	v_lshlrev_b16_e32 v60, 8, v60
	v_and_b32_e32 v58, 0xffffff00, v58
	v_sub_i16 v53, v53, v60 clamp
	v_and_b32_e32 v59, 0xffff0000, v46
	v_or_b32_sdwa v53, v53, v58 dst_sel:WORD_1 dst_unused:UNUSED_PAD src0_sel:BYTE_1 src1_sel:DWORD
	v_dot4c_i32_i8_e32 v43, v17, v19
	v_and_or_b32 v59, v46, s28, v59
	v_or_b32_sdwa v53, v61, v53 dst_sel:DWORD dst_unused:UNUSED_PAD src0_sel:WORD_0 src1_sel:DWORD
	v_dot4c_i32_i8_e32 v48, v51, v19
	v_dot4c_i32_i8_e32 v43, v18, v12
	;; [unrolled: 1-line block ×3, first 2 shown]
	v_bfe_u32 v12, v59, 14, 8
	v_bcnt_u32_b32 v19, v12, 0
	v_and_b32_e32 v19, 1, v19
	v_lshlrev_b32_e32 v19, 7, v19
	v_xor_b32_e32 v12, v19, v12
	v_mul_lo_u32 v12, v12, s23
	v_and_b32_e32 v19, 0x8000000, v12
	v_lshrrev_b32_e32 v58, 8, v12
	v_lshrrev_b16_e32 v59, 1, v58
	v_cmp_ne_u16_sdwa s[20:21], v19, v23 src0_sel:BYTE_3 src1_sel:DWORD
	v_bfe_i32 v59, v59, 0, 1
	v_lshrrev_b32_e32 v60, 18, v12
	v_cndmask_b32_e64 v19, 0, -1, s[20:21]
	v_bfe_i32 v60, v60, 0, 1
	v_lshlrev_b16_e32 v19, 8, v19
	v_lshlrev_b16_e32 v59, 8, v59
	v_or_b32_sdwa v61, v60, v19 dst_sel:WORD_1 dst_unused:UNUSED_PAD src0_sel:BYTE_0 src1_sel:DWORD
	v_or_b32_sdwa v62, v56, v59 dst_sel:DWORD dst_unused:UNUSED_PAD src0_sel:BYTE_0 src1_sel:DWORD
	v_or_b32_sdwa v61, v62, v61 dst_sel:DWORD dst_unused:UNUSED_PAD src0_sel:WORD_0 src1_sel:DWORD
	s_waitcnt vmcnt(4)
	v_xor_b32_e32 v57, v57, v61
	v_and_b32_e32 v61, 0xffffff00, v57
	v_sub_i16 v59, v61, v59 clamp
	v_lshlrev_b16_e32 v61, 8, v57
	v_lshlrev_b16_e32 v56, 8, v56
	v_and_b32_e32 v59, 0xffffff00, v59
	v_sub_i16 v56, v61, v56 clamp
	v_or_b32_sdwa v56, v56, v59 dst_sel:DWORD dst_unused:UNUSED_PAD src0_sel:BYTE_1 src1_sel:DWORD
	v_and_b32_sdwa v59, v57, s29 dst_sel:DWORD dst_unused:UNUSED_PAD src0_sel:WORD_1 src1_sel:DWORD
	v_sub_i16 v19, v59, v19 clamp
	v_lshlrev_b16_sdwa v57, v34, v57 dst_sel:DWORD dst_unused:UNUSED_PAD src0_sel:DWORD src1_sel:WORD_1
	v_lshlrev_b16_e32 v59, 8, v60
	v_and_b32_e32 v19, 0xffffff00, v19
	v_sub_i16 v57, v57, v59 clamp
	v_or_b32_sdwa v19, v57, v19 dst_sel:WORD_1 dst_unused:UNUSED_PAD src0_sel:BYTE_1 src1_sel:DWORD
	v_lshrrev_b16_e32 v58, 5, v58
	v_or_b32_sdwa v19, v56, v19 dst_sel:DWORD dst_unused:UNUSED_PAD src0_sel:WORD_0 src1_sel:DWORD
	v_and_b32_e32 v56, 0x80000000, v12
	v_cmp_ne_u16_sdwa s[20:21], v56, v23 src0_sel:BYTE_3 src1_sel:DWORD
	v_lshrrev_b32_e32 v52, 16, v46
	v_bfe_i32 v58, v58, 0, 1
	v_lshrrev_b32_e32 v12, 22, v12
	v_cndmask_b32_e64 v56, 0, -1, s[20:21]
	v_bfe_i32 v57, v52, 2, 1
	v_bfe_i32 v12, v12, 0, 1
	v_lshlrev_b16_e32 v56, 8, v56
	v_lshlrev_b16_e32 v58, 8, v58
	v_or_b32_sdwa v59, v12, v56 dst_sel:WORD_1 dst_unused:UNUSED_PAD src0_sel:BYTE_0 src1_sel:DWORD
	v_or_b32_sdwa v60, v57, v58 dst_sel:DWORD dst_unused:UNUSED_PAD src0_sel:BYTE_0 src1_sel:DWORD
	v_or_b32_sdwa v59, v60, v59 dst_sel:DWORD dst_unused:UNUSED_PAD src0_sel:WORD_0 src1_sel:DWORD
	s_waitcnt vmcnt(3)
	v_xor_b32_e32 v54, v54, v59
	v_and_b32_e32 v59, 0xffffff00, v54
	v_sub_i16 v58, v59, v58 clamp
	v_lshlrev_b16_e32 v59, 8, v54
	v_lshlrev_b16_e32 v57, 8, v57
	v_and_b32_e32 v58, 0xffffff00, v58
	v_sub_i16 v57, v59, v57 clamp
	v_or_b32_sdwa v57, v57, v58 dst_sel:DWORD dst_unused:UNUSED_PAD src0_sel:BYTE_1 src1_sel:DWORD
	v_and_b32_sdwa v58, v54, s29 dst_sel:DWORD dst_unused:UNUSED_PAD src0_sel:WORD_1 src1_sel:DWORD
	v_sub_i16 v56, v58, v56 clamp
	v_lshlrev_b16_sdwa v54, v34, v54 dst_sel:DWORD dst_unused:UNUSED_PAD src0_sel:DWORD src1_sel:WORD_1
	v_lshlrev_b16_e32 v12, 8, v12
	v_and_b32_e32 v56, 0xffffff00, v56
	v_sub_i16 v12, v54, v12 clamp
	v_or_b32_sdwa v12, v12, v56 dst_sel:WORD_1 dst_unused:UNUSED_PAD src0_sel:BYTE_1 src1_sel:DWORD
	v_dot4c_i32_i8_e32 v43, v39, v13
	v_or_b32_sdwa v54, v57, v12 dst_sel:DWORD dst_unused:UNUSED_PAD src0_sel:WORD_0 src1_sel:DWORD
	v_bfe_u32 v12, v46, 21, 8
	v_dot4c_i32_i8_e32 v48, v19, v13
	v_bcnt_u32_b32 v13, v12, 0
	v_and_b32_e32 v13, 1, v13
	v_lshlrev_b32_e32 v13, 7, v13
	v_xor_b32_e32 v12, v13, v12
	v_mul_lo_u32 v12, v12, s23
	v_and_b32_e32 v57, 0x8000000, v12
	v_lshrrev_b32_e32 v13, 8, v12
	v_dot4c_i32_i8_e32 v43, v40, v14
	v_dot4c_i32_i8_e32 v48, v54, v14
	v_lshrrev_b16_e32 v14, 1, v13
	v_cmp_ne_u16_sdwa s[20:21], v57, v23 src0_sel:BYTE_3 src1_sel:DWORD
	v_bfe_i32 v58, v14, 0, 1
	v_lshrrev_b32_e32 v14, 18, v12
	v_cndmask_b32_e64 v57, 0, -1, s[20:21]
	v_bfe_i32 v56, v52, 5, 1
	v_bfe_i32 v14, v14, 0, 1
	v_lshlrev_b16_e32 v57, 8, v57
	v_lshlrev_b16_e32 v58, 8, v58
	v_or_b32_sdwa v59, v14, v57 dst_sel:WORD_1 dst_unused:UNUSED_PAD src0_sel:BYTE_0 src1_sel:DWORD
	v_or_b32_sdwa v60, v56, v58 dst_sel:DWORD dst_unused:UNUSED_PAD src0_sel:BYTE_0 src1_sel:DWORD
	v_or_b32_sdwa v59, v60, v59 dst_sel:DWORD dst_unused:UNUSED_PAD src0_sel:WORD_0 src1_sel:DWORD
	s_waitcnt vmcnt(2)
	v_xor_b32_e32 v55, v55, v59
	v_and_b32_e32 v59, 0xffffff00, v55
	v_sub_i16 v58, v59, v58 clamp
	v_lshlrev_b16_e32 v59, 8, v55
	v_lshlrev_b16_e32 v56, 8, v56
	v_and_b32_e32 v58, 0xffffff00, v58
	v_sub_i16 v56, v59, v56 clamp
	v_or_b32_sdwa v56, v56, v58 dst_sel:DWORD dst_unused:UNUSED_PAD src0_sel:BYTE_1 src1_sel:DWORD
	v_and_b32_sdwa v58, v55, s29 dst_sel:DWORD dst_unused:UNUSED_PAD src0_sel:WORD_1 src1_sel:DWORD
	v_lshlrev_b16_sdwa v55, v34, v55 dst_sel:DWORD dst_unused:UNUSED_PAD src0_sel:DWORD src1_sel:WORD_1
	v_lshlrev_b16_e32 v14, 8, v14
	v_sub_i16 v14, v55, v14 clamp
	v_and_b32_e32 v55, 0x80000000, v12
	v_sub_i16 v57, v58, v57 clamp
	v_lshrrev_b16_e32 v13, 5, v13
	v_cmp_ne_u16_sdwa s[20:21], v55, v23 src0_sel:BYTE_3 src1_sel:DWORD
	v_and_b32_e32 v57, 0xffffff00, v57
	v_bfe_i32 v13, v13, 0, 1
	v_lshrrev_b32_e32 v12, 22, v12
	v_cndmask_b32_e64 v55, 0, -1, s[20:21]
	v_or_b32_sdwa v14, v14, v57 dst_sel:WORD_1 dst_unused:UNUSED_PAD src0_sel:BYTE_1 src1_sel:DWORD
	v_bfe_i32 v52, v52, 9, 1
	v_bfe_i32 v12, v12, 0, 1
	v_lshlrev_b16_e32 v55, 8, v55
	v_lshlrev_b16_e32 v13, 8, v13
	v_or_b32_sdwa v14, v56, v14 dst_sel:DWORD dst_unused:UNUSED_PAD src0_sel:WORD_0 src1_sel:DWORD
	v_or_b32_sdwa v56, v12, v55 dst_sel:WORD_1 dst_unused:UNUSED_PAD src0_sel:BYTE_0 src1_sel:DWORD
	v_or_b32_sdwa v57, v52, v13 dst_sel:DWORD dst_unused:UNUSED_PAD src0_sel:BYTE_0 src1_sel:DWORD
	v_or_b32_sdwa v56, v57, v56 dst_sel:DWORD dst_unused:UNUSED_PAD src0_sel:WORD_0 src1_sel:DWORD
	s_waitcnt vmcnt(1)
	v_xor_b32_e32 v49, v49, v56
	v_and_b32_e32 v56, 0xffffff00, v49
	v_sub_i16 v13, v56, v13 clamp
	v_lshlrev_b16_e32 v56, 8, v49
	v_lshlrev_b16_e32 v52, 8, v52
	v_and_b32_e32 v13, 0xffffff00, v13
	v_sub_i16 v52, v56, v52 clamp
	v_or_b32_sdwa v13, v52, v13 dst_sel:DWORD dst_unused:UNUSED_PAD src0_sel:BYTE_1 src1_sel:DWORD
	v_and_b32_sdwa v52, v49, s29 dst_sel:DWORD dst_unused:UNUSED_PAD src0_sel:WORD_1 src1_sel:DWORD
	v_sub_i16 v52, v52, v55 clamp
	v_lshlrev_b16_sdwa v49, v34, v49 dst_sel:DWORD dst_unused:UNUSED_PAD src0_sel:DWORD src1_sel:WORD_1
	v_lshlrev_b16_e32 v12, 8, v12
	v_and_b32_e32 v52, 0xffffff00, v52
	v_sub_i16 v12, v49, v12 clamp
	v_dot4c_i32_i8_e32 v43, v45, v15
	v_or_b32_sdwa v12, v12, v52 dst_sel:WORD_1 dst_unused:UNUSED_PAD src0_sel:BYTE_1 src1_sel:DWORD
	v_dot4c_i32_i8_e32 v43, v47, v41
	v_or_b32_sdwa v49, v13, v12 dst_sel:DWORD dst_unused:UNUSED_PAD src0_sel:WORD_0 src1_sel:DWORD
	v_dot4c_i32_i8_e32 v48, v14, v15
	v_dot4c_i32_i8_e32 v48, v49, v41
	v_lshrrev_b32_e32 v12, 31, v43
	v_add_u32_e32 v12, v43, v12
	v_lshrrev_b32_e32 v15, 28, v42
	v_lshrrev_b32_e32 v13, 31, v48
	v_ashrrev_i32_e32 v12, 1, v12
	v_add_u32_e32 v13, v48, v13
	v_ashrrev_i32_e32 v42, 1, v13
	v_mad_u64_u32 v[12:13], s[20:21], v43, v15, v[12:13]
	v_lshrrev_b32_e32 v41, 28, v46
	v_lshrrev_b32_e32 v13, 31, v12
	v_mad_u64_u32 v[56:57], s[20:21], v48, v41, v[42:43]
	v_add_u32_e32 v12, v12, v13
	v_ashrrev_i32_e32 v46, 1, v12
	v_lshrrev_b32_e32 v12, 31, v56
	v_add_u32_e32 v12, v56, v12
	v_ashrrev_i32_e32 v48, 1, v12
	s_waitcnt vmcnt(0)
	v_cvt_f32_f16_e32 v13, v50
	v_cvt_f32_f16_e32 v12, v44
	v_cvt_f32_i32_e32 v57, v48
	v_cvt_f32_i32_e32 v56, v46
	v_mov_b32_e32 v46, 0
	v_pk_mul_f32 v[42:43], v[16:17], v[12:13] op_sel_hi:[0,1]
	v_add_u32_e32 v16, s9, v32
	v_pk_fma_f32 v[8:9], v[42:43], v[56:57], v[8:9]
	v_mad_u64_u32 v[42:43], s[20:21], v16, 36, s[24:25]
	v_mad_u64_u32 v[42:43], s[20:21], v24, 36, v[42:43]
	global_load_dword v44, v[42:43], off offset:32
	global_load_dwordx4 v[56:59], v[42:43], off offset:16
	global_load_dwordx4 v[60:63], v[42:43], off
	v_mov_b32_e32 v43, 0
	s_waitcnt vmcnt(0)
	v_dot4c_i32_i8_e32 v43, v35, v61
	v_dot4c_i32_i8_e32 v43, v36, v62
	v_dot4c_i32_i8_e32 v46, v37, v61
	v_dot4c_i32_i8_e32 v43, v17, v63
	v_dot4c_i32_i8_e32 v46, v38, v62
	v_dot4c_i32_i8_e32 v43, v18, v56
	v_dot4c_i32_i8_e32 v43, v39, v57
	v_dot4c_i32_i8_e32 v46, v51, v63
	v_dot4c_i32_i8_e32 v43, v40, v58
	v_dot4c_i32_i8_e32 v46, v53, v56
	v_dot4c_i32_i8_e32 v43, v45, v59
	v_dot4c_i32_i8_e32 v46, v19, v57
	v_dot4c_i32_i8_e32 v43, v47, v44
	v_dot4c_i32_i8_e32 v46, v54, v58
	v_dot4c_i32_i8_e32 v46, v14, v59
	v_dot4c_i32_i8_e32 v46, v49, v44
	v_lshrrev_b32_e32 v42, 31, v43
	v_add_u32_e32 v42, v43, v42
	v_ashrrev_i32_e32 v42, 1, v42
	v_lshrrev_b32_e32 v44, 31, v46
	v_add_u32_e32 v44, v46, v44
	v_mad_u64_u32 v[42:43], s[20:21], v43, v15, v[42:43]
	v_ashrrev_i32_e32 v44, 1, v44
	v_lshrrev_b32_e32 v43, 31, v42
	v_mad_u64_u32 v[56:57], s[20:21], v46, v41, v[44:45]
	v_add_u32_e32 v42, v42, v43
	v_ashrrev_i32_e32 v44, 1, v42
	v_lshrrev_b32_e32 v42, 31, v56
	v_add_u32_e32 v42, v56, v42
	v_cvt_f32_f16_e32 v16, v60
	v_ashrrev_i32_e32 v46, 1, v42
	v_cvt_f32_i32_e32 v57, v46
	v_cvt_f32_i32_e32 v56, v44
	v_pk_mul_f32 v[42:43], v[16:17], v[12:13] op_sel_hi:[0,1]
	v_add_u32_e32 v16, s11, v32
	v_mov_b32_e32 v46, 0
	v_pk_fma_f32 v[10:11], v[42:43], v[56:57], v[10:11]
	v_mad_u64_u32 v[42:43], s[20:21], v16, 36, s[24:25]
	v_mad_u64_u32 v[42:43], s[20:21], v24, 36, v[42:43]
	global_load_dword v44, v[42:43], off offset:32
	global_load_dwordx4 v[56:59], v[42:43], off offset:16
	global_load_dwordx4 v[60:63], v[42:43], off
	v_mov_b32_e32 v43, 0
	s_waitcnt vmcnt(0)
	v_dot4c_i32_i8_e32 v43, v35, v61
	v_dot4c_i32_i8_e32 v43, v36, v62
	v_dot4c_i32_i8_e32 v46, v37, v61
	v_dot4c_i32_i8_e32 v43, v17, v63
	v_dot4c_i32_i8_e32 v46, v38, v62
	v_dot4c_i32_i8_e32 v43, v18, v56
	v_dot4c_i32_i8_e32 v43, v39, v57
	v_dot4c_i32_i8_e32 v46, v51, v63
	v_dot4c_i32_i8_e32 v43, v40, v58
	v_dot4c_i32_i8_e32 v46, v53, v56
	v_dot4c_i32_i8_e32 v43, v45, v59
	v_dot4c_i32_i8_e32 v46, v19, v57
	v_dot4c_i32_i8_e32 v43, v47, v44
	v_dot4c_i32_i8_e32 v46, v54, v58
	v_dot4c_i32_i8_e32 v46, v14, v59
	v_dot4c_i32_i8_e32 v46, v49, v44
	v_lshrrev_b32_e32 v42, 31, v43
	v_add_u32_e32 v42, v43, v42
	v_ashrrev_i32_e32 v42, 1, v42
	v_lshrrev_b32_e32 v44, 31, v46
	v_add_u32_e32 v44, v46, v44
	v_mad_u64_u32 v[42:43], s[20:21], v43, v15, v[42:43]
	v_ashrrev_i32_e32 v44, 1, v44
	v_lshrrev_b32_e32 v43, 31, v42
	v_mad_u64_u32 v[56:57], s[20:21], v46, v41, v[44:45]
	v_add_u32_e32 v42, v42, v43
	v_ashrrev_i32_e32 v44, 1, v42
	v_lshrrev_b32_e32 v42, 31, v56
	v_add_u32_e32 v42, v56, v42
	v_cvt_f32_f16_e32 v16, v60
	v_ashrrev_i32_e32 v46, 1, v42
	v_cvt_f32_i32_e32 v57, v46
	v_cvt_f32_i32_e32 v56, v44
	v_pk_mul_f32 v[42:43], v[16:17], v[12:13] op_sel_hi:[0,1]
	v_add_u32_e32 v16, s15, v32
	v_mov_b32_e32 v46, 0
	;; [unrolled: 44-line block ×3, first 2 shown]
	v_pk_fma_f32 v[6:7], v[42:43], v[56:57], v[6:7]
	v_mad_u64_u32 v[42:43], s[20:21], v16, 36, s[24:25]
	v_mad_u64_u32 v[42:43], s[20:21], v24, 36, v[42:43]
	global_load_dword v44, v[42:43], off offset:32
	global_load_dwordx4 v[56:59], v[42:43], off offset:16
	global_load_dwordx4 v[60:63], v[42:43], off
	v_mov_b32_e32 v43, 0
	s_waitcnt vmcnt(0)
	v_dot4c_i32_i8_e32 v43, v35, v61
	v_dot4c_i32_i8_e32 v43, v36, v62
	;; [unrolled: 1-line block ×16, first 2 shown]
	v_lshrrev_b32_e32 v42, 31, v43
	v_add_u32_e32 v42, v43, v42
	v_ashrrev_i32_e32 v42, 1, v42
	v_lshrrev_b32_e32 v44, 31, v46
	v_add_u32_e32 v44, v46, v44
	v_mad_u64_u32 v[42:43], s[20:21], v43, v15, v[42:43]
	v_ashrrev_i32_e32 v44, 1, v44
	v_lshrrev_b32_e32 v43, 31, v42
	v_mad_u64_u32 v[56:57], s[20:21], v46, v41, v[44:45]
	v_add_u32_e32 v42, v42, v43
	v_ashrrev_i32_e32 v44, 1, v42
	v_lshrrev_b32_e32 v42, 31, v56
	v_add_u32_e32 v42, v56, v42
	v_cvt_f32_f16_e32 v16, v60
	v_ashrrev_i32_e32 v46, 1, v42
	v_cvt_f32_i32_e32 v57, v46
	v_cvt_f32_i32_e32 v56, v44
	v_pk_mul_f32 v[42:43], v[16:17], v[12:13] op_sel_hi:[0,1]
	v_add_u32_e32 v16, s26, v32
	v_add_u32_e32 v32, 64, v32
	v_pk_fma_f32 v[0:1], v[42:43], v[56:57], v[0:1]
	v_mad_u64_u32 v[42:43], s[20:21], v16, 36, s[24:25]
	v_mad_u64_u32 v[42:43], s[20:21], v24, 36, v[42:43]
	global_load_dword v44, v[42:43], off offset:32
	global_load_dwordx4 v[56:59], v[42:43], off offset:16
	global_load_dwordx4 v[60:63], v[42:43], off
	v_mov_b32_e32 v42, 0
	s_waitcnt vmcnt(0)
	v_dot4c_i32_i8_e32 v42, v35, v61
	v_mov_b32_e32 v35, 0
	v_dot4c_i32_i8_e32 v42, v36, v62
	v_dot4c_i32_i8_e32 v35, v37, v61
	;; [unrolled: 1-line block ×15, first 2 shown]
	v_cvt_f32_f16_e32 v16, v60
	v_lshrrev_b32_e32 v14, 31, v42
	v_add_u32_e32 v14, v42, v14
	v_lshrrev_b32_e32 v17, 31, v35
	v_ashrrev_i32_e32 v14, 1, v14
	v_add_u32_e32 v17, v35, v17
	v_ashrrev_i32_e32 v18, 1, v17
	v_mad_u64_u32 v[14:15], s[20:21], v42, v15, v[14:15]
	v_mad_u64_u32 v[18:19], s[20:21], v35, v41, v[18:19]
	v_lshrrev_b32_e32 v15, 31, v14
	v_add_u32_e32 v14, v14, v15
	v_lshrrev_b32_e32 v15, 31, v18
	v_add_u32_e32 v15, v18, v15
	v_ashrrev_i32_e32 v14, 1, v14
	v_ashrrev_i32_e32 v15, 1, v15
	v_cvt_f32_i32_e32 v15, v15
	v_cvt_f32_i32_e32 v14, v14
	v_pk_mul_f32 v[12:13], v[16:17], v[12:13] op_sel_hi:[0,1]
	v_pk_fma_f32 v[2:3], v[12:13], v[14:15], v[2:3]
	s_andn2_b64 exec, exec, s[12:13]
	s_cbranch_execnz .LBB201_2
; %bb.3:
	s_or_b64 exec, exec, s[12:13]
	scratch_store_dwordx4 off, v[8:11], off
	scratch_store_dwordx4 off, v[4:7], off offset:16
	scratch_store_dwordx4 off, v[0:3], off offset:32
.LBB201_4:
	s_or_b64 exec, exec, s[6:7]
	s_mov_b32 s5, 0
	v_cmp_eq_u32_e32 vcc, 0, v21
	s_waitcnt lgkmcnt(0)
	; wave barrier
	s_and_saveexec_b64 s[6:7], vcc
	s_cbranch_execz .LBB201_17
; %bb.5:
	scratch_load_dwordx2 v[2:3], off, off
	v_mbcnt_lo_u32_b32 v0, -1, 0
	v_mbcnt_hi_u32_b32 v12, -1, v0
	s_load_dwordx2 s[6:7], s[0:1], 0x38
	s_mul_i32 s0, s3, s14
	v_or_b32_e32 v1, s2, v20
	v_and_b32_e32 v0, 64, v12
	s_mul_i32 s4, s4, s18
	s_add_i32 s2, s0, s2
	v_cmp_gt_u32_e64 s[0:1], s10, v1
	v_xor_b32_e32 v1, 32, v12
	v_add_u32_e32 v13, 64, v0
	s_add_i32 s4, s2, s4
	v_cmp_lt_i32_e64 s[2:3], v1, v13
	v_cmp_gt_u32_e32 vcc, 2, v20
	s_nop 0
	v_cndmask_b32_e64 v0, v12, v1, s[2:3]
	v_lshlrev_b32_e32 v0, 2, v0
	v_xor_b32_e32 v1, 16, v12
	v_cmp_lt_i32_e64 s[2:3], v1, v13
	s_waitcnt vmcnt(0)
	ds_bpermute_b32 v4, v0, v2
	ds_bpermute_b32 v5, v0, v3
	v_cndmask_b32_e64 v1, v12, v1, s[2:3]
	v_lshlrev_b32_e32 v1, 2, v1
	s_waitcnt lgkmcnt(0)
	v_pk_add_f32 v[4:5], v[2:3], v[4:5]
	ds_bpermute_b32 v6, v1, v4
	ds_bpermute_b32 v7, v1, v5
	v_xor_b32_e32 v2, 8, v12
	v_cmp_lt_i32_e64 s[2:3], v2, v13
	v_xor_b32_e32 v3, 4, v12
	s_waitcnt lgkmcnt(0)
	v_pk_add_f32 v[4:5], v[4:5], v[6:7]
	v_cndmask_b32_e64 v2, v12, v2, s[2:3]
	v_lshlrev_b32_e32 v2, 2, v2
	ds_bpermute_b32 v6, v2, v4
	ds_bpermute_b32 v7, v2, v5
	v_cmp_lt_i32_e64 s[2:3], v3, v13
	s_waitcnt lgkmcnt(0)
	v_pk_add_f32 v[6:7], v[4:5], v[6:7]
	v_cndmask_b32_e64 v3, v12, v3, s[2:3]
	v_lshlrev_b32_e32 v3, 2, v3
	ds_bpermute_b32 v8, v3, v6
	ds_bpermute_b32 v9, v3, v7
	v_xor_b32_e32 v4, 2, v12
	v_cmp_lt_i32_e64 s[2:3], v4, v13
	v_xor_b32_e32 v5, 1, v12
	s_waitcnt lgkmcnt(0)
	v_pk_add_f32 v[8:9], v[6:7], v[8:9]
	v_cndmask_b32_e64 v4, v12, v4, s[2:3]
	v_lshlrev_b32_e32 v4, 2, v4
	ds_bpermute_b32 v10, v4, v8
	ds_bpermute_b32 v11, v4, v9
	v_cmp_lt_i32_e64 s[2:3], v5, v13
	s_waitcnt lgkmcnt(0)
	v_pk_add_f32 v[8:9], v[8:9], v[10:11]
	v_cndmask_b32_e64 v5, v12, v5, s[2:3]
	v_lshlrev_b32_e32 v6, 2, v5
	ds_bpermute_b32 v10, v6, v8
	ds_bpermute_b32 v11, v6, v9
	s_lshl_b64 s[2:3], s[4:5], 2
	s_add_u32 s2, s6, s2
	s_addc_u32 s3, s7, s3
	s_and_b64 s[0:1], vcc, s[0:1]
	s_waitcnt lgkmcnt(0)
	v_pk_add_f32 v[8:9], v[8:9], v[10:11]
	v_lshlrev_b32_e32 v5, 2, v20
	scratch_store_dwordx2 off, v[8:9], off
	s_and_saveexec_b64 s[4:5], s[0:1]
	s_cbranch_execz .LBB201_7
; %bb.6:
	scratch_load_dword v7, v5, off
	s_waitcnt vmcnt(0)
	global_store_dword v5, v7, s[2:3]
.LBB201_7:
	s_or_b64 exec, exec, s[4:5]
	scratch_load_dwordx2 v[8:9], off, off offset:8
	s_waitcnt vmcnt(0)
	ds_bpermute_b32 v10, v0, v8
	ds_bpermute_b32 v11, v0, v9
	s_waitcnt lgkmcnt(0)
	v_pk_add_f32 v[8:9], v[8:9], v[10:11]
	ds_bpermute_b32 v10, v1, v8
	ds_bpermute_b32 v11, v1, v9
	s_waitcnt lgkmcnt(0)
	v_pk_add_f32 v[8:9], v[8:9], v[10:11]
	;; [unrolled: 4-line block ×6, first 2 shown]
	scratch_store_dwordx2 off, v[8:9], off offset:8
	s_and_saveexec_b64 s[4:5], s[0:1]
	s_cbranch_execz .LBB201_9
; %bb.8:
	scratch_load_dword v7, v5, off offset:8
	v_add_u32_e32 v8, s10, v20
	v_mov_b32_e32 v9, 0
	v_lshl_add_u64 v[8:9], v[8:9], 2, s[2:3]
	s_waitcnt vmcnt(0)
	global_store_dword v[8:9], v7, off
.LBB201_9:
	s_or_b64 exec, exec, s[4:5]
	scratch_load_dwordx2 v[8:9], off, off offset:16
	s_waitcnt vmcnt(0)
	ds_bpermute_b32 v10, v0, v8
	ds_bpermute_b32 v11, v0, v9
	s_waitcnt lgkmcnt(0)
	v_pk_add_f32 v[8:9], v[8:9], v[10:11]
	ds_bpermute_b32 v10, v1, v8
	ds_bpermute_b32 v11, v1, v9
	s_waitcnt lgkmcnt(0)
	v_pk_add_f32 v[8:9], v[8:9], v[10:11]
	;; [unrolled: 4-line block ×6, first 2 shown]
	scratch_store_dwordx2 off, v[8:9], off offset:16
	s_and_saveexec_b64 s[4:5], s[0:1]
	s_cbranch_execz .LBB201_11
; %bb.10:
	scratch_load_dword v7, v5, off offset:16
	v_lshl_or_b32 v8, s10, 1, v20
	v_mov_b32_e32 v9, 0
	v_lshl_add_u64 v[8:9], v[8:9], 2, s[2:3]
	s_waitcnt vmcnt(0)
	global_store_dword v[8:9], v7, off
.LBB201_11:
	s_or_b64 exec, exec, s[4:5]
	scratch_load_dwordx2 v[8:9], off, off offset:24
	s_waitcnt vmcnt(0)
	ds_bpermute_b32 v10, v0, v8
	ds_bpermute_b32 v11, v0, v9
	s_waitcnt lgkmcnt(0)
	v_pk_add_f32 v[8:9], v[8:9], v[10:11]
	ds_bpermute_b32 v10, v1, v8
	ds_bpermute_b32 v11, v1, v9
	s_waitcnt lgkmcnt(0)
	v_pk_add_f32 v[8:9], v[8:9], v[10:11]
	;; [unrolled: 4-line block ×6, first 2 shown]
	scratch_store_dwordx2 off, v[8:9], off offset:24
	s_and_saveexec_b64 s[4:5], s[0:1]
	s_cbranch_execz .LBB201_13
; %bb.12:
	scratch_load_dword v7, v5, off offset:24
	v_mad_u64_u32 v[8:9], s[6:7], s10, 3, v[20:21]
	v_mov_b32_e32 v9, 0
	v_lshl_add_u64 v[8:9], v[8:9], 2, s[2:3]
	s_waitcnt vmcnt(0)
	global_store_dword v[8:9], v7, off
.LBB201_13:
	s_or_b64 exec, exec, s[4:5]
	scratch_load_dwordx2 v[8:9], off, off offset:32
	s_waitcnt vmcnt(0)
	ds_bpermute_b32 v10, v0, v8
	ds_bpermute_b32 v11, v0, v9
	s_waitcnt lgkmcnt(0)
	v_pk_add_f32 v[8:9], v[8:9], v[10:11]
	ds_bpermute_b32 v10, v1, v8
	ds_bpermute_b32 v11, v1, v9
	s_waitcnt lgkmcnt(0)
	v_pk_add_f32 v[8:9], v[8:9], v[10:11]
	;; [unrolled: 4-line block ×6, first 2 shown]
	scratch_store_dwordx2 off, v[8:9], off offset:32
	s_and_saveexec_b64 s[4:5], s[0:1]
	s_cbranch_execz .LBB201_15
; %bb.14:
	scratch_load_dword v7, v5, off offset:32
	v_lshl_or_b32 v8, s10, 2, v20
	v_mov_b32_e32 v9, 0
	v_lshl_add_u64 v[8:9], v[8:9], 2, s[2:3]
	s_waitcnt vmcnt(0)
	global_store_dword v[8:9], v7, off
.LBB201_15:
	s_or_b64 exec, exec, s[4:5]
	scratch_load_dwordx2 v[8:9], off, off offset:40
	s_waitcnt vmcnt(0)
	ds_bpermute_b32 v10, v0, v8
	ds_bpermute_b32 v11, v0, v9
	s_waitcnt lgkmcnt(0)
	v_pk_add_f32 v[8:9], v[8:9], v[10:11]
	ds_bpermute_b32 v0, v1, v8
	ds_bpermute_b32 v1, v1, v9
	s_waitcnt lgkmcnt(0)
	v_pk_add_f32 v[0:1], v[8:9], v[0:1]
	;; [unrolled: 4-line block ×6, first 2 shown]
	scratch_store_dwordx2 off, v[0:1], off offset:40
	s_and_b64 exec, exec, s[0:1]
	s_cbranch_execz .LBB201_17
; %bb.16:
	scratch_load_dword v2, v5, off offset:40
	v_mad_u64_u32 v[0:1], s[0:1], s10, 5, v[20:21]
	v_mov_b32_e32 v1, 0
	v_lshl_add_u64 v[0:1], v[0:1], 2, s[2:3]
	s_waitcnt vmcnt(0)
	global_store_dword v[0:1], v2, off
.LBB201_17:
	s_endpgm
	.section	.rodata,"a",@progbits
	.p2align	6, 0x0
	.amdhsa_kernel _ZL13mul_mat_vec_qIL9ggml_type18ELi6ELb0ELb0EEvPKvS2_PKi31ggml_cuda_mm_fusion_args_devicePfj15HIP_vector_typeIjLj3EEjjjS8_jjjS8_jjjj
		.amdhsa_group_segment_fixed_size 0
		.amdhsa_private_segment_fixed_size 64
		.amdhsa_kernarg_size 144
		.amdhsa_user_sgpr_count 2
		.amdhsa_user_sgpr_dispatch_ptr 0
		.amdhsa_user_sgpr_queue_ptr 0
		.amdhsa_user_sgpr_kernarg_segment_ptr 1
		.amdhsa_user_sgpr_dispatch_id 0
		.amdhsa_user_sgpr_kernarg_preload_length 0
		.amdhsa_user_sgpr_kernarg_preload_offset 0
		.amdhsa_user_sgpr_private_segment_size 0
		.amdhsa_uses_dynamic_stack 0
		.amdhsa_enable_private_segment 1
		.amdhsa_system_sgpr_workgroup_id_x 1
		.amdhsa_system_sgpr_workgroup_id_y 1
		.amdhsa_system_sgpr_workgroup_id_z 1
		.amdhsa_system_sgpr_workgroup_info 0
		.amdhsa_system_vgpr_workitem_id 1
		.amdhsa_next_free_vgpr 70
		.amdhsa_next_free_sgpr 32
		.amdhsa_accum_offset 72
		.amdhsa_reserve_vcc 1
		.amdhsa_float_round_mode_32 0
		.amdhsa_float_round_mode_16_64 0
		.amdhsa_float_denorm_mode_32 3
		.amdhsa_float_denorm_mode_16_64 3
		.amdhsa_dx10_clamp 1
		.amdhsa_ieee_mode 1
		.amdhsa_fp16_overflow 0
		.amdhsa_tg_split 0
		.amdhsa_exception_fp_ieee_invalid_op 0
		.amdhsa_exception_fp_denorm_src 0
		.amdhsa_exception_fp_ieee_div_zero 0
		.amdhsa_exception_fp_ieee_overflow 0
		.amdhsa_exception_fp_ieee_underflow 0
		.amdhsa_exception_fp_ieee_inexact 0
		.amdhsa_exception_int_div_zero 0
	.end_amdhsa_kernel
	.section	.text._ZL13mul_mat_vec_qIL9ggml_type18ELi6ELb0ELb0EEvPKvS2_PKi31ggml_cuda_mm_fusion_args_devicePfj15HIP_vector_typeIjLj3EEjjjS8_jjjS8_jjjj,"axG",@progbits,_ZL13mul_mat_vec_qIL9ggml_type18ELi6ELb0ELb0EEvPKvS2_PKi31ggml_cuda_mm_fusion_args_devicePfj15HIP_vector_typeIjLj3EEjjjS8_jjjS8_jjjj,comdat
.Lfunc_end201:
	.size	_ZL13mul_mat_vec_qIL9ggml_type18ELi6ELb0ELb0EEvPKvS2_PKi31ggml_cuda_mm_fusion_args_devicePfj15HIP_vector_typeIjLj3EEjjjS8_jjjS8_jjjj, .Lfunc_end201-_ZL13mul_mat_vec_qIL9ggml_type18ELi6ELb0ELb0EEvPKvS2_PKi31ggml_cuda_mm_fusion_args_devicePfj15HIP_vector_typeIjLj3EEjjjS8_jjjS8_jjjj
                                        ; -- End function
	.section	.AMDGPU.csdata,"",@progbits
; Kernel info:
; codeLenInByte = 7464
; NumSgprs: 38
; NumVgprs: 70
; NumAgprs: 0
; TotalNumVgprs: 70
; ScratchSize: 64
; MemoryBound: 0
; FloatMode: 240
; IeeeMode: 1
; LDSByteSize: 0 bytes/workgroup (compile time only)
; SGPRBlocks: 4
; VGPRBlocks: 8
; NumSGPRsForWavesPerEU: 38
; NumVGPRsForWavesPerEU: 70
; AccumOffset: 72
; Occupancy: 7
; WaveLimiterHint : 0
; COMPUTE_PGM_RSRC2:SCRATCH_EN: 1
; COMPUTE_PGM_RSRC2:USER_SGPR: 2
; COMPUTE_PGM_RSRC2:TRAP_HANDLER: 0
; COMPUTE_PGM_RSRC2:TGID_X_EN: 1
; COMPUTE_PGM_RSRC2:TGID_Y_EN: 1
; COMPUTE_PGM_RSRC2:TGID_Z_EN: 1
; COMPUTE_PGM_RSRC2:TIDIG_COMP_CNT: 1
; COMPUTE_PGM_RSRC3_GFX90A:ACCUM_OFFSET: 17
; COMPUTE_PGM_RSRC3_GFX90A:TG_SPLIT: 0
	.section	.text._ZL13mul_mat_vec_qIL9ggml_type18ELi7ELb0ELb0EEvPKvS2_PKi31ggml_cuda_mm_fusion_args_devicePfj15HIP_vector_typeIjLj3EEjjjS8_jjjS8_jjjj,"axG",@progbits,_ZL13mul_mat_vec_qIL9ggml_type18ELi7ELb0ELb0EEvPKvS2_PKi31ggml_cuda_mm_fusion_args_devicePfj15HIP_vector_typeIjLj3EEjjjS8_jjjS8_jjjj,comdat
	.globl	_ZL13mul_mat_vec_qIL9ggml_type18ELi7ELb0ELb0EEvPKvS2_PKi31ggml_cuda_mm_fusion_args_devicePfj15HIP_vector_typeIjLj3EEjjjS8_jjjS8_jjjj ; -- Begin function _ZL13mul_mat_vec_qIL9ggml_type18ELi7ELb0ELb0EEvPKvS2_PKi31ggml_cuda_mm_fusion_args_devicePfj15HIP_vector_typeIjLj3EEjjjS8_jjjS8_jjjj
	.p2align	8
	.type	_ZL13mul_mat_vec_qIL9ggml_type18ELi7ELb0ELb0EEvPKvS2_PKi31ggml_cuda_mm_fusion_args_devicePfj15HIP_vector_typeIjLj3EEjjjS8_jjjS8_jjjj,@function
_ZL13mul_mat_vec_qIL9ggml_type18ELi7ELb0ELb0EEvPKvS2_PKi31ggml_cuda_mm_fusion_args_devicePfj15HIP_vector_typeIjLj3EEjjjS8_jjjS8_jjjj: ; @_ZL13mul_mat_vec_qIL9ggml_type18ELi7ELb0ELb0EEvPKvS2_PKi31ggml_cuda_mm_fusion_args_devicePfj15HIP_vector_typeIjLj3EEjjjS8_jjjS8_jjjj
; %bb.0:
	v_bfe_u32 v9, v0, 10, 10
	v_and_b32_e32 v8, 0x3ff, v0
	s_mov_b32 s20, 0
	s_load_dword s5, s[0:1], 0x40
	s_load_dwordx4 s[8:11], s[0:1], 0x50
	s_load_dword s27, s[0:1], 0x60
	s_load_dwordx4 s[12:15], s[0:1], 0x68
	;; [unrolled: 2-line block ×3, first 2 shown]
	v_lshl_or_b32 v4, v9, 6, v8
	s_mov_b32 s21, s20
	s_waitcnt lgkmcnt(0)
	s_lshr_b32 s5, s5, 8
	v_mov_b32_e32 v11, 0
	s_mov_b32 s22, s20
	s_mov_b32 s23, s20
	v_mov_b64_e32 v[0:1], s[20:21]
	v_lshrrev_b32_e32 v13, 3, v4
	s_lshl_b32 s2, s2, 1
	v_mov_b32_e32 v10, v11
	v_mov_b64_e32 v[2:3], s[22:23]
	v_cmp_gt_u32_e32 vcc, s5, v13
	scratch_store_dwordx2 off, v[10:11], off offset:48
	scratch_store_dwordx4 off, v[0:3], off offset:32
	scratch_store_dwordx4 off, v[0:3], off offset:16
	scratch_store_dwordx4 off, v[0:3], off
	s_and_saveexec_b64 s[6:7], vcc
	s_cbranch_execz .LBB202_3
; %bb.1:
	s_load_dwordx4 s[20:23], s[0:1], 0x0
	s_mul_i32 s17, s4, s17
	s_mul_i32 s24, s17, 36
	s_mul_i32 s13, s3, s13
	s_mul_hi_u32 s19, s17, 36
	s_waitcnt lgkmcnt(0)
	s_add_u32 s24, s22, s24
	s_addc_u32 s19, s23, s19
	s_mul_i32 s30, s13, 36
	s_mul_hi_u32 s31, s13, 36
	s_add_u32 s24, s24, s30
	s_mul_hi_u32 s11, s11, s3
	s_addc_u32 s25, s19, s31
	s_add_i32 s11, s3, s11
	s_lshr_b32 s11, s11, s27
	s_mul_i32 s12, s11, s12
	s_mul_hi_u32 s11, s15, s4
	s_add_i32 s11, s4, s11
	s_lshr_b32 s11, s11, s26
	s_mul_i32 s13, s11, s16
	s_add_i32 s12, s13, s12
	s_add_i32 s13, s2, 1
	s_mul_i32 s16, s2, s8
	s_mul_i32 s8, s8, s13
	v_lshl_add_u32 v1, v9, 6, v8
	s_add_i32 s28, s12, s16
	s_add_i32 s8, s12, s8
	v_lshrrev_b32_e32 v1, 3, v1
	s_movk_i32 s12, 0x120
	v_mov_b64_e32 v[4:5], s[30:31]
	v_mad_u64_u32 v[4:5], s[12:13], v1, s12, v[4:5]
	v_lshlrev_b32_e32 v0, 1, v8
	v_and_b32_e32 v12, 7, v8
	v_mad_u64_u32 v[4:5], s[12:13], s17, 36, v[4:5]
	v_and_b32_e32 v0, 14, v0
	v_mad_u64_u32 v[4:5], s[12:13], v12, 36, v[4:5]
	v_lshlrev_b32_e32 v2, 1, v0
	v_lshl_add_u64 v[4:5], v[4:5], 0, s[22:23]
	s_lshl_b32 s11, s9, 1
	s_mul_i32 s15, s9, 3
	s_lshl_b32 s19, s9, 2
	s_mul_i32 s26, s9, 5
	s_mul_i32 s27, s9, 6
	v_lshlrev_b32_e32 v39, 3, v13
	v_lshl_add_u64 v[14:15], v[4:5], 0, 16
	s_mov_b64 s[12:13], 0
	s_movk_i32 s22, 0x62
	v_mov_b64_e32 v[16:17], s[20:21]
	v_lshlrev_b32_e32 v10, 1, v2
	v_lshlrev_b32_e32 v18, 1, v0
	s_mov_b32 s23, 0xffff
	s_mov_b32 s29, 0x1010101
	s_movk_i32 s30, 0xff00
	s_mov_b64 s[16:17], 0x900
	v_mov_b32_e32 v19, v11
	v_mov_b32_e32 v40, 2
	;; [unrolled: 1-line block ×3, first 2 shown]
.LBB202_2:                              ; =>This Inner Loop Header: Depth=1
	v_add_u32_e32 v20, s28, v13
	v_mad_i64_i32 v[22:23], s[20:21], v20, s22, v[16:17]
	v_lshl_add_u64 v[32:33], v[22:23], 0, v[10:11]
	global_load_dword v36, v[14:15], off offset:16
	global_load_dwordx4 v[0:3], v[14:15], off
	global_load_dwordx4 v[4:7], v[14:15], off offset:-16
	global_load_ushort v26, v[32:33], off offset:2
	v_lshl_add_u64 v[20:21], v[22:23], 0, 2
	v_lshl_add_u64 v[24:25], v[20:21], 0, v[18:19]
	;; [unrolled: 1-line block ×3, first 2 shown]
	global_load_dword v48, v[32:33], off offset:2
	global_load_dword v47, v[30:31], off offset:2
	;; [unrolled: 1-line block ×3, first 2 shown]
	global_load_ushort v20, v[24:25], off offset:64
	global_load_dword v43, v[24:25], off offset:64
	s_getpc_b64 s[20:21]
	s_add_u32 s20, s20, _ZL11iq3xxs_grid@rel32@lo+4
	s_addc_u32 s21, s21, _ZL11iq3xxs_grid@rel32@hi+12
	v_lshl_add_u64 v[14:15], v[14:15], 0, s[16:17]
	s_waitcnt vmcnt(6)
	v_cvt_f32_f16_e32 v4, v4
	s_waitcnt vmcnt(5)
	v_and_b32_sdwa v21, s23, v26 dst_sel:DWORD dst_unused:UNUSED_PAD src0_sel:DWORD src1_sel:BYTE_0
	v_lshlrev_b32_e32 v21, 2, v21
	global_load_dword v21, v21, s[20:21]
	v_lshlrev_b32_sdwa v26, v40, v26 dst_sel:DWORD dst_unused:UNUSED_PAD src0_sel:DWORD src1_sel:BYTE_1
	global_load_dword v26, v26, s[20:21]
	s_waitcnt vmcnt(3)
	v_and_b32_e32 v50, 0xffff, v20
	v_and_b32_e32 v27, 0xff, v50
	v_bcnt_u32_b32 v28, v27, 0
	v_and_b32_e32 v28, 1, v28
	v_lshlrev_b32_e32 v28, 7, v28
	v_xor_b32_e32 v27, v28, v27
	v_mul_lo_u32 v27, v27, s29
	v_and_b32_e32 v28, 0x8000000, v27
	v_lshrrev_b32_e32 v29, 8, v27
	v_lshrrev_b16_e32 v34, 1, v29
	v_cmp_ne_u16_sdwa s[34:35], v28, v11 src0_sel:BYTE_3 src1_sel:DWORD
	v_and_b32_e32 v20, 1, v20
	v_bfe_i32 v34, v34, 0, 1
	v_lshrrev_b32_e32 v35, 18, v27
	v_cndmask_b32_e64 v28, 0, -1, s[34:35]
	v_sub_u16_e32 v20, 0, v20
	v_bfe_i32 v35, v35, 0, 1
	v_lshlrev_b16_e32 v28, 8, v28
	v_lshlrev_b16_e32 v34, 8, v34
	v_or_b32_sdwa v37, v35, v28 dst_sel:WORD_1 dst_unused:UNUSED_PAD src0_sel:BYTE_0 src1_sel:DWORD
	v_or_b32_sdwa v38, v20, v34 dst_sel:DWORD dst_unused:UNUSED_PAD src0_sel:BYTE_0 src1_sel:DWORD
	v_or_b32_sdwa v37, v38, v37 dst_sel:DWORD dst_unused:UNUSED_PAD src0_sel:WORD_0 src1_sel:DWORD
	v_lshlrev_b16_e32 v20, 8, v20
	v_bfe_u32 v75, v50, 7, 8
	v_bcnt_u32_b32 v76, v75, 0
	v_and_b32_e32 v76, 1, v76
	v_lshlrev_b32_e32 v76, 7, v76
	v_xor_b32_e32 v75, v76, v75
	v_mul_lo_u32 v75, v75, s29
	v_and_b32_e32 v76, 0x8000000, v75
	v_lshrrev_b32_e32 v77, 8, v75
	v_lshrrev_b16_e32 v78, 1, v77
	v_bfe_i32 v78, v78, 0, 1
	v_lshrrev_b32_e32 v80, 18, v75
	v_bfe_i32 v62, v50, 7, 1
	v_lshlrev_b16_e32 v78, 8, v78
	v_bfe_i32 v80, v80, 0, 1
	v_or_b32_sdwa v79, v62, v78 dst_sel:DWORD dst_unused:UNUSED_PAD src0_sel:BYTE_0 src1_sel:DWORD
	v_lshlrev_b16_e32 v62, 8, v62
	v_lshrrev_b16_e32 v77, 5, v77
	v_bfe_i32 v77, v77, 0, 1
	v_lshlrev_b16_e32 v77, 8, v77
	s_waitcnt vmcnt(2)
	v_and_b32_e32 v74, 0xffff0000, v43
	v_or_b32_e32 v74, v74, v50
	v_bfe_i32 v51, v50, 14, 1
	v_lshrrev_b32_e32 v73, 16, v43
	s_waitcnt vmcnt(1)
	v_xor_b32_e32 v21, v21, v37
	v_and_b32_e32 v37, 0xffffff00, v21
	v_sub_i16 v34, v37, v34 clamp
	v_lshlrev_b16_e32 v37, 8, v21
	v_and_b32_e32 v34, 0xffffff00, v34
	v_sub_i16 v20, v37, v20 clamp
	v_or_b32_sdwa v20, v20, v34 dst_sel:DWORD dst_unused:UNUSED_PAD src0_sel:BYTE_1 src1_sel:DWORD
	v_and_b32_sdwa v34, v21, s30 dst_sel:DWORD dst_unused:UNUSED_PAD src0_sel:WORD_1 src1_sel:DWORD
	v_sub_i16 v28, v34, v28 clamp
	v_lshlrev_b16_sdwa v21, v41, v21 dst_sel:DWORD dst_unused:UNUSED_PAD src0_sel:DWORD src1_sel:WORD_1
	v_lshlrev_b16_e32 v34, 8, v35
	v_and_b32_e32 v28, 0xffffff00, v28
	v_sub_i16 v21, v21, v34 clamp
	v_or_b32_sdwa v21, v21, v28 dst_sel:WORD_1 dst_unused:UNUSED_PAD src0_sel:BYTE_1 src1_sel:DWORD
	v_lshrrev_b16_e32 v28, 5, v29
	v_or_b32_sdwa v52, v20, v21 dst_sel:DWORD dst_unused:UNUSED_PAD src0_sel:WORD_0 src1_sel:DWORD
	v_and_b32_e32 v20, 0x80000000, v27
	v_cmp_ne_u16_sdwa s[34:35], v20, v11 src0_sel:BYTE_3 src1_sel:DWORD
	v_bfe_i32 v28, v28, 0, 1
	v_lshrrev_b32_e32 v27, 22, v27
	v_cndmask_b32_e64 v20, 0, -1, s[34:35]
	v_bfe_i32 v21, v50, 4, 1
	v_bfe_i32 v27, v27, 0, 1
	v_lshlrev_b16_e32 v20, 8, v20
	v_lshlrev_b16_e32 v28, 8, v28
	v_or_b32_sdwa v29, v27, v20 dst_sel:WORD_1 dst_unused:UNUSED_PAD src0_sel:BYTE_0 src1_sel:DWORD
	v_or_b32_sdwa v34, v21, v28 dst_sel:DWORD dst_unused:UNUSED_PAD src0_sel:BYTE_0 src1_sel:DWORD
	v_or_b32_sdwa v29, v34, v29 dst_sel:DWORD dst_unused:UNUSED_PAD src0_sel:WORD_0 src1_sel:DWORD
	s_waitcnt vmcnt(0)
	v_xor_b32_e32 v26, v26, v29
	v_and_b32_e32 v29, 0xffffff00, v26
	v_sub_i16 v28, v29, v28 clamp
	v_lshlrev_b16_e32 v29, 8, v26
	v_lshlrev_b16_e32 v21, 8, v21
	v_and_b32_e32 v28, 0xffffff00, v28
	v_sub_i16 v21, v29, v21 clamp
	v_or_b32_sdwa v21, v21, v28 dst_sel:DWORD dst_unused:UNUSED_PAD src0_sel:BYTE_1 src1_sel:DWORD
	v_and_b32_sdwa v28, v26, s30 dst_sel:DWORD dst_unused:UNUSED_PAD src0_sel:WORD_1 src1_sel:DWORD
	v_sub_i16 v20, v28, v20 clamp
	v_lshlrev_b16_sdwa v26, v41, v26 dst_sel:DWORD dst_unused:UNUSED_PAD src0_sel:DWORD src1_sel:WORD_1
	v_lshlrev_b16_e32 v27, 8, v27
	v_and_b32_e32 v20, 0xffffff00, v20
	v_sub_i16 v26, v26, v27 clamp
	v_or_b32_sdwa v20, v26, v20 dst_sel:WORD_1 dst_unused:UNUSED_PAD src0_sel:BYTE_1 src1_sel:DWORD
	v_mov_b32_e32 v37, 0
	v_or_b32_sdwa v53, v21, v20 dst_sel:DWORD dst_unused:UNUSED_PAD src0_sel:WORD_0 src1_sel:DWORD
	v_lshlrev_b32_sdwa v20, v40, v48 dst_sel:DWORD dst_unused:UNUSED_PAD src0_sel:DWORD src1_sel:BYTE_2
	global_load_dword v61, v20, s[20:21]
	v_lshlrev_b32_sdwa v20, v40, v48 dst_sel:DWORD dst_unused:UNUSED_PAD src0_sel:DWORD src1_sel:BYTE_3
	global_load_dword v60, v20, s[20:21]
	v_lshlrev_b32_sdwa v20, v40, v47 dst_sel:DWORD dst_unused:UNUSED_PAD src0_sel:DWORD src1_sel:BYTE_2
	global_load_dword v59, v20, s[20:21]
	v_lshlrev_b32_sdwa v20, v40, v47 dst_sel:DWORD dst_unused:UNUSED_PAD src0_sel:DWORD src1_sel:BYTE_3
	global_load_dword v58, v20, s[20:21]
	;; [unrolled: 4-line block ×3, first 2 shown]
	global_load_ushort v38, v[22:23], off
	v_add_u32_e32 v20, s8, v13
	v_mad_i64_i32 v[20:21], s[34:35], v20, s22, v[16:17]
	v_lshl_add_u64 v[34:35], v[20:21], 0, v[10:11]
	global_load_ushort v55, v[34:35], off offset:2
	v_lshl_add_u64 v[26:27], v[20:21], 0, 2
	v_lshl_add_u64 v[28:29], v[26:27], 0, v[10:11]
	;; [unrolled: 1-line block ×3, first 2 shown]
	global_load_dword v49, v[34:35], off offset:2
	global_load_dword v45, v[28:29], off offset:2
	global_load_dword v44, v[28:29], off offset:4
	global_load_ushort v63, v[26:27], off offset:64
	global_load_dword v42, v[26:27], off offset:64
	v_dot4c_i32_i8_e32 v37, v52, v5
	v_dot4c_i32_i8_e32 v37, v53, v6
	v_add_u32_e32 v13, 8, v13
	v_cmp_le_u32_e32 vcc, s5, v13
	s_or_b64 s[12:13], vcc, s[12:13]
	s_waitcnt vmcnt(5)
	v_and_b32_sdwa v64, s23, v55 dst_sel:DWORD dst_unused:UNUSED_PAD src0_sel:DWORD src1_sel:BYTE_0
	v_lshlrev_b32_e32 v64, 2, v64
	global_load_dword v64, v64, s[20:21]
	v_lshlrev_b32_sdwa v55, v40, v55 dst_sel:DWORD dst_unused:UNUSED_PAD src0_sel:DWORD src1_sel:BYTE_1
	global_load_dword v55, v55, s[20:21]
	s_waitcnt vmcnt(3)
	v_and_b32_e32 v54, 0xffff, v63
	v_and_b32_e32 v65, 0xff, v54
	v_bcnt_u32_b32 v66, v65, 0
	v_and_b32_e32 v66, 1, v66
	v_lshlrev_b32_e32 v66, 7, v66
	v_xor_b32_e32 v65, v66, v65
	v_mul_lo_u32 v65, v65, s29
	v_and_b32_e32 v66, 0x8000000, v65
	v_lshrrev_b32_e32 v67, 8, v65
	v_lshrrev_b16_e32 v68, 1, v67
	v_cmp_ne_u16_sdwa s[34:35], v66, v11 src0_sel:BYTE_3 src1_sel:DWORD
	v_and_b32_e32 v63, 1, v63
	v_bfe_i32 v68, v68, 0, 1
	v_lshrrev_b32_e32 v69, 18, v65
	v_cndmask_b32_e64 v66, 0, -1, s[34:35]
	v_sub_u16_e32 v63, 0, v63
	v_bfe_i32 v69, v69, 0, 1
	v_lshlrev_b16_e32 v66, 8, v66
	v_lshlrev_b16_e32 v68, 8, v68
	v_or_b32_sdwa v70, v69, v66 dst_sel:WORD_1 dst_unused:UNUSED_PAD src0_sel:BYTE_0 src1_sel:DWORD
	v_or_b32_sdwa v71, v63, v68 dst_sel:DWORD dst_unused:UNUSED_PAD src0_sel:BYTE_0 src1_sel:DWORD
	v_or_b32_sdwa v70, v71, v70 dst_sel:DWORD dst_unused:UNUSED_PAD src0_sel:WORD_0 src1_sel:DWORD
	v_lshlrev_b16_e32 v63, 8, v63
	v_lshrrev_b16_e32 v67, 5, v67
	v_bfe_i32 v67, v67, 0, 1
	v_lshlrev_b16_e32 v67, 8, v67
	s_waitcnt vmcnt(1)
	v_xor_b32_e32 v64, v64, v70
	v_and_b32_e32 v70, 0xffffff00, v64
	v_sub_i16 v68, v70, v68 clamp
	v_lshlrev_b16_e32 v70, 8, v64
	v_and_b32_e32 v68, 0xffffff00, v68
	v_sub_i16 v63, v70, v63 clamp
	v_or_b32_sdwa v63, v63, v68 dst_sel:DWORD dst_unused:UNUSED_PAD src0_sel:BYTE_1 src1_sel:DWORD
	v_and_b32_sdwa v68, v64, s30 dst_sel:DWORD dst_unused:UNUSED_PAD src0_sel:WORD_1 src1_sel:DWORD
	v_sub_i16 v66, v68, v66 clamp
	v_lshlrev_b16_sdwa v64, v41, v64 dst_sel:DWORD dst_unused:UNUSED_PAD src0_sel:DWORD src1_sel:WORD_1
	v_lshlrev_b16_e32 v68, 8, v69
	v_and_b32_e32 v66, 0xffffff00, v66
	v_sub_i16 v64, v64, v68 clamp
	v_or_b32_sdwa v64, v64, v66 dst_sel:WORD_1 dst_unused:UNUSED_PAD src0_sel:BYTE_1 src1_sel:DWORD
	v_bfe_i32 v66, v54, 4, 1
	v_or_b32_sdwa v63, v63, v64 dst_sel:DWORD dst_unused:UNUSED_PAD src0_sel:WORD_0 src1_sel:DWORD
	v_and_b32_e32 v64, 0x80000000, v65
	v_cmp_ne_u16_sdwa s[34:35], v64, v11 src0_sel:BYTE_3 src1_sel:DWORD
	v_lshrrev_b32_e32 v65, 22, v65
	v_bfe_i32 v65, v65, 0, 1
	v_cndmask_b32_e64 v64, 0, -1, s[34:35]
	v_cmp_ne_u16_sdwa s[34:35], v76, v11 src0_sel:BYTE_3 src1_sel:DWORD
	v_lshlrev_b16_e32 v64, 8, v64
	v_or_b32_sdwa v68, v65, v64 dst_sel:WORD_1 dst_unused:UNUSED_PAD src0_sel:BYTE_0 src1_sel:DWORD
	v_cndmask_b32_e64 v76, 0, -1, s[34:35]
	v_lshlrev_b16_e32 v76, 8, v76
	v_or_b32_sdwa v81, v80, v76 dst_sel:WORD_1 dst_unused:UNUSED_PAD src0_sel:BYTE_0 src1_sel:DWORD
	v_lshlrev_b16_e32 v80, 8, v80
	v_or_b32_sdwa v79, v79, v81 dst_sel:DWORD dst_unused:UNUSED_PAD src0_sel:WORD_0 src1_sel:DWORD
	v_xor_b32_e32 v61, v61, v79
	v_and_b32_e32 v81, 0xffffff00, v61
	v_sub_i16 v81, v81, v78 clamp
	v_lshlrev_b16_e32 v82, 8, v61
	v_and_b32_e32 v81, 0xffffff00, v81
	v_sub_i16 v82, v82, v62 clamp
	v_or_b32_sdwa v81, v82, v81 dst_sel:DWORD dst_unused:UNUSED_PAD src0_sel:BYTE_1 src1_sel:DWORD
	v_and_b32_sdwa v82, v61, s30 dst_sel:DWORD dst_unused:UNUSED_PAD src0_sel:WORD_1 src1_sel:DWORD
	v_sub_i16 v82, v82, v76 clamp
	v_lshlrev_b16_sdwa v61, v41, v61 dst_sel:DWORD dst_unused:UNUSED_PAD src0_sel:DWORD src1_sel:WORD_1
	v_and_b32_e32 v82, 0xffffff00, v82
	v_sub_i16 v61, v61, v80 clamp
	v_or_b32_sdwa v61, v61, v82 dst_sel:WORD_1 dst_unused:UNUSED_PAD src0_sel:BYTE_1 src1_sel:DWORD
	v_or_b32_sdwa v69, v66, v67 dst_sel:DWORD dst_unused:UNUSED_PAD src0_sel:BYTE_0 src1_sel:DWORD
	v_or_b32_sdwa v61, v81, v61 dst_sel:DWORD dst_unused:UNUSED_PAD src0_sel:WORD_0 src1_sel:DWORD
	v_and_b32_e32 v81, 0x80000000, v75
	v_cmp_ne_u16_sdwa s[34:35], v81, v11 src0_sel:BYTE_3 src1_sel:DWORD
	v_or_b32_sdwa v68, v69, v68 dst_sel:DWORD dst_unused:UNUSED_PAD src0_sel:WORD_0 src1_sel:DWORD
	v_lshrrev_b32_e32 v75, 22, v75
	v_cndmask_b32_e64 v81, 0, -1, s[34:35]
	s_waitcnt vmcnt(0)
	v_xor_b32_e32 v55, v55, v68
	v_bfe_i32 v82, v50, 11, 1
	v_bfe_i32 v75, v75, 0, 1
	v_lshlrev_b16_e32 v81, 8, v81
	v_and_b32_e32 v68, 0xffffff00, v55
	v_or_b32_sdwa v83, v75, v81 dst_sel:WORD_1 dst_unused:UNUSED_PAD src0_sel:BYTE_0 src1_sel:DWORD
	v_or_b32_sdwa v84, v82, v77 dst_sel:DWORD dst_unused:UNUSED_PAD src0_sel:BYTE_0 src1_sel:DWORD
	v_sub_i16 v67, v68, v67 clamp
	v_lshlrev_b16_e32 v68, 8, v55
	v_lshlrev_b16_e32 v66, 8, v66
	v_or_b32_sdwa v83, v84, v83 dst_sel:DWORD dst_unused:UNUSED_PAD src0_sel:WORD_0 src1_sel:DWORD
	v_and_b32_e32 v67, 0xffffff00, v67
	v_sub_i16 v66, v68, v66 clamp
	v_xor_b32_e32 v60, v60, v83
	v_or_b32_sdwa v66, v66, v67 dst_sel:DWORD dst_unused:UNUSED_PAD src0_sel:BYTE_1 src1_sel:DWORD
	v_and_b32_sdwa v67, v55, s30 dst_sel:DWORD dst_unused:UNUSED_PAD src0_sel:WORD_1 src1_sel:DWORD
	v_lshlrev_b16_sdwa v55, v41, v55 dst_sel:DWORD dst_unused:UNUSED_PAD src0_sel:DWORD src1_sel:WORD_1
	v_lshlrev_b16_e32 v65, 8, v65
	v_and_b32_e32 v84, 0xffffff00, v60
	v_sub_i16 v55, v55, v65 clamp
	v_mov_b32_e32 v65, 0
	v_sub_i16 v84, v84, v77 clamp
	v_lshlrev_b16_e32 v85, 8, v60
	v_lshlrev_b16_e32 v82, 8, v82
	v_dot4c_i32_i8_e32 v65, v63, v5
	v_lshlrev_b32_sdwa v5, v40, v49 dst_sel:DWORD dst_unused:UNUSED_PAD src0_sel:DWORD src1_sel:BYTE_2
	v_and_b32_e32 v84, 0xffffff00, v84
	v_sub_i16 v85, v85, v82 clamp
	global_load_dword v5, v5, s[20:21]
	v_or_b32_sdwa v84, v85, v84 dst_sel:DWORD dst_unused:UNUSED_PAD src0_sel:BYTE_1 src1_sel:DWORD
	v_and_b32_sdwa v85, v60, s30 dst_sel:DWORD dst_unused:UNUSED_PAD src0_sel:WORD_1 src1_sel:DWORD
	v_sub_i16 v85, v85, v81 clamp
	v_lshlrev_b16_sdwa v60, v41, v60 dst_sel:DWORD dst_unused:UNUSED_PAD src0_sel:DWORD src1_sel:WORD_1
	v_lshlrev_b16_e32 v75, 8, v75
	v_and_b32_e32 v85, 0xffffff00, v85
	v_sub_i16 v60, v60, v75 clamp
	v_or_b32_sdwa v60, v60, v85 dst_sel:WORD_1 dst_unused:UNUSED_PAD src0_sel:BYTE_1 src1_sel:DWORD
	v_dot4c_i32_i8_e32 v37, v61, v7
	v_or_b32_sdwa v60, v84, v60 dst_sel:DWORD dst_unused:UNUSED_PAD src0_sel:WORD_0 src1_sel:DWORD
	v_dot4c_i32_i8_e32 v37, v60, v0
	v_bfe_u32 v60, v74, 14, 8
	v_bcnt_u32_b32 v61, v60, 0
	v_and_b32_e32 v61, 1, v61
	v_lshlrev_b32_e32 v61, 7, v61
	v_sub_i16 v64, v67, v64 clamp
	v_xor_b32_e32 v60, v61, v60
	v_and_b32_e32 v64, 0xffffff00, v64
	v_mul_lo_u32 v60, v60, s29
	v_or_b32_sdwa v55, v55, v64 dst_sel:WORD_1 dst_unused:UNUSED_PAD src0_sel:BYTE_1 src1_sel:DWORD
	v_and_b32_e32 v61, 0x8000000, v60
	v_lshrrev_b32_e32 v74, 8, v60
	v_or_b32_sdwa v64, v66, v55 dst_sel:DWORD dst_unused:UNUSED_PAD src0_sel:WORD_0 src1_sel:DWORD
	v_lshrrev_b16_e32 v84, 1, v74
	v_cmp_ne_u16_sdwa s[34:35], v61, v11 src0_sel:BYTE_3 src1_sel:DWORD
	v_dot4c_i32_i8_e32 v65, v64, v6
	v_lshlrev_b32_sdwa v6, v40, v49 dst_sel:DWORD dst_unused:UNUSED_PAD src0_sel:DWORD src1_sel:BYTE_3
	global_load_dword v6, v6, s[20:21]
	v_bfe_i32 v84, v84, 0, 1
	v_lshrrev_b32_e32 v86, 18, v60
	v_cndmask_b32_e64 v61, 0, -1, s[34:35]
	v_lshlrev_b16_e32 v84, 8, v84
	v_bfe_i32 v86, v86, 0, 1
	v_lshlrev_b16_e32 v61, 8, v61
	v_or_b32_sdwa v85, v51, v84 dst_sel:DWORD dst_unused:UNUSED_PAD src0_sel:BYTE_0 src1_sel:DWORD
	v_or_b32_sdwa v87, v86, v61 dst_sel:WORD_1 dst_unused:UNUSED_PAD src0_sel:BYTE_0 src1_sel:DWORD
	v_lshrrev_b16_e32 v74, 5, v74
	v_or_b32_sdwa v85, v85, v87 dst_sel:DWORD dst_unused:UNUSED_PAD src0_sel:WORD_0 src1_sel:DWORD
	v_xor_b32_e32 v59, v59, v85
	v_and_b32_e32 v85, 0xffffff00, v59
	v_sub_i16 v84, v85, v84 clamp
	v_lshlrev_b16_e32 v85, 8, v59
	v_lshlrev_b16_e32 v87, 8, v51
	v_and_b32_e32 v84, 0xffffff00, v84
	v_sub_i16 v85, v85, v87 clamp
	v_or_b32_sdwa v84, v85, v84 dst_sel:DWORD dst_unused:UNUSED_PAD src0_sel:BYTE_1 src1_sel:DWORD
	v_and_b32_sdwa v85, v59, s30 dst_sel:DWORD dst_unused:UNUSED_PAD src0_sel:WORD_1 src1_sel:DWORD
	v_sub_i16 v61, v85, v61 clamp
	v_lshlrev_b16_sdwa v59, v41, v59 dst_sel:DWORD dst_unused:UNUSED_PAD src0_sel:DWORD src1_sel:WORD_1
	v_lshlrev_b16_e32 v85, 8, v86
	v_and_b32_e32 v61, 0xffffff00, v61
	v_sub_i16 v59, v59, v85 clamp
	v_or_b32_sdwa v59, v59, v61 dst_sel:WORD_1 dst_unused:UNUSED_PAD src0_sel:BYTE_1 src1_sel:DWORD
	v_and_b32_e32 v61, 0x80000000, v60
	v_cmp_ne_u16_sdwa s[34:35], v61, v11 src0_sel:BYTE_3 src1_sel:DWORD
	v_bfe_i32 v74, v74, 0, 1
	v_lshrrev_b32_e32 v60, 22, v60
	v_cndmask_b32_e64 v61, 0, -1, s[34:35]
	v_or_b32_sdwa v59, v84, v59 dst_sel:DWORD dst_unused:UNUSED_PAD src0_sel:WORD_0 src1_sel:DWORD
	v_bfe_i32 v84, v73, 2, 1
	v_bfe_i32 v60, v60, 0, 1
	v_lshlrev_b16_e32 v61, 8, v61
	v_lshlrev_b16_e32 v74, 8, v74
	v_or_b32_sdwa v85, v60, v61 dst_sel:WORD_1 dst_unused:UNUSED_PAD src0_sel:BYTE_0 src1_sel:DWORD
	v_or_b32_sdwa v86, v84, v74 dst_sel:DWORD dst_unused:UNUSED_PAD src0_sel:BYTE_0 src1_sel:DWORD
	v_or_b32_sdwa v85, v86, v85 dst_sel:DWORD dst_unused:UNUSED_PAD src0_sel:WORD_0 src1_sel:DWORD
	v_xor_b32_e32 v58, v58, v85
	v_and_b32_e32 v85, 0xffffff00, v58
	v_sub_i16 v74, v85, v74 clamp
	v_lshlrev_b16_e32 v85, 8, v58
	v_lshlrev_b16_e32 v84, 8, v84
	v_and_b32_e32 v74, 0xffffff00, v74
	v_sub_i16 v84, v85, v84 clamp
	v_lshlrev_b32_sdwa v55, v40, v45 dst_sel:DWORD dst_unused:UNUSED_PAD src0_sel:DWORD src1_sel:BYTE_2
	global_load_dword v67, v55, s[20:21]
	v_or_b32_sdwa v74, v84, v74 dst_sel:DWORD dst_unused:UNUSED_PAD src0_sel:BYTE_1 src1_sel:DWORD
	v_and_b32_sdwa v84, v58, s30 dst_sel:DWORD dst_unused:UNUSED_PAD src0_sel:WORD_1 src1_sel:DWORD
	v_sub_i16 v61, v84, v61 clamp
	v_lshlrev_b16_sdwa v58, v41, v58 dst_sel:DWORD dst_unused:UNUSED_PAD src0_sel:DWORD src1_sel:WORD_1
	v_lshlrev_b16_e32 v60, 8, v60
	v_and_b32_e32 v61, 0xffffff00, v61
	v_sub_i16 v58, v58, v60 clamp
	v_or_b32_sdwa v58, v58, v61 dst_sel:WORD_1 dst_unused:UNUSED_PAD src0_sel:BYTE_1 src1_sel:DWORD
	v_dot4c_i32_i8_e32 v37, v59, v1
	v_or_b32_sdwa v58, v74, v58 dst_sel:DWORD dst_unused:UNUSED_PAD src0_sel:WORD_0 src1_sel:DWORD
	v_dot4c_i32_i8_e32 v37, v58, v2
	v_bfe_u32 v58, v43, 21, 8
	v_bcnt_u32_b32 v59, v58, 0
	v_and_b32_e32 v59, 1, v59
	v_lshlrev_b32_e32 v59, 7, v59
	v_xor_b32_e32 v58, v59, v58
	v_mul_lo_u32 v58, v58, s29
	v_and_b32_e32 v59, 0x8000000, v58
	v_lshrrev_b32_e32 v61, 8, v58
	v_lshrrev_b16_e32 v74, 1, v61
	v_cmp_ne_u16_sdwa s[34:35], v59, v11 src0_sel:BYTE_3 src1_sel:DWORD
	v_lshlrev_b32_sdwa v69, v40, v44 dst_sel:DWORD dst_unused:UNUSED_PAD src0_sel:DWORD src1_sel:BYTE_2
	global_load_dword v69, v69, s[20:21]
	v_bfe_i32 v74, v74, 0, 1
	v_lshrrev_b32_e32 v84, 18, v58
	v_cndmask_b32_e64 v59, 0, -1, s[34:35]
	v_lshlrev_b32_sdwa v55, v40, v45 dst_sel:DWORD dst_unused:UNUSED_PAD src0_sel:DWORD src1_sel:BYTE_3
	v_bfe_i32 v60, v73, 5, 1
	v_bfe_i32 v84, v84, 0, 1
	v_lshlrev_b16_e32 v59, 8, v59
	v_lshlrev_b16_e32 v74, 8, v74
	global_load_dword v68, v55, s[20:21]
	v_or_b32_sdwa v85, v84, v59 dst_sel:WORD_1 dst_unused:UNUSED_PAD src0_sel:BYTE_0 src1_sel:DWORD
	v_or_b32_sdwa v86, v60, v74 dst_sel:DWORD dst_unused:UNUSED_PAD src0_sel:BYTE_0 src1_sel:DWORD
	v_or_b32_sdwa v85, v86, v85 dst_sel:DWORD dst_unused:UNUSED_PAD src0_sel:WORD_0 src1_sel:DWORD
	v_xor_b32_e32 v57, v57, v85
	v_and_b32_e32 v85, 0xffffff00, v57
	v_sub_i16 v74, v85, v74 clamp
	v_lshlrev_b16_e32 v85, 8, v57
	v_lshlrev_b16_e32 v60, 8, v60
	v_and_b32_e32 v74, 0xffffff00, v74
	v_sub_i16 v60, v85, v60 clamp
	v_or_b32_sdwa v60, v60, v74 dst_sel:DWORD dst_unused:UNUSED_PAD src0_sel:BYTE_1 src1_sel:DWORD
	v_and_b32_sdwa v74, v57, s30 dst_sel:DWORD dst_unused:UNUSED_PAD src0_sel:WORD_1 src1_sel:DWORD
	v_sub_i16 v59, v74, v59 clamp
	v_lshlrev_b16_sdwa v57, v41, v57 dst_sel:DWORD dst_unused:UNUSED_PAD src0_sel:DWORD src1_sel:WORD_1
	v_lshlrev_b16_e32 v74, 8, v84
	v_and_b32_e32 v59, 0xffffff00, v59
	v_sub_i16 v57, v57, v74 clamp
	v_or_b32_sdwa v57, v57, v59 dst_sel:WORD_1 dst_unused:UNUSED_PAD src0_sel:BYTE_1 src1_sel:DWORD
	v_and_b32_e32 v59, 0x80000000, v58
	v_lshrrev_b16_e32 v61, 5, v61
	v_cmp_ne_u16_sdwa s[34:35], v59, v11 src0_sel:BYTE_3 src1_sel:DWORD
	v_bfe_i32 v61, v61, 0, 1
	v_lshrrev_b32_e32 v58, 22, v58
	v_cndmask_b32_e64 v59, 0, -1, s[34:35]
	v_or_b32_sdwa v57, v60, v57 dst_sel:DWORD dst_unused:UNUSED_PAD src0_sel:WORD_0 src1_sel:DWORD
	v_bfe_i32 v60, v73, 9, 1
	v_bfe_i32 v58, v58, 0, 1
	v_lshlrev_b16_e32 v59, 8, v59
	v_lshlrev_b16_e32 v61, 8, v61
	v_or_b32_sdwa v73, v58, v59 dst_sel:WORD_1 dst_unused:UNUSED_PAD src0_sel:BYTE_0 src1_sel:DWORD
	v_or_b32_sdwa v74, v60, v61 dst_sel:DWORD dst_unused:UNUSED_PAD src0_sel:BYTE_0 src1_sel:DWORD
	v_or_b32_sdwa v73, v74, v73 dst_sel:DWORD dst_unused:UNUSED_PAD src0_sel:WORD_0 src1_sel:DWORD
	v_xor_b32_e32 v56, v56, v73
	v_and_b32_e32 v73, 0xffffff00, v56
	v_sub_i16 v61, v73, v61 clamp
	v_lshlrev_b16_e32 v73, 8, v56
	v_lshlrev_b16_e32 v60, 8, v60
	v_and_b32_e32 v61, 0xffffff00, v61
	v_sub_i16 v60, v73, v60 clamp
	v_or_b32_sdwa v60, v60, v61 dst_sel:DWORD dst_unused:UNUSED_PAD src0_sel:BYTE_1 src1_sel:DWORD
	v_and_b32_sdwa v61, v56, s30 dst_sel:DWORD dst_unused:UNUSED_PAD src0_sel:WORD_1 src1_sel:DWORD
	v_lshlrev_b16_sdwa v56, v41, v56 dst_sel:DWORD dst_unused:UNUSED_PAD src0_sel:DWORD src1_sel:WORD_1
	v_lshlrev_b16_e32 v58, 8, v58
	v_dot4c_i32_i8_e32 v37, v57, v3
	v_bfe_u32 v57, v54, 7, 8
	v_sub_i16 v56, v56, v58 clamp
	v_bcnt_u32_b32 v58, v57, 0
	v_and_b32_e32 v58, 1, v58
	v_lshlrev_b32_e32 v58, 7, v58
	v_sub_i16 v59, v61, v59 clamp
	v_xor_b32_e32 v57, v58, v57
	v_and_b32_e32 v59, 0xffffff00, v59
	v_mul_lo_u32 v57, v57, s29
	v_or_b32_sdwa v56, v56, v59 dst_sel:WORD_1 dst_unused:UNUSED_PAD src0_sel:BYTE_1 src1_sel:DWORD
	v_and_b32_e32 v58, 0x8000000, v57
	v_lshrrev_b32_e32 v59, 8, v57
	v_or_b32_sdwa v56, v60, v56 dst_sel:DWORD dst_unused:UNUSED_PAD src0_sel:WORD_0 src1_sel:DWORD
	v_lshrrev_b16_e32 v60, 1, v59
	v_cmp_ne_u16_sdwa s[34:35], v58, v11 src0_sel:BYTE_3 src1_sel:DWORD
	v_bfe_i32 v60, v60, 0, 1
	v_lshrrev_b32_e32 v61, 18, v57
	v_cndmask_b32_e64 v58, 0, -1, s[34:35]
	v_bfe_i32 v66, v54, 7, 1
	v_lshlrev_b16_e32 v73, 8, v60
	v_bfe_i32 v61, v61, 0, 1
	v_lshlrev_b16_e32 v74, 8, v58
	v_or_b32_sdwa v60, v66, v73 dst_sel:DWORD dst_unused:UNUSED_PAD src0_sel:BYTE_0 src1_sel:DWORD
	v_or_b32_sdwa v58, v61, v74 dst_sel:WORD_1 dst_unused:UNUSED_PAD src0_sel:BYTE_0 src1_sel:DWORD
	v_lshlrev_b16_e32 v66, 8, v66
	v_or_b32_sdwa v84, v60, v58 dst_sel:DWORD dst_unused:UNUSED_PAD src0_sel:WORD_0 src1_sel:DWORD
	s_waitcnt vmcnt(4)
	v_xor_b32_e32 v5, v5, v84
	v_and_b32_e32 v58, 0xffffff00, v5
	v_sub_i16 v58, v58, v73 clamp
	v_lshlrev_b16_e32 v60, 8, v5
	v_and_b32_e32 v58, 0xffffff00, v58
	v_sub_i16 v60, v60, v66 clamp
	v_lshlrev_b32_sdwa v70, v40, v44 dst_sel:DWORD dst_unused:UNUSED_PAD src0_sel:DWORD src1_sel:BYTE_3
	v_or_b32_sdwa v58, v60, v58 dst_sel:DWORD dst_unused:UNUSED_PAD src0_sel:BYTE_1 src1_sel:DWORD
	v_and_b32_sdwa v60, v5, s30 dst_sel:DWORD dst_unused:UNUSED_PAD src0_sel:WORD_1 src1_sel:DWORD
	global_load_dword v71, v70, s[20:21]
	global_load_ushort v72, v[20:21], off
	v_sub_i16 v60, v60, v74 clamp
	v_lshlrev_b16_sdwa v5, v41, v5 dst_sel:DWORD dst_unused:UNUSED_PAD src0_sel:DWORD src1_sel:WORD_1
	v_lshlrev_b16_e32 v85, 8, v61
	v_and_b32_e32 v60, 0xffffff00, v60
	v_sub_i16 v5, v5, v85 clamp
	v_or_b32_sdwa v5, v5, v60 dst_sel:WORD_1 dst_unused:UNUSED_PAD src0_sel:BYTE_1 src1_sel:DWORD
	v_lshrrev_b16_e32 v59, 5, v59
	v_or_b32_sdwa v5, v58, v5 dst_sel:DWORD dst_unused:UNUSED_PAD src0_sel:WORD_0 src1_sel:DWORD
	v_and_b32_e32 v58, 0x80000000, v57
	v_cmp_ne_u16_sdwa s[34:35], v58, v11 src0_sel:BYTE_3 src1_sel:DWORD
	v_bfe_i32 v59, v59, 0, 1
	v_lshrrev_b32_e32 v57, 22, v57
	v_cndmask_b32_e64 v58, 0, -1, s[34:35]
	v_bfe_i32 v60, v54, 11, 1
	v_bfe_i32 v57, v57, 0, 1
	v_lshlrev_b16_e32 v86, 8, v58
	v_lshlrev_b16_e32 v88, 8, v59
	v_or_b32_sdwa v58, v57, v86 dst_sel:WORD_1 dst_unused:UNUSED_PAD src0_sel:BYTE_0 src1_sel:DWORD
	v_or_b32_sdwa v59, v60, v88 dst_sel:DWORD dst_unused:UNUSED_PAD src0_sel:BYTE_0 src1_sel:DWORD
	v_or_b32_sdwa v89, v59, v58 dst_sel:DWORD dst_unused:UNUSED_PAD src0_sel:WORD_0 src1_sel:DWORD
	s_waitcnt vmcnt(5)
	v_xor_b32_e32 v6, v6, v89
	v_and_b32_e32 v58, 0xffffff00, v6
	v_sub_i16 v58, v58, v88 clamp
	v_lshlrev_b16_e32 v59, 8, v6
	v_lshlrev_b16_e32 v90, 8, v60
	v_and_b32_e32 v58, 0xffffff00, v58
	v_sub_i16 v59, v59, v90 clamp
	v_or_b32_sdwa v58, v59, v58 dst_sel:DWORD dst_unused:UNUSED_PAD src0_sel:BYTE_1 src1_sel:DWORD
	v_and_b32_sdwa v59, v6, s30 dst_sel:DWORD dst_unused:UNUSED_PAD src0_sel:WORD_1 src1_sel:DWORD
	v_sub_i16 v59, v59, v86 clamp
	v_lshlrev_b16_sdwa v6, v41, v6 dst_sel:DWORD dst_unused:UNUSED_PAD src0_sel:DWORD src1_sel:WORD_1
	v_lshlrev_b16_e32 v91, 8, v57
	v_and_b32_e32 v59, 0xffffff00, v59
	v_sub_i16 v6, v6, v91 clamp
	v_dot4c_i32_i8_e32 v37, v56, v36
	v_and_b32_e32 v56, 0xffff0000, v42
	v_or_b32_sdwa v6, v6, v59 dst_sel:WORD_1 dst_unused:UNUSED_PAD src0_sel:BYTE_1 src1_sel:DWORD
	v_or_b32_e32 v56, v56, v54
	v_or_b32_sdwa v6, v58, v6 dst_sel:DWORD dst_unused:UNUSED_PAD src0_sel:WORD_0 src1_sel:DWORD
	v_dot4c_i32_i8_e32 v65, v5, v7
	v_dot4c_i32_i8_e32 v65, v6, v0
	v_bfe_u32 v0, v56, 14, 8
	v_bcnt_u32_b32 v5, v0, 0
	v_and_b32_e32 v5, 1, v5
	v_lshlrev_b32_e32 v5, 7, v5
	v_xor_b32_e32 v0, v5, v0
	v_mul_lo_u32 v0, v0, s29
	v_and_b32_e32 v5, 0x8000000, v0
	v_lshrrev_b32_e32 v6, 8, v0
	v_lshrrev_b16_e32 v7, 1, v6
	v_cmp_ne_u16_sdwa s[34:35], v5, v11 src0_sel:BYTE_3 src1_sel:DWORD
	v_bfe_i32 v7, v7, 0, 1
	v_lshrrev_b32_e32 v57, 18, v0
	v_cndmask_b32_e64 v5, 0, -1, s[34:35]
	v_bfe_i32 v55, v54, 14, 1
	v_lshlrev_b16_e32 v7, 8, v7
	v_bfe_i32 v57, v57, 0, 1
	v_lshlrev_b16_e32 v5, 8, v5
	v_or_b32_sdwa v56, v55, v7 dst_sel:DWORD dst_unused:UNUSED_PAD src0_sel:BYTE_0 src1_sel:DWORD
	v_or_b32_sdwa v58, v57, v5 dst_sel:WORD_1 dst_unused:UNUSED_PAD src0_sel:BYTE_0 src1_sel:DWORD
	v_lshlrev_b16_e32 v57, 8, v57
	v_or_b32_sdwa v56, v56, v58 dst_sel:DWORD dst_unused:UNUSED_PAD src0_sel:WORD_0 src1_sel:DWORD
	s_waitcnt vmcnt(4)
	v_xor_b32_e32 v56, v67, v56
	v_and_b32_e32 v58, 0xffffff00, v56
	v_sub_i16 v7, v58, v7 clamp
	v_lshlrev_b16_e32 v58, 8, v56
	v_lshlrev_b16_e32 v67, 8, v55
	v_and_b32_e32 v7, 0xffffff00, v7
	v_sub_i16 v58, v58, v67 clamp
	v_or_b32_sdwa v7, v58, v7 dst_sel:DWORD dst_unused:UNUSED_PAD src0_sel:BYTE_1 src1_sel:DWORD
	v_and_b32_sdwa v58, v56, s30 dst_sel:DWORD dst_unused:UNUSED_PAD src0_sel:WORD_1 src1_sel:DWORD
	v_sub_i16 v5, v58, v5 clamp
	v_lshlrev_b16_sdwa v56, v41, v56 dst_sel:DWORD dst_unused:UNUSED_PAD src0_sel:DWORD src1_sel:WORD_1
	v_and_b32_e32 v5, 0xffffff00, v5
	v_sub_i16 v56, v56, v57 clamp
	v_or_b32_sdwa v5, v56, v5 dst_sel:WORD_1 dst_unused:UNUSED_PAD src0_sel:BYTE_1 src1_sel:DWORD
	v_lshrrev_b16_e32 v6, 5, v6
	v_or_b32_sdwa v5, v7, v5 dst_sel:DWORD dst_unused:UNUSED_PAD src0_sel:WORD_0 src1_sel:DWORD
	v_and_b32_e32 v7, 0x80000000, v0
	v_cmp_ne_u16_sdwa s[34:35], v7, v11 src0_sel:BYTE_3 src1_sel:DWORD
	v_lshrrev_b32_e32 v70, 16, v42
	v_bfe_i32 v6, v6, 0, 1
	v_lshrrev_b32_e32 v0, 22, v0
	v_cndmask_b32_e64 v7, 0, -1, s[34:35]
	v_bfe_i32 v56, v70, 2, 1
	v_bfe_i32 v0, v0, 0, 1
	v_lshlrev_b16_e32 v7, 8, v7
	v_lshlrev_b16_e32 v6, 8, v6
	v_or_b32_sdwa v57, v0, v7 dst_sel:WORD_1 dst_unused:UNUSED_PAD src0_sel:BYTE_0 src1_sel:DWORD
	v_or_b32_sdwa v58, v56, v6 dst_sel:DWORD dst_unused:UNUSED_PAD src0_sel:BYTE_0 src1_sel:DWORD
	v_or_b32_sdwa v57, v58, v57 dst_sel:DWORD dst_unused:UNUSED_PAD src0_sel:WORD_0 src1_sel:DWORD
	s_waitcnt vmcnt(2)
	v_xor_b32_e32 v57, v68, v57
	v_and_b32_e32 v58, 0xffffff00, v57
	v_sub_i16 v6, v58, v6 clamp
	v_lshlrev_b16_e32 v58, 8, v57
	v_lshlrev_b16_e32 v56, 8, v56
	v_and_b32_e32 v6, 0xffffff00, v6
	v_sub_i16 v56, v58, v56 clamp
	v_or_b32_sdwa v6, v56, v6 dst_sel:DWORD dst_unused:UNUSED_PAD src0_sel:BYTE_1 src1_sel:DWORD
	v_and_b32_sdwa v56, v57, s30 dst_sel:DWORD dst_unused:UNUSED_PAD src0_sel:WORD_1 src1_sel:DWORD
	v_sub_i16 v7, v56, v7 clamp
	v_lshlrev_b16_sdwa v56, v41, v57 dst_sel:DWORD dst_unused:UNUSED_PAD src0_sel:DWORD src1_sel:WORD_1
	v_lshlrev_b16_e32 v0, 8, v0
	v_and_b32_e32 v7, 0xffffff00, v7
	v_sub_i16 v0, v56, v0 clamp
	v_or_b32_sdwa v0, v0, v7 dst_sel:WORD_1 dst_unused:UNUSED_PAD src0_sel:BYTE_1 src1_sel:DWORD
	v_dot4c_i32_i8_e32 v65, v5, v1
	v_or_b32_sdwa v0, v6, v0 dst_sel:DWORD dst_unused:UNUSED_PAD src0_sel:WORD_0 src1_sel:DWORD
	v_dot4c_i32_i8_e32 v65, v0, v2
	v_bfe_u32 v0, v42, 21, 8
	v_bcnt_u32_b32 v1, v0, 0
	v_and_b32_e32 v1, 1, v1
	v_lshlrev_b32_e32 v1, 7, v1
	v_xor_b32_e32 v0, v1, v0
	v_mul_lo_u32 v0, v0, s29
	v_and_b32_e32 v1, 0x8000000, v0
	v_lshrrev_b32_e32 v5, 8, v0
	v_lshrrev_b16_e32 v6, 1, v5
	v_cmp_ne_u16_sdwa s[34:35], v1, v11 src0_sel:BYTE_3 src1_sel:DWORD
	v_bfe_i32 v6, v6, 0, 1
	v_lshrrev_b32_e32 v7, 18, v0
	v_cndmask_b32_e64 v1, 0, -1, s[34:35]
	v_bfe_i32 v2, v70, 5, 1
	v_bfe_i32 v7, v7, 0, 1
	v_lshlrev_b16_e32 v1, 8, v1
	v_lshlrev_b16_e32 v6, 8, v6
	v_or_b32_sdwa v56, v7, v1 dst_sel:WORD_1 dst_unused:UNUSED_PAD src0_sel:BYTE_0 src1_sel:DWORD
	v_or_b32_sdwa v57, v2, v6 dst_sel:DWORD dst_unused:UNUSED_PAD src0_sel:BYTE_0 src1_sel:DWORD
	v_or_b32_sdwa v56, v57, v56 dst_sel:DWORD dst_unused:UNUSED_PAD src0_sel:WORD_0 src1_sel:DWORD
	v_xor_b32_e32 v56, v69, v56
	v_and_b32_e32 v57, 0xffffff00, v56
	v_sub_i16 v6, v57, v6 clamp
	v_lshlrev_b16_e32 v57, 8, v56
	v_lshlrev_b16_e32 v2, 8, v2
	v_and_b32_e32 v6, 0xffffff00, v6
	v_sub_i16 v2, v57, v2 clamp
	v_or_b32_sdwa v2, v2, v6 dst_sel:DWORD dst_unused:UNUSED_PAD src0_sel:BYTE_1 src1_sel:DWORD
	v_and_b32_sdwa v6, v56, s30 dst_sel:DWORD dst_unused:UNUSED_PAD src0_sel:WORD_1 src1_sel:DWORD
	v_sub_i16 v1, v6, v1 clamp
	v_lshlrev_b16_sdwa v6, v41, v56 dst_sel:DWORD dst_unused:UNUSED_PAD src0_sel:DWORD src1_sel:WORD_1
	v_lshlrev_b16_e32 v7, 8, v7
	v_and_b32_e32 v1, 0xffffff00, v1
	v_sub_i16 v6, v6, v7 clamp
	v_or_b32_sdwa v1, v6, v1 dst_sel:WORD_1 dst_unused:UNUSED_PAD src0_sel:BYTE_1 src1_sel:DWORD
	v_lshrrev_b16_e32 v5, 5, v5
	v_or_b32_sdwa v1, v2, v1 dst_sel:DWORD dst_unused:UNUSED_PAD src0_sel:WORD_0 src1_sel:DWORD
	v_and_b32_e32 v2, 0x80000000, v0
	v_cmp_ne_u16_sdwa s[34:35], v2, v11 src0_sel:BYTE_3 src1_sel:DWORD
	v_bfe_i32 v5, v5, 0, 1
	v_lshrrev_b32_e32 v0, 22, v0
	v_cndmask_b32_e64 v2, 0, -1, s[34:35]
	v_bfe_i32 v6, v70, 9, 1
	v_bfe_i32 v0, v0, 0, 1
	v_lshlrev_b16_e32 v2, 8, v2
	v_lshlrev_b16_e32 v5, 8, v5
	v_or_b32_sdwa v7, v0, v2 dst_sel:WORD_1 dst_unused:UNUSED_PAD src0_sel:BYTE_0 src1_sel:DWORD
	v_or_b32_sdwa v56, v6, v5 dst_sel:DWORD dst_unused:UNUSED_PAD src0_sel:BYTE_0 src1_sel:DWORD
	v_or_b32_sdwa v7, v56, v7 dst_sel:DWORD dst_unused:UNUSED_PAD src0_sel:WORD_0 src1_sel:DWORD
	s_waitcnt vmcnt(1)
	v_xor_b32_e32 v7, v71, v7
	v_and_b32_e32 v56, 0xffffff00, v7
	v_sub_i16 v5, v56, v5 clamp
	v_lshlrev_b16_e32 v56, 8, v7
	v_lshlrev_b16_e32 v6, 8, v6
	v_and_b32_e32 v5, 0xffffff00, v5
	v_sub_i16 v6, v56, v6 clamp
	v_or_b32_sdwa v5, v6, v5 dst_sel:DWORD dst_unused:UNUSED_PAD src0_sel:BYTE_1 src1_sel:DWORD
	v_and_b32_sdwa v6, v7, s30 dst_sel:DWORD dst_unused:UNUSED_PAD src0_sel:WORD_1 src1_sel:DWORD
	v_sub_i16 v2, v6, v2 clamp
	v_lshlrev_b16_sdwa v6, v41, v7 dst_sel:DWORD dst_unused:UNUSED_PAD src0_sel:DWORD src1_sel:WORD_1
	v_lshlrev_b16_e32 v0, 8, v0
	v_and_b32_e32 v2, 0xffffff00, v2
	v_sub_i16 v0, v6, v0 clamp
	v_or_b32_sdwa v0, v0, v2 dst_sel:WORD_1 dst_unused:UNUSED_PAD src0_sel:BYTE_1 src1_sel:DWORD
	v_dot4c_i32_i8_e32 v65, v1, v3
	v_or_b32_sdwa v0, v5, v0 dst_sel:DWORD dst_unused:UNUSED_PAD src0_sel:WORD_0 src1_sel:DWORD
	v_dot4c_i32_i8_e32 v65, v0, v36
	v_lshrrev_b32_e32 v0, 31, v37
	v_add_u32_e32 v0, v37, v0
	v_lshrrev_b32_e32 v1, 28, v43
	v_lshrrev_b32_e32 v2, 31, v65
	v_ashrrev_i32_e32 v0, 1, v0
	v_add_u32_e32 v2, v65, v2
	v_lshrrev_b32_e32 v3, 28, v42
	v_ashrrev_i32_e32 v2, 1, v2
	v_mad_u64_u32 v[0:1], s[34:35], v37, v1, v[0:1]
	v_mad_u64_u32 v[2:3], s[34:35], v65, v3, v[2:3]
	v_lshrrev_b32_e32 v1, 31, v0
	v_add_u32_e32 v0, v0, v1
	v_lshrrev_b32_e32 v1, 31, v2
	v_add_u32_e32 v1, v2, v1
	v_ashrrev_i32_e32 v0, 1, v0
	v_ashrrev_i32_e32 v1, 1, v1
	v_cvt_f32_i32_e32 v7, v1
	v_cvt_f32_i32_e32 v6, v0
	scratch_load_dwordx4 v[0:3], off, off
	s_waitcnt vmcnt(1)
	v_cvt_f32_f16_e32 v37, v72
	v_cvt_f32_f16_e32 v36, v38
	v_mov_b32_e32 v69, 0
	v_pk_mul_f32 v[4:5], v[4:5], v[36:37] op_sel_hi:[0,1]
	s_waitcnt vmcnt(0)
	v_pk_fma_f32 v[0:1], v[4:5], v[6:7], v[0:1]
	v_add_u32_e32 v4, s9, v39
	v_mad_u64_u32 v[4:5], s[34:35], v4, 36, s[24:25]
	v_mad_u64_u32 v[60:61], s[34:35], v12, 36, v[4:5]
	global_load_dword v65, v[60:61], off offset:32
	global_load_dwordx4 v[4:7], v[60:61], off offset:16
	global_load_dwordx4 v[56:59], v[60:61], off
	s_waitcnt vmcnt(0)
	v_cvt_f32_f16_e32 v38, v56
	global_load_ushort v56, v[30:31], off offset:2
	global_load_ushort v60, v[30:31], off offset:4
	global_load_ushort v61, v[30:31], off offset:6
	global_load_ushort v68, v[24:25], off offset:66
	v_dot4c_i32_i8_e32 v69, v52, v57
	v_dot4c_i32_i8_e32 v69, v53, v58
	s_waitcnt vmcnt(3)
	v_and_b32_sdwa v52, s23, v56 dst_sel:DWORD dst_unused:UNUSED_PAD src0_sel:DWORD src1_sel:BYTE_0
	v_lshlrev_b32_sdwa v53, v40, v56 dst_sel:DWORD dst_unused:UNUSED_PAD src0_sel:DWORD src1_sel:BYTE_1
	s_waitcnt vmcnt(2)
	v_and_b32_sdwa v56, s23, v60 dst_sel:DWORD dst_unused:UNUSED_PAD src0_sel:DWORD src1_sel:BYTE_0
	s_waitcnt vmcnt(1)
	v_and_b32_sdwa v70, s23, v61 dst_sel:DWORD dst_unused:UNUSED_PAD src0_sel:DWORD src1_sel:BYTE_0
	v_lshlrev_b32_e32 v52, 2, v52
	v_lshlrev_b32_e32 v56, 2, v56
	v_lshlrev_b32_sdwa v60, v40, v60 dst_sel:DWORD dst_unused:UNUSED_PAD src0_sel:DWORD src1_sel:BYTE_1
	v_lshlrev_b32_e32 v70, 2, v70
	v_lshlrev_b32_sdwa v61, v40, v61 dst_sel:DWORD dst_unused:UNUSED_PAD src0_sel:DWORD src1_sel:BYTE_1
	global_load_dword v52, v52, s[20:21]
	s_waitcnt vmcnt(1)
	v_lshl_or_b32 v50, v68, 16, v50
	global_load_dword v53, v53, s[20:21]
	v_bfe_u32 v50, v50, 14, 8
	global_load_dword v56, v56, s[20:21]
	s_nop 0
	global_load_dword v60, v60, s[20:21]
	s_nop 0
	;; [unrolled: 2-line block ×3, first 2 shown]
	global_load_dword v71, v61, s[20:21]
	global_load_ushort v72, v[28:29], off offset:2
	global_load_ushort v92, v[28:29], off offset:4
	;; [unrolled: 1-line block ×4, first 2 shown]
	v_mov_b32_e32 v61, 0
	v_dot4c_i32_i8_e32 v61, v63, v57
	v_dot4c_i32_i8_e32 v61, v64, v58
	s_waitcnt vmcnt(9)
	v_xor_b32_e32 v52, v52, v79
	v_and_b32_e32 v79, 0xffffff00, v52
	v_sub_i16 v78, v79, v78 clamp
	v_lshlrev_b16_e32 v79, 8, v52
	v_and_b32_e32 v78, 0xffffff00, v78
	v_sub_i16 v62, v79, v62 clamp
	s_waitcnt vmcnt(3)
	v_and_b32_sdwa v57, s23, v72 dst_sel:DWORD dst_unused:UNUSED_PAD src0_sel:DWORD src1_sel:BYTE_0
	v_lshlrev_b32_e32 v57, 2, v57
	global_load_dword v57, v57, s[20:21]
	v_lshlrev_b32_sdwa v58, v40, v72 dst_sel:DWORD dst_unused:UNUSED_PAD src0_sel:DWORD src1_sel:BYTE_1
	global_load_dword v58, v58, s[20:21]
	v_or_b32_sdwa v62, v62, v78 dst_sel:DWORD dst_unused:UNUSED_PAD src0_sel:BYTE_1 src1_sel:DWORD
	v_and_b32_sdwa v78, v52, s30 dst_sel:DWORD dst_unused:UNUSED_PAD src0_sel:WORD_1 src1_sel:DWORD
	v_sub_i16 v76, v78, v76 clamp
	v_lshlrev_b16_sdwa v52, v41, v52 dst_sel:DWORD dst_unused:UNUSED_PAD src0_sel:DWORD src1_sel:WORD_1
	v_and_b32_e32 v76, 0xffffff00, v76
	v_sub_i16 v52, v52, v80 clamp
	v_or_b32_sdwa v52, v52, v76 dst_sel:WORD_1 dst_unused:UNUSED_PAD src0_sel:BYTE_1 src1_sel:DWORD
	v_xor_b32_e32 v53, v53, v83
	v_or_b32_sdwa v52, v62, v52 dst_sel:DWORD dst_unused:UNUSED_PAD src0_sel:WORD_0 src1_sel:DWORD
	v_and_b32_e32 v62, 0xffffff00, v53
	v_sub_i16 v62, v62, v77 clamp
	v_lshlrev_b16_e32 v76, 8, v53
	v_and_b32_e32 v62, 0xffffff00, v62
	v_sub_i16 v76, v76, v82 clamp
	v_or_b32_sdwa v62, v76, v62 dst_sel:DWORD dst_unused:UNUSED_PAD src0_sel:BYTE_1 src1_sel:DWORD
	v_and_b32_sdwa v76, v53, s30 dst_sel:DWORD dst_unused:UNUSED_PAD src0_sel:WORD_1 src1_sel:DWORD
	v_dot4c_i32_i8_e32 v69, v52, v59
	v_bcnt_u32_b32 v52, v50, 0
	v_sub_i16 v76, v76, v81 clamp
	v_lshlrev_b16_sdwa v53, v41, v53 dst_sel:DWORD dst_unused:UNUSED_PAD src0_sel:DWORD src1_sel:WORD_1
	v_and_b32_e32 v52, 1, v52
	v_and_b32_e32 v76, 0xffffff00, v76
	v_sub_i16 v53, v53, v75 clamp
	v_lshlrev_b32_e32 v52, 7, v52
	v_or_b32_sdwa v53, v53, v76 dst_sel:WORD_1 dst_unused:UNUSED_PAD src0_sel:BYTE_1 src1_sel:DWORD
	v_xor_b32_e32 v50, v52, v50
	v_or_b32_sdwa v53, v62, v53 dst_sel:DWORD dst_unused:UNUSED_PAD src0_sel:WORD_0 src1_sel:DWORD
	v_mul_lo_u32 v50, v50, s29
	v_dot4c_i32_i8_e32 v69, v53, v4
	v_and_b32_e32 v52, 0x8000000, v50
	v_lshrrev_b32_e32 v53, 8, v50
	v_lshrrev_b16_e32 v62, 1, v53
	v_cmp_ne_u16_sdwa s[34:35], v52, v11 src0_sel:BYTE_3 src1_sel:DWORD
	v_bfe_i32 v62, v62, 0, 1
	v_lshrrev_b32_e32 v75, 18, v50
	v_cndmask_b32_e64 v52, 0, -1, s[34:35]
	v_lshlrev_b16_e32 v62, 8, v62
	v_bfe_i32 v75, v75, 0, 1
	v_lshlrev_b16_e32 v52, 8, v52
	v_or_b32_sdwa v51, v51, v62 dst_sel:DWORD dst_unused:UNUSED_PAD src0_sel:BYTE_0 src1_sel:DWORD
	v_or_b32_sdwa v76, v75, v52 dst_sel:WORD_1 dst_unused:UNUSED_PAD src0_sel:BYTE_0 src1_sel:DWORD
	s_waitcnt vmcnt(4)
	v_and_b32_sdwa v63, s23, v92 dst_sel:DWORD dst_unused:UNUSED_PAD src0_sel:DWORD src1_sel:BYTE_0
	v_or_b32_sdwa v51, v51, v76 dst_sel:DWORD dst_unused:UNUSED_PAD src0_sel:WORD_0 src1_sel:DWORD
	v_xor_b32_e32 v51, v56, v51
	v_and_b32_e32 v56, 0xffffff00, v51
	v_lshlrev_b32_e32 v63, 2, v63
	global_load_dword v63, v63, s[20:21]
	v_sub_i16 v56, v56, v62 clamp
	v_lshlrev_b16_e32 v62, 8, v51
	v_and_b32_e32 v56, 0xffffff00, v56
	v_sub_i16 v62, v62, v87 clamp
	v_or_b32_sdwa v56, v62, v56 dst_sel:DWORD dst_unused:UNUSED_PAD src0_sel:BYTE_1 src1_sel:DWORD
	v_and_b32_sdwa v62, v51, s30 dst_sel:DWORD dst_unused:UNUSED_PAD src0_sel:WORD_1 src1_sel:DWORD
	v_sub_i16 v52, v62, v52 clamp
	v_lshlrev_b16_sdwa v51, v41, v51 dst_sel:DWORD dst_unused:UNUSED_PAD src0_sel:DWORD src1_sel:WORD_1
	v_lshlrev_b16_e32 v62, 8, v75
	v_and_b32_e32 v52, 0xffffff00, v52
	v_sub_i16 v51, v51, v62 clamp
	v_or_b32_sdwa v51, v51, v52 dst_sel:WORD_1 dst_unused:UNUSED_PAD src0_sel:BYTE_1 src1_sel:DWORD
	v_and_b32_e32 v52, 0x80000000, v50
	v_lshrrev_b16_e32 v53, 5, v53
	v_cmp_ne_u16_sdwa s[34:35], v52, v11 src0_sel:BYTE_3 src1_sel:DWORD
	v_bfe_i32 v53, v53, 0, 1
	v_lshrrev_b32_e32 v50, 22, v50
	v_cndmask_b32_e64 v52, 0, -1, s[34:35]
	v_or_b32_sdwa v51, v56, v51 dst_sel:DWORD dst_unused:UNUSED_PAD src0_sel:WORD_0 src1_sel:DWORD
	v_bfe_i32 v56, v68, 2, 1
	v_bfe_i32 v50, v50, 0, 1
	v_lshlrev_b16_e32 v52, 8, v52
	v_lshlrev_b16_e32 v53, 8, v53
	v_or_b32_sdwa v62, v50, v52 dst_sel:WORD_1 dst_unused:UNUSED_PAD src0_sel:BYTE_0 src1_sel:DWORD
	v_or_b32_sdwa v75, v56, v53 dst_sel:DWORD dst_unused:UNUSED_PAD src0_sel:BYTE_0 src1_sel:DWORD
	v_or_b32_sdwa v62, v75, v62 dst_sel:DWORD dst_unused:UNUSED_PAD src0_sel:WORD_0 src1_sel:DWORD
	v_xor_b32_e32 v60, v60, v62
	v_and_b32_e32 v62, 0xffffff00, v60
	v_sub_i16 v53, v62, v53 clamp
	v_lshlrev_b16_e32 v62, 8, v60
	v_lshlrev_b16_e32 v56, 8, v56
	v_lshlrev_b32_sdwa v64, v40, v92 dst_sel:DWORD dst_unused:UNUSED_PAD src0_sel:DWORD src1_sel:BYTE_1
	global_load_dword v64, v64, s[20:21]
	v_and_b32_e32 v53, 0xffffff00, v53
	v_sub_i16 v56, v62, v56 clamp
	v_or_b32_sdwa v53, v56, v53 dst_sel:DWORD dst_unused:UNUSED_PAD src0_sel:BYTE_1 src1_sel:DWORD
	v_and_b32_sdwa v56, v60, s30 dst_sel:DWORD dst_unused:UNUSED_PAD src0_sel:WORD_1 src1_sel:DWORD
	v_sub_i16 v52, v56, v52 clamp
	v_lshlrev_b16_sdwa v56, v41, v60 dst_sel:DWORD dst_unused:UNUSED_PAD src0_sel:DWORD src1_sel:WORD_1
	v_lshlrev_b16_e32 v50, 8, v50
	v_and_b32_e32 v52, 0xffffff00, v52
	v_sub_i16 v50, v56, v50 clamp
	v_or_b32_sdwa v50, v50, v52 dst_sel:WORD_1 dst_unused:UNUSED_PAD src0_sel:BYTE_1 src1_sel:DWORD
	v_dot4c_i32_i8_e32 v69, v51, v5
	v_or_b32_sdwa v50, v53, v50 dst_sel:DWORD dst_unused:UNUSED_PAD src0_sel:WORD_0 src1_sel:DWORD
	v_dot4c_i32_i8_e32 v69, v50, v6
	v_bfe_u32 v50, v68, 5, 8
	v_bcnt_u32_b32 v51, v50, 0
	v_and_b32_e32 v51, 1, v51
	v_lshlrev_b32_e32 v51, 7, v51
	v_xor_b32_e32 v50, v51, v50
	v_mul_lo_u32 v50, v50, s29
	v_and_b32_e32 v51, 0x8000000, v50
	v_lshrrev_b32_e32 v53, 8, v50
	v_lshrrev_b16_e32 v56, 1, v53
	v_cmp_ne_u16_sdwa s[34:35], v51, v11 src0_sel:BYTE_3 src1_sel:DWORD
	v_bfe_i32 v56, v56, 0, 1
	v_lshrrev_b32_e32 v60, 18, v50
	v_cndmask_b32_e64 v51, 0, -1, s[34:35]
	v_bfe_i32 v52, v68, 5, 1
	v_bfe_i32 v60, v60, 0, 1
	v_lshlrev_b16_e32 v51, 8, v51
	v_lshlrev_b16_e32 v56, 8, v56
	v_or_b32_sdwa v62, v60, v51 dst_sel:WORD_1 dst_unused:UNUSED_PAD src0_sel:BYTE_0 src1_sel:DWORD
	v_or_b32_sdwa v75, v52, v56 dst_sel:DWORD dst_unused:UNUSED_PAD src0_sel:BYTE_0 src1_sel:DWORD
	v_or_b32_sdwa v62, v75, v62 dst_sel:DWORD dst_unused:UNUSED_PAD src0_sel:WORD_0 src1_sel:DWORD
	v_xor_b32_e32 v62, v70, v62
	v_and_b32_e32 v70, 0xffffff00, v62
	s_waitcnt vmcnt(5)
	v_and_b32_sdwa v72, s23, v93 dst_sel:DWORD dst_unused:UNUSED_PAD src0_sel:DWORD src1_sel:BYTE_0
	v_sub_i16 v56, v70, v56 clamp
	v_lshlrev_b16_e32 v70, 8, v62
	v_lshlrev_b16_e32 v52, 8, v52
	v_lshlrev_b32_e32 v72, 2, v72
	global_load_dword v72, v72, s[20:21]
	v_and_b32_e32 v56, 0xffffff00, v56
	v_sub_i16 v52, v70, v52 clamp
	v_or_b32_sdwa v52, v52, v56 dst_sel:DWORD dst_unused:UNUSED_PAD src0_sel:BYTE_1 src1_sel:DWORD
	v_and_b32_sdwa v56, v62, s30 dst_sel:DWORD dst_unused:UNUSED_PAD src0_sel:WORD_1 src1_sel:DWORD
	v_sub_i16 v51, v56, v51 clamp
	v_lshlrev_b16_sdwa v56, v41, v62 dst_sel:DWORD dst_unused:UNUSED_PAD src0_sel:DWORD src1_sel:WORD_1
	v_lshlrev_b16_e32 v60, 8, v60
	v_and_b32_e32 v51, 0xffffff00, v51
	v_sub_i16 v56, v56, v60 clamp
	v_or_b32_sdwa v51, v56, v51 dst_sel:WORD_1 dst_unused:UNUSED_PAD src0_sel:BYTE_1 src1_sel:DWORD
	v_lshrrev_b16_e32 v53, 5, v53
	v_or_b32_sdwa v51, v52, v51 dst_sel:DWORD dst_unused:UNUSED_PAD src0_sel:WORD_0 src1_sel:DWORD
	v_and_b32_e32 v52, 0x80000000, v50
	v_cmp_ne_u16_sdwa s[34:35], v52, v11 src0_sel:BYTE_3 src1_sel:DWORD
	v_bfe_i32 v53, v53, 0, 1
	v_lshrrev_b32_e32 v50, 22, v50
	v_cndmask_b32_e64 v52, 0, -1, s[34:35]
	v_bfe_i32 v56, v68, 9, 1
	v_bfe_i32 v50, v50, 0, 1
	v_lshlrev_b16_e32 v52, 8, v52
	v_lshlrev_b16_e32 v53, 8, v53
	v_or_b32_sdwa v60, v50, v52 dst_sel:WORD_1 dst_unused:UNUSED_PAD src0_sel:BYTE_0 src1_sel:DWORD
	v_or_b32_sdwa v62, v56, v53 dst_sel:DWORD dst_unused:UNUSED_PAD src0_sel:BYTE_0 src1_sel:DWORD
	v_or_b32_sdwa v60, v62, v60 dst_sel:DWORD dst_unused:UNUSED_PAD src0_sel:WORD_0 src1_sel:DWORD
	v_xor_b32_e32 v60, v71, v60
	v_and_b32_e32 v62, 0xffffff00, v60
	v_sub_i16 v53, v62, v53 clamp
	v_lshlrev_b16_e32 v62, 8, v60
	v_lshlrev_b16_e32 v56, 8, v56
	v_lshlrev_b32_sdwa v92, v40, v93 dst_sel:DWORD dst_unused:UNUSED_PAD src0_sel:DWORD src1_sel:BYTE_1
	global_load_dword v92, v92, s[20:21]
	v_and_b32_e32 v53, 0xffffff00, v53
	v_sub_i16 v56, v62, v56 clamp
	v_or_b32_sdwa v53, v56, v53 dst_sel:DWORD dst_unused:UNUSED_PAD src0_sel:BYTE_1 src1_sel:DWORD
	v_and_b32_sdwa v56, v60, s30 dst_sel:DWORD dst_unused:UNUSED_PAD src0_sel:WORD_1 src1_sel:DWORD
	v_sub_i16 v52, v56, v52 clamp
	v_lshlrev_b16_sdwa v56, v41, v60 dst_sel:DWORD dst_unused:UNUSED_PAD src0_sel:DWORD src1_sel:WORD_1
	v_lshlrev_b16_e32 v50, 8, v50
	v_and_b32_e32 v52, 0xffffff00, v52
	v_sub_i16 v50, v56, v50 clamp
	v_dot4c_i32_i8_e32 v69, v51, v7
	s_waitcnt vmcnt(5)
	v_xor_b32_e32 v51, v57, v84
	v_or_b32_sdwa v50, v50, v52 dst_sel:WORD_1 dst_unused:UNUSED_PAD src0_sel:BYTE_1 src1_sel:DWORD
	v_and_b32_e32 v52, 0xffffff00, v51
	v_or_b32_sdwa v50, v53, v50 dst_sel:DWORD dst_unused:UNUSED_PAD src0_sel:WORD_0 src1_sel:DWORD
	v_sub_i16 v52, v52, v73 clamp
	v_lshlrev_b16_e32 v53, 8, v51
	v_and_b32_e32 v52, 0xffffff00, v52
	v_sub_i16 v53, v53, v66 clamp
	v_or_b32_sdwa v52, v53, v52 dst_sel:DWORD dst_unused:UNUSED_PAD src0_sel:BYTE_1 src1_sel:DWORD
	v_and_b32_sdwa v53, v51, s30 dst_sel:DWORD dst_unused:UNUSED_PAD src0_sel:WORD_1 src1_sel:DWORD
	v_sub_i16 v53, v53, v74 clamp
	v_lshlrev_b16_sdwa v51, v41, v51 dst_sel:DWORD dst_unused:UNUSED_PAD src0_sel:DWORD src1_sel:WORD_1
	v_and_b32_e32 v53, 0xffffff00, v53
	v_sub_i16 v51, v51, v85 clamp
	v_or_b32_sdwa v51, v51, v53 dst_sel:WORD_1 dst_unused:UNUSED_PAD src0_sel:BYTE_1 src1_sel:DWORD
	v_dot4c_i32_i8_e32 v69, v50, v65
	v_or_b32_sdwa v51, v52, v51 dst_sel:DWORD dst_unused:UNUSED_PAD src0_sel:WORD_0 src1_sel:DWORD
	s_waitcnt vmcnt(4)
	v_xor_b32_e32 v52, v58, v89
	v_and_b32_e32 v53, 0xffffff00, v52
	v_lshl_or_b32 v50, v94, 16, v54
	v_sub_i16 v53, v53, v88 clamp
	v_lshlrev_b16_e32 v54, 8, v52
	v_and_b32_e32 v53, 0xffffff00, v53
	v_sub_i16 v54, v54, v90 clamp
	v_or_b32_sdwa v53, v54, v53 dst_sel:DWORD dst_unused:UNUSED_PAD src0_sel:BYTE_1 src1_sel:DWORD
	v_and_b32_sdwa v54, v52, s30 dst_sel:DWORD dst_unused:UNUSED_PAD src0_sel:WORD_1 src1_sel:DWORD
	v_sub_i16 v54, v54, v86 clamp
	v_lshlrev_b16_sdwa v52, v41, v52 dst_sel:DWORD dst_unused:UNUSED_PAD src0_sel:DWORD src1_sel:WORD_1
	v_and_b32_e32 v54, 0xffffff00, v54
	v_sub_i16 v52, v52, v91 clamp
	v_or_b32_sdwa v52, v52, v54 dst_sel:WORD_1 dst_unused:UNUSED_PAD src0_sel:BYTE_1 src1_sel:DWORD
	v_dot4c_i32_i8_e32 v61, v51, v59
	v_or_b32_sdwa v52, v53, v52 dst_sel:DWORD dst_unused:UNUSED_PAD src0_sel:WORD_0 src1_sel:DWORD
	v_dot4c_i32_i8_e32 v61, v52, v4
	v_bfe_u32 v4, v50, 14, 8
	v_bcnt_u32_b32 v50, v4, 0
	v_and_b32_e32 v50, 1, v50
	v_lshlrev_b32_e32 v50, 7, v50
	v_xor_b32_e32 v4, v50, v4
	v_mul_lo_u32 v4, v4, s29
	v_and_b32_e32 v50, 0x8000000, v4
	v_lshrrev_b32_e32 v51, 8, v4
	v_lshrrev_b16_e32 v52, 1, v51
	v_cmp_ne_u16_sdwa s[34:35], v50, v11 src0_sel:BYTE_3 src1_sel:DWORD
	v_bfe_i32 v52, v52, 0, 1
	v_lshrrev_b32_e32 v54, 18, v4
	v_cndmask_b32_e64 v50, 0, -1, s[34:35]
	v_lshlrev_b16_e32 v52, 8, v52
	v_bfe_i32 v54, v54, 0, 1
	v_lshlrev_b16_e32 v50, 8, v50
	v_or_b32_sdwa v53, v55, v52 dst_sel:DWORD dst_unused:UNUSED_PAD src0_sel:BYTE_0 src1_sel:DWORD
	v_or_b32_sdwa v55, v54, v50 dst_sel:WORD_1 dst_unused:UNUSED_PAD src0_sel:BYTE_0 src1_sel:DWORD
	v_lshlrev_b16_e32 v54, 8, v54
	v_or_b32_sdwa v53, v53, v55 dst_sel:DWORD dst_unused:UNUSED_PAD src0_sel:WORD_0 src1_sel:DWORD
	s_waitcnt vmcnt(3)
	v_xor_b32_e32 v53, v63, v53
	v_and_b32_e32 v55, 0xffffff00, v53
	v_sub_i16 v52, v55, v52 clamp
	v_lshlrev_b16_e32 v55, 8, v53
	v_and_b32_e32 v52, 0xffffff00, v52
	v_sub_i16 v55, v55, v67 clamp
	v_or_b32_sdwa v52, v55, v52 dst_sel:DWORD dst_unused:UNUSED_PAD src0_sel:BYTE_1 src1_sel:DWORD
	v_and_b32_sdwa v55, v53, s30 dst_sel:DWORD dst_unused:UNUSED_PAD src0_sel:WORD_1 src1_sel:DWORD
	v_sub_i16 v50, v55, v50 clamp
	v_lshlrev_b16_sdwa v53, v41, v53 dst_sel:DWORD dst_unused:UNUSED_PAD src0_sel:DWORD src1_sel:WORD_1
	v_and_b32_e32 v50, 0xffffff00, v50
	v_sub_i16 v53, v53, v54 clamp
	v_or_b32_sdwa v50, v53, v50 dst_sel:WORD_1 dst_unused:UNUSED_PAD src0_sel:BYTE_1 src1_sel:DWORD
	v_lshrrev_b16_e32 v51, 5, v51
	v_or_b32_sdwa v50, v52, v50 dst_sel:DWORD dst_unused:UNUSED_PAD src0_sel:WORD_0 src1_sel:DWORD
	v_and_b32_e32 v52, 0x80000000, v4
	v_cmp_ne_u16_sdwa s[34:35], v52, v11 src0_sel:BYTE_3 src1_sel:DWORD
	v_bfe_i32 v51, v51, 0, 1
	v_lshrrev_b32_e32 v4, 22, v4
	v_cndmask_b32_e64 v52, 0, -1, s[34:35]
	v_bfe_i32 v53, v94, 2, 1
	v_bfe_i32 v4, v4, 0, 1
	v_lshlrev_b16_e32 v52, 8, v52
	v_lshlrev_b16_e32 v51, 8, v51
	v_or_b32_sdwa v54, v4, v52 dst_sel:WORD_1 dst_unused:UNUSED_PAD src0_sel:BYTE_0 src1_sel:DWORD
	v_or_b32_sdwa v55, v53, v51 dst_sel:DWORD dst_unused:UNUSED_PAD src0_sel:BYTE_0 src1_sel:DWORD
	v_or_b32_sdwa v54, v55, v54 dst_sel:DWORD dst_unused:UNUSED_PAD src0_sel:WORD_0 src1_sel:DWORD
	s_waitcnt vmcnt(2)
	v_xor_b32_e32 v54, v64, v54
	v_and_b32_e32 v55, 0xffffff00, v54
	v_sub_i16 v51, v55, v51 clamp
	v_lshlrev_b16_e32 v55, 8, v54
	v_lshlrev_b16_e32 v53, 8, v53
	v_and_b32_e32 v51, 0xffffff00, v51
	v_sub_i16 v53, v55, v53 clamp
	v_or_b32_sdwa v51, v53, v51 dst_sel:DWORD dst_unused:UNUSED_PAD src0_sel:BYTE_1 src1_sel:DWORD
	v_and_b32_sdwa v53, v54, s30 dst_sel:DWORD dst_unused:UNUSED_PAD src0_sel:WORD_1 src1_sel:DWORD
	v_sub_i16 v52, v53, v52 clamp
	v_lshlrev_b16_sdwa v53, v41, v54 dst_sel:DWORD dst_unused:UNUSED_PAD src0_sel:DWORD src1_sel:WORD_1
	v_lshlrev_b16_e32 v4, 8, v4
	v_and_b32_e32 v52, 0xffffff00, v52
	v_sub_i16 v4, v53, v4 clamp
	v_or_b32_sdwa v4, v4, v52 dst_sel:WORD_1 dst_unused:UNUSED_PAD src0_sel:BYTE_1 src1_sel:DWORD
	v_dot4c_i32_i8_e32 v61, v50, v5
	v_or_b32_sdwa v4, v51, v4 dst_sel:DWORD dst_unused:UNUSED_PAD src0_sel:WORD_0 src1_sel:DWORD
	v_dot4c_i32_i8_e32 v61, v4, v6
	v_bfe_u32 v4, v94, 5, 8
	v_bcnt_u32_b32 v5, v4, 0
	v_and_b32_e32 v5, 1, v5
	v_lshlrev_b32_e32 v5, 7, v5
	v_xor_b32_e32 v4, v5, v4
	v_mul_lo_u32 v4, v4, s29
	v_and_b32_e32 v5, 0x8000000, v4
	v_lshrrev_b32_e32 v50, 8, v4
	v_lshrrev_b16_e32 v51, 1, v50
	v_cmp_ne_u16_sdwa s[34:35], v5, v11 src0_sel:BYTE_3 src1_sel:DWORD
	v_bfe_i32 v51, v51, 0, 1
	v_lshrrev_b32_e32 v52, 18, v4
	v_cndmask_b32_e64 v5, 0, -1, s[34:35]
	v_bfe_i32 v6, v94, 5, 1
	v_bfe_i32 v52, v52, 0, 1
	v_lshlrev_b16_e32 v5, 8, v5
	v_lshlrev_b16_e32 v51, 8, v51
	v_or_b32_sdwa v53, v52, v5 dst_sel:WORD_1 dst_unused:UNUSED_PAD src0_sel:BYTE_0 src1_sel:DWORD
	v_or_b32_sdwa v54, v6, v51 dst_sel:DWORD dst_unused:UNUSED_PAD src0_sel:BYTE_0 src1_sel:DWORD
	v_or_b32_sdwa v53, v54, v53 dst_sel:DWORD dst_unused:UNUSED_PAD src0_sel:WORD_0 src1_sel:DWORD
	s_waitcnt vmcnt(1)
	v_xor_b32_e32 v53, v72, v53
	v_and_b32_e32 v54, 0xffffff00, v53
	v_sub_i16 v51, v54, v51 clamp
	v_lshlrev_b16_e32 v54, 8, v53
	v_lshlrev_b16_e32 v6, 8, v6
	v_and_b32_e32 v51, 0xffffff00, v51
	v_sub_i16 v6, v54, v6 clamp
	v_or_b32_sdwa v6, v6, v51 dst_sel:DWORD dst_unused:UNUSED_PAD src0_sel:BYTE_1 src1_sel:DWORD
	v_and_b32_sdwa v51, v53, s30 dst_sel:DWORD dst_unused:UNUSED_PAD src0_sel:WORD_1 src1_sel:DWORD
	v_sub_i16 v5, v51, v5 clamp
	v_lshlrev_b16_sdwa v51, v41, v53 dst_sel:DWORD dst_unused:UNUSED_PAD src0_sel:DWORD src1_sel:WORD_1
	v_lshlrev_b16_e32 v52, 8, v52
	v_and_b32_e32 v5, 0xffffff00, v5
	v_sub_i16 v51, v51, v52 clamp
	v_or_b32_sdwa v5, v51, v5 dst_sel:WORD_1 dst_unused:UNUSED_PAD src0_sel:BYTE_1 src1_sel:DWORD
	v_lshrrev_b16_e32 v50, 5, v50
	v_or_b32_sdwa v5, v6, v5 dst_sel:DWORD dst_unused:UNUSED_PAD src0_sel:WORD_0 src1_sel:DWORD
	v_and_b32_e32 v6, 0x80000000, v4
	v_cmp_ne_u16_sdwa s[34:35], v6, v11 src0_sel:BYTE_3 src1_sel:DWORD
	v_bfe_i32 v50, v50, 0, 1
	v_lshrrev_b32_e32 v4, 22, v4
	v_cndmask_b32_e64 v6, 0, -1, s[34:35]
	v_bfe_i32 v51, v94, 9, 1
	v_bfe_i32 v4, v4, 0, 1
	v_lshlrev_b16_e32 v6, 8, v6
	v_lshlrev_b16_e32 v50, 8, v50
	v_or_b32_sdwa v52, v4, v6 dst_sel:WORD_1 dst_unused:UNUSED_PAD src0_sel:BYTE_0 src1_sel:DWORD
	v_or_b32_sdwa v53, v51, v50 dst_sel:DWORD dst_unused:UNUSED_PAD src0_sel:BYTE_0 src1_sel:DWORD
	v_or_b32_sdwa v52, v53, v52 dst_sel:DWORD dst_unused:UNUSED_PAD src0_sel:WORD_0 src1_sel:DWORD
	s_waitcnt vmcnt(0)
	v_xor_b32_e32 v52, v92, v52
	v_and_b32_e32 v53, 0xffffff00, v52
	v_sub_i16 v50, v53, v50 clamp
	v_lshlrev_b16_e32 v53, 8, v52
	v_lshlrev_b16_e32 v51, 8, v51
	v_and_b32_e32 v50, 0xffffff00, v50
	v_sub_i16 v51, v53, v51 clamp
	v_or_b32_sdwa v50, v51, v50 dst_sel:DWORD dst_unused:UNUSED_PAD src0_sel:BYTE_1 src1_sel:DWORD
	v_and_b32_sdwa v51, v52, s30 dst_sel:DWORD dst_unused:UNUSED_PAD src0_sel:WORD_1 src1_sel:DWORD
	v_sub_i16 v6, v51, v6 clamp
	v_lshlrev_b16_sdwa v51, v41, v52 dst_sel:DWORD dst_unused:UNUSED_PAD src0_sel:DWORD src1_sel:WORD_1
	v_lshlrev_b16_e32 v4, 8, v4
	v_and_b32_e32 v6, 0xffffff00, v6
	v_sub_i16 v4, v51, v4 clamp
	v_or_b32_sdwa v4, v4, v6 dst_sel:WORD_1 dst_unused:UNUSED_PAD src0_sel:BYTE_1 src1_sel:DWORD
	v_dot4c_i32_i8_e32 v61, v5, v7
	v_or_b32_sdwa v4, v50, v4 dst_sel:DWORD dst_unused:UNUSED_PAD src0_sel:WORD_0 src1_sel:DWORD
	v_dot4c_i32_i8_e32 v61, v4, v65
	v_lshrrev_b32_e32 v4, 31, v69
	v_add_u32_e32 v4, v69, v4
	v_lshrrev_b32_e32 v5, 12, v68
	v_ashrrev_i32_e32 v4, 1, v4
	v_lshrrev_b32_e32 v6, 31, v61
	v_add_u32_e32 v6, v61, v6
	v_mad_u64_u32 v[4:5], s[34:35], v69, v5, v[4:5]
	v_lshrrev_b32_e32 v7, 12, v94
	v_ashrrev_i32_e32 v6, 1, v6
	v_lshrrev_b32_e32 v5, 31, v4
	v_mad_u64_u32 v[6:7], s[34:35], v61, v7, v[6:7]
	v_add_u32_e32 v4, v4, v5
	v_ashrrev_i32_e32 v50, 1, v4
	v_lshrrev_b32_e32 v4, 31, v6
	v_add_u32_e32 v4, v6, v4
	v_ashrrev_i32_e32 v6, 1, v4
	v_cvt_f32_i32_e32 v7, v6
	v_cvt_f32_i32_e32 v6, v50
	v_pk_mul_f32 v[4:5], v[38:39], v[36:37] op_sel_hi:[0,1]
	v_pk_fma_f32 v[2:3], v[4:5], v[6:7], v[2:3]
	scratch_store_dwordx4 off, v[0:3], off
	s_nop 1
	v_add_u32_e32 v0, s11, v39
	v_mad_u64_u32 v[0:1], s[34:35], v0, 36, s[24:25]
	v_mad_u64_u32 v[50:51], s[34:35], v12, 36, v[0:1]
	global_load_dword v36, v[50:51], off offset:32
	global_load_dwordx4 v[0:3], v[50:51], off offset:16
	global_load_dwordx4 v[4:7], v[50:51], off
	global_load_ushort v38, v[32:33], off offset:2
	global_load_ushort v52, v[30:31], off offset:2
	;; [unrolled: 1-line block ×4, first 2 shown]
	s_nop 0
	global_load_ushort v50, v[24:25], off offset:64
	global_load_ushort v37, v[24:25], off offset:66
	s_waitcnt vmcnt(5)
	v_and_b32_sdwa v51, s23, v38 dst_sel:DWORD dst_unused:UNUSED_PAD src0_sel:DWORD src1_sel:BYTE_0
	v_lshlrev_b32_e32 v51, 2, v51
	global_load_dword v51, v51, s[20:21]
	v_lshlrev_b32_sdwa v38, v40, v38 dst_sel:DWORD dst_unused:UNUSED_PAD src0_sel:DWORD src1_sel:BYTE_1
	global_load_dword v56, v38, s[20:21]
	s_waitcnt vmcnt(3)
	v_and_b32_e32 v55, 0xffff, v50
	v_and_b32_e32 v38, 0xff, v55
	v_bcnt_u32_b32 v57, v38, 0
	v_and_b32_e32 v57, 1, v57
	v_lshlrev_b32_e32 v57, 7, v57
	v_xor_b32_e32 v38, v57, v38
	v_mul_lo_u32 v57, v38, s29
	v_and_b32_e32 v38, 0x8000000, v57
	v_lshrrev_b32_e32 v58, 8, v57
	v_lshrrev_b16_e32 v59, 1, v58
	v_cmp_ne_u16_sdwa s[34:35], v38, v11 src0_sel:BYTE_3 src1_sel:DWORD
	v_and_b32_e32 v50, 1, v50
	v_bfe_i32 v59, v59, 0, 1
	v_lshrrev_b32_e32 v60, 18, v57
	v_cndmask_b32_e64 v38, 0, -1, s[34:35]
	v_sub_u16_e32 v50, 0, v50
	v_bfe_i32 v60, v60, 0, 1
	v_lshlrev_b16_e32 v38, 8, v38
	v_lshlrev_b16_e32 v59, 8, v59
	v_or_b32_sdwa v61, v60, v38 dst_sel:WORD_1 dst_unused:UNUSED_PAD src0_sel:BYTE_0 src1_sel:DWORD
	v_or_b32_sdwa v62, v50, v59 dst_sel:DWORD dst_unused:UNUSED_PAD src0_sel:BYTE_0 src1_sel:DWORD
	v_or_b32_sdwa v61, v62, v61 dst_sel:DWORD dst_unused:UNUSED_PAD src0_sel:WORD_0 src1_sel:DWORD
	v_lshlrev_b16_e32 v50, 8, v50
	v_lshrrev_b16_e32 v58, 5, v58
	v_bfe_i32 v58, v58, 0, 1
	v_lshlrev_b16_e32 v58, 8, v58
	v_cvt_f32_f16_e32 v4, v4
	s_waitcnt vmcnt(1)
	v_xor_b32_e32 v51, v51, v61
	v_and_b32_e32 v61, 0xffffff00, v51
	v_sub_i16 v59, v61, v59 clamp
	v_lshlrev_b16_e32 v61, 8, v51
	v_and_b32_e32 v59, 0xffffff00, v59
	v_sub_i16 v50, v61, v50 clamp
	v_or_b32_sdwa v50, v50, v59 dst_sel:DWORD dst_unused:UNUSED_PAD src0_sel:BYTE_1 src1_sel:DWORD
	v_and_b32_sdwa v59, v51, s30 dst_sel:DWORD dst_unused:UNUSED_PAD src0_sel:WORD_1 src1_sel:DWORD
	v_sub_i16 v38, v59, v38 clamp
	v_lshlrev_b16_sdwa v51, v41, v51 dst_sel:DWORD dst_unused:UNUSED_PAD src0_sel:DWORD src1_sel:WORD_1
	v_lshlrev_b16_e32 v59, 8, v60
	v_and_b32_e32 v38, 0xffffff00, v38
	v_sub_i16 v51, v51, v59 clamp
	v_or_b32_sdwa v38, v51, v38 dst_sel:WORD_1 dst_unused:UNUSED_PAD src0_sel:BYTE_1 src1_sel:DWORD
	v_bfe_i32 v51, v55, 4, 1
	v_or_b32_sdwa v38, v50, v38 dst_sel:DWORD dst_unused:UNUSED_PAD src0_sel:WORD_0 src1_sel:DWORD
	v_and_b32_e32 v50, 0x80000000, v57
	v_cmp_ne_u16_sdwa s[34:35], v50, v11 src0_sel:BYTE_3 src1_sel:DWORD
	v_lshrrev_b32_e32 v57, 22, v57
	v_bfe_i32 v57, v57, 0, 1
	v_cndmask_b32_e64 v50, 0, -1, s[34:35]
	v_lshlrev_b16_e32 v50, 8, v50
	v_or_b32_sdwa v59, v57, v50 dst_sel:WORD_1 dst_unused:UNUSED_PAD src0_sel:BYTE_0 src1_sel:DWORD
	v_or_b32_sdwa v60, v51, v58 dst_sel:DWORD dst_unused:UNUSED_PAD src0_sel:BYTE_0 src1_sel:DWORD
	v_or_b32_sdwa v59, v60, v59 dst_sel:DWORD dst_unused:UNUSED_PAD src0_sel:WORD_0 src1_sel:DWORD
	s_waitcnt vmcnt(0)
	v_xor_b32_e32 v56, v56, v59
	v_and_b32_e32 v59, 0xffffff00, v56
	v_sub_i16 v58, v59, v58 clamp
	v_lshlrev_b16_e32 v59, 8, v56
	v_lshlrev_b16_e32 v51, 8, v51
	v_and_b32_e32 v58, 0xffffff00, v58
	v_sub_i16 v51, v59, v51 clamp
	v_or_b32_sdwa v51, v51, v58 dst_sel:DWORD dst_unused:UNUSED_PAD src0_sel:BYTE_1 src1_sel:DWORD
	v_and_b32_sdwa v58, v56, s30 dst_sel:DWORD dst_unused:UNUSED_PAD src0_sel:WORD_1 src1_sel:DWORD
	v_sub_i16 v50, v58, v50 clamp
	v_lshlrev_b16_sdwa v56, v41, v56 dst_sel:DWORD dst_unused:UNUSED_PAD src0_sel:DWORD src1_sel:WORD_1
	v_lshlrev_b16_e32 v57, 8, v57
	v_and_b32_e32 v50, 0xffffff00, v50
	v_sub_i16 v56, v56, v57 clamp
	v_or_b32_sdwa v50, v56, v50 dst_sel:WORD_1 dst_unused:UNUSED_PAD src0_sel:BYTE_1 src1_sel:DWORD
	v_and_b32_sdwa v56, s23, v52 dst_sel:DWORD dst_unused:UNUSED_PAD src0_sel:DWORD src1_sel:BYTE_0
	v_lshlrev_b32_e32 v56, 2, v56
	v_lshlrev_b32_sdwa v52, v40, v52 dst_sel:DWORD dst_unused:UNUSED_PAD src0_sel:DWORD src1_sel:BYTE_1
	global_load_dword v56, v56, s[20:21]
	v_bfe_i32 v58, v55, 7, 1
	global_load_dword v57, v52, s[20:21]
	v_and_b32_sdwa v52, s23, v53 dst_sel:DWORD dst_unused:UNUSED_PAD src0_sel:DWORD src1_sel:BYTE_0
	v_lshlrev_b32_e32 v52, 2, v52
	global_load_dword v59, v52, s[20:21]
	v_lshlrev_b32_sdwa v52, v40, v53 dst_sel:DWORD dst_unused:UNUSED_PAD src0_sel:DWORD src1_sel:BYTE_1
	global_load_dword v53, v52, s[20:21]
	v_and_b32_sdwa v52, s23, v54 dst_sel:DWORD dst_unused:UNUSED_PAD src0_sel:DWORD src1_sel:BYTE_0
	v_lshlrev_b32_e32 v52, 2, v52
	v_lshlrev_b32_sdwa v54, v40, v54 dst_sel:DWORD dst_unused:UNUSED_PAD src0_sel:DWORD src1_sel:BYTE_1
	global_load_dword v61, v52, s[20:21]
	global_load_dword v62, v54, s[20:21]
	s_nop 0
	global_load_ushort v52, v[22:23], off
	global_load_ushort v63, v[34:35], off offset:2
	global_load_ushort v64, v[28:29], off offset:2
	;; [unrolled: 1-line block ×5, first 2 shown]
	v_or_b32_sdwa v50, v51, v50 dst_sel:DWORD dst_unused:UNUSED_PAD src0_sel:WORD_0 src1_sel:DWORD
	v_mov_b32_e32 v51, 0
	v_dot4c_i32_i8_e32 v51, v38, v5
	v_dot4c_i32_i8_e32 v51, v50, v6
	v_bfe_i32 v60, v55, 14, 1
	global_load_ushort v68, v[26:27], off offset:66
	s_waitcnt vmcnt(5)
	v_and_b32_sdwa v69, s23, v63 dst_sel:DWORD dst_unused:UNUSED_PAD src0_sel:DWORD src1_sel:BYTE_0
	v_lshlrev_b32_e32 v69, 2, v69
	global_load_dword v69, v69, s[20:21]
	v_lshlrev_b32_sdwa v63, v40, v63 dst_sel:DWORD dst_unused:UNUSED_PAD src0_sel:DWORD src1_sel:BYTE_1
	global_load_dword v63, v63, s[20:21]
	s_waitcnt vmcnt(3)
	v_and_b32_e32 v54, 0xffff, v67
	v_and_b32_e32 v70, 0xff, v54
	v_bcnt_u32_b32 v71, v70, 0
	v_and_b32_e32 v71, 1, v71
	v_lshlrev_b32_e32 v71, 7, v71
	v_xor_b32_e32 v70, v71, v70
	v_mul_lo_u32 v70, v70, s29
	v_and_b32_e32 v71, 0x8000000, v70
	v_lshrrev_b32_e32 v72, 8, v70
	v_lshrrev_b16_e32 v73, 1, v72
	v_cmp_ne_u16_sdwa s[34:35], v71, v11 src0_sel:BYTE_3 src1_sel:DWORD
	v_and_b32_e32 v67, 1, v67
	v_bfe_i32 v73, v73, 0, 1
	v_lshrrev_b32_e32 v74, 18, v70
	v_cndmask_b32_e64 v71, 0, -1, s[34:35]
	v_sub_u16_e32 v67, 0, v67
	v_bfe_i32 v74, v74, 0, 1
	v_lshlrev_b16_e32 v71, 8, v71
	v_lshlrev_b16_e32 v73, 8, v73
	v_or_b32_sdwa v75, v74, v71 dst_sel:WORD_1 dst_unused:UNUSED_PAD src0_sel:BYTE_0 src1_sel:DWORD
	v_or_b32_sdwa v76, v67, v73 dst_sel:DWORD dst_unused:UNUSED_PAD src0_sel:BYTE_0 src1_sel:DWORD
	v_or_b32_sdwa v75, v76, v75 dst_sel:DWORD dst_unused:UNUSED_PAD src0_sel:WORD_0 src1_sel:DWORD
	v_lshlrev_b16_e32 v67, 8, v67
	v_lshrrev_b16_e32 v72, 5, v72
	v_bfe_i32 v72, v72, 0, 1
	v_lshlrev_b16_e32 v72, 8, v72
	s_waitcnt vmcnt(1)
	v_xor_b32_e32 v69, v69, v75
	v_and_b32_e32 v75, 0xffffff00, v69
	v_sub_i16 v73, v75, v73 clamp
	v_lshlrev_b16_e32 v75, 8, v69
	v_and_b32_e32 v73, 0xffffff00, v73
	v_sub_i16 v67, v75, v67 clamp
	v_bfe_u32 v75, v55, 7, 8
	v_or_b32_sdwa v67, v67, v73 dst_sel:DWORD dst_unused:UNUSED_PAD src0_sel:BYTE_1 src1_sel:DWORD
	v_and_b32_sdwa v73, v69, s30 dst_sel:DWORD dst_unused:UNUSED_PAD src0_sel:WORD_1 src1_sel:DWORD
	v_bcnt_u32_b32 v76, v75, 0
	v_sub_i16 v71, v73, v71 clamp
	v_lshlrev_b16_sdwa v69, v41, v69 dst_sel:DWORD dst_unused:UNUSED_PAD src0_sel:DWORD src1_sel:WORD_1
	v_lshlrev_b16_e32 v73, 8, v74
	v_and_b32_e32 v76, 1, v76
	v_and_b32_e32 v71, 0xffffff00, v71
	v_sub_i16 v69, v69, v73 clamp
	v_lshlrev_b32_e32 v76, 7, v76
	v_or_b32_sdwa v69, v69, v71 dst_sel:WORD_1 dst_unused:UNUSED_PAD src0_sel:BYTE_1 src1_sel:DWORD
	v_xor_b32_e32 v75, v76, v75
	v_or_b32_sdwa v67, v67, v69 dst_sel:DWORD dst_unused:UNUSED_PAD src0_sel:WORD_0 src1_sel:DWORD
	v_and_b32_e32 v69, 0x80000000, v70
	v_mul_lo_u32 v75, v75, s29
	v_cmp_ne_u16_sdwa s[34:35], v69, v11 src0_sel:BYTE_3 src1_sel:DWORD
	v_and_b32_e32 v76, 0x8000000, v75
	v_lshrrev_b32_e32 v77, 8, v75
	v_cndmask_b32_e64 v69, 0, -1, s[34:35]
	v_lshrrev_b16_e32 v78, 1, v77
	v_cmp_ne_u16_sdwa s[34:35], v76, v11 src0_sel:BYTE_3 src1_sel:DWORD
	v_bfe_i32 v78, v78, 0, 1
	v_lshrrev_b32_e32 v79, 18, v75
	v_cndmask_b32_e64 v76, 0, -1, s[34:35]
	v_lshrrev_b32_e32 v70, 22, v70
	v_bfe_i32 v79, v79, 0, 1
	v_lshlrev_b16_e32 v76, 8, v76
	v_lshlrev_b16_e32 v78, 8, v78
	v_bfe_i32 v71, v54, 4, 1
	v_bfe_i32 v70, v70, 0, 1
	v_lshlrev_b16_e32 v69, 8, v69
	v_or_b32_sdwa v80, v79, v76 dst_sel:WORD_1 dst_unused:UNUSED_PAD src0_sel:BYTE_0 src1_sel:DWORD
	v_or_b32_sdwa v81, v58, v78 dst_sel:DWORD dst_unused:UNUSED_PAD src0_sel:BYTE_0 src1_sel:DWORD
	v_or_b32_sdwa v73, v70, v69 dst_sel:WORD_1 dst_unused:UNUSED_PAD src0_sel:BYTE_0 src1_sel:DWORD
	v_or_b32_sdwa v74, v71, v72 dst_sel:DWORD dst_unused:UNUSED_PAD src0_sel:BYTE_0 src1_sel:DWORD
	v_or_b32_sdwa v80, v81, v80 dst_sel:DWORD dst_unused:UNUSED_PAD src0_sel:WORD_0 src1_sel:DWORD
	v_or_b32_sdwa v73, v74, v73 dst_sel:DWORD dst_unused:UNUSED_PAD src0_sel:WORD_0 src1_sel:DWORD
	v_xor_b32_e32 v56, v56, v80
	s_waitcnt vmcnt(0)
	v_xor_b32_e32 v63, v63, v73
	v_and_b32_e32 v80, 0xffffff00, v56
	v_and_b32_e32 v73, 0xffffff00, v63
	v_sub_i16 v78, v80, v78 clamp
	v_lshlrev_b16_e32 v80, 8, v56
	v_lshlrev_b16_e32 v58, 8, v58
	v_sub_i16 v72, v73, v72 clamp
	v_lshlrev_b16_e32 v73, 8, v63
	v_lshlrev_b16_e32 v71, 8, v71
	v_and_b32_e32 v78, 0xffffff00, v78
	v_sub_i16 v58, v80, v58 clamp
	v_and_b32_e32 v72, 0xffffff00, v72
	v_sub_i16 v71, v73, v71 clamp
	v_or_b32_sdwa v58, v58, v78 dst_sel:DWORD dst_unused:UNUSED_PAD src0_sel:BYTE_1 src1_sel:DWORD
	v_and_b32_sdwa v78, v56, s30 dst_sel:DWORD dst_unused:UNUSED_PAD src0_sel:WORD_1 src1_sel:DWORD
	v_or_b32_sdwa v71, v71, v72 dst_sel:DWORD dst_unused:UNUSED_PAD src0_sel:BYTE_1 src1_sel:DWORD
	v_and_b32_sdwa v72, v63, s30 dst_sel:DWORD dst_unused:UNUSED_PAD src0_sel:WORD_1 src1_sel:DWORD
	v_sub_i16 v76, v78, v76 clamp
	v_lshlrev_b16_sdwa v56, v41, v56 dst_sel:DWORD dst_unused:UNUSED_PAD src0_sel:DWORD src1_sel:WORD_1
	v_lshlrev_b16_e32 v78, 8, v79
	v_sub_i16 v69, v72, v69 clamp
	v_lshlrev_b16_sdwa v63, v41, v63 dst_sel:DWORD dst_unused:UNUSED_PAD src0_sel:DWORD src1_sel:WORD_1
	v_lshlrev_b16_e32 v70, 8, v70
	v_and_b32_e32 v76, 0xffffff00, v76
	v_sub_i16 v56, v56, v78 clamp
	v_and_b32_e32 v69, 0xffffff00, v69
	v_sub_i16 v63, v63, v70 clamp
	v_or_b32_sdwa v56, v56, v76 dst_sel:WORD_1 dst_unused:UNUSED_PAD src0_sel:BYTE_1 src1_sel:DWORD
	v_or_b32_sdwa v63, v63, v69 dst_sel:WORD_1 dst_unused:UNUSED_PAD src0_sel:BYTE_1 src1_sel:DWORD
	v_mov_b32_e32 v69, 0
	v_or_b32_sdwa v58, v58, v56 dst_sel:DWORD dst_unused:UNUSED_PAD src0_sel:WORD_0 src1_sel:DWORD
	v_and_b32_e32 v56, 0x80000000, v75
	v_or_b32_sdwa v63, v71, v63 dst_sel:DWORD dst_unused:UNUSED_PAD src0_sel:WORD_0 src1_sel:DWORD
	v_dot4c_i32_i8_e32 v69, v67, v5
	v_and_b32_sdwa v5, s23, v64 dst_sel:DWORD dst_unused:UNUSED_PAD src0_sel:DWORD src1_sel:BYTE_0
	v_and_b32_sdwa v70, s23, v65 dst_sel:DWORD dst_unused:UNUSED_PAD src0_sel:DWORD src1_sel:BYTE_0
	;; [unrolled: 1-line block ×3, first 2 shown]
	v_lshrrev_b16_e32 v76, 5, v77
	v_cmp_ne_u16_sdwa s[34:35], v56, v11 src0_sel:BYTE_3 src1_sel:DWORD
	v_dot4c_i32_i8_e32 v69, v63, v6
	v_lshlrev_b32_e32 v5, 2, v5
	v_lshlrev_b32_sdwa v6, v40, v64 dst_sel:DWORD dst_unused:UNUSED_PAD src0_sel:DWORD src1_sel:BYTE_1
	v_lshlrev_b32_e32 v70, 2, v70
	v_lshlrev_b32_sdwa v65, v40, v65 dst_sel:DWORD dst_unused:UNUSED_PAD src0_sel:DWORD src1_sel:BYTE_1
	;; [unrolled: 2-line block ×3, first 2 shown]
	v_bfe_i32 v76, v76, 0, 1
	v_lshrrev_b32_e32 v75, 22, v75
	v_cndmask_b32_e64 v56, 0, -1, s[34:35]
	global_load_dword v5, v5, s[20:21]
	v_bfe_i32 v75, v75, 0, 1
	global_load_dword v6, v6, s[20:21]
	v_lshlrev_b16_e32 v56, 8, v56
	global_load_dword v70, v70, s[20:21]
	v_lshlrev_b16_e32 v76, 8, v76
	global_load_dword v72, v72, s[20:21]
	v_or_b32_sdwa v77, v75, v56 dst_sel:WORD_1 dst_unused:UNUSED_PAD src0_sel:BYTE_0 src1_sel:DWORD
	global_load_dword v65, v65, s[20:21]
	s_nop 0
	global_load_dword v73, v66, s[20:21]
	global_load_ushort v74, v[20:21], off
	v_lshl_or_b32 v66, v37, 16, v55
	v_bfe_i32 v55, v55, 11, 1
	v_or_b32_sdwa v78, v55, v76 dst_sel:DWORD dst_unused:UNUSED_PAD src0_sel:BYTE_0 src1_sel:DWORD
	v_or_b32_sdwa v77, v78, v77 dst_sel:DWORD dst_unused:UNUSED_PAD src0_sel:WORD_0 src1_sel:DWORD
	v_xor_b32_e32 v57, v57, v77
	v_and_b32_e32 v77, 0xffffff00, v57
	v_sub_i16 v76, v77, v76 clamp
	v_lshlrev_b16_e32 v77, 8, v57
	v_lshlrev_b16_e32 v55, 8, v55
	v_and_b32_e32 v76, 0xffffff00, v76
	v_sub_i16 v55, v77, v55 clamp
	v_or_b32_sdwa v55, v55, v76 dst_sel:DWORD dst_unused:UNUSED_PAD src0_sel:BYTE_1 src1_sel:DWORD
	v_and_b32_sdwa v76, v57, s30 dst_sel:DWORD dst_unused:UNUSED_PAD src0_sel:WORD_1 src1_sel:DWORD
	v_sub_i16 v56, v76, v56 clamp
	v_lshlrev_b16_sdwa v57, v41, v57 dst_sel:DWORD dst_unused:UNUSED_PAD src0_sel:DWORD src1_sel:WORD_1
	v_lshlrev_b16_e32 v75, 8, v75
	v_and_b32_e32 v56, 0xffffff00, v56
	v_sub_i16 v57, v57, v75 clamp
	v_or_b32_sdwa v56, v57, v56 dst_sel:WORD_1 dst_unused:UNUSED_PAD src0_sel:BYTE_1 src1_sel:DWORD
	v_bfe_i32 v64, v54, 7, 1
	v_or_b32_sdwa v75, v55, v56 dst_sel:DWORD dst_unused:UNUSED_PAD src0_sel:WORD_0 src1_sel:DWORD
	v_bfe_u32 v55, v66, 14, 8
	v_bcnt_u32_b32 v56, v55, 0
	v_and_b32_e32 v56, 1, v56
	v_lshlrev_b32_e32 v56, 7, v56
	v_xor_b32_e32 v55, v56, v55
	v_mul_lo_u32 v55, v55, s29
	v_and_b32_e32 v56, 0x8000000, v55
	v_lshrrev_b32_e32 v57, 8, v55
	v_lshrrev_b16_e32 v66, 1, v57
	v_cmp_ne_u16_sdwa s[34:35], v56, v11 src0_sel:BYTE_3 src1_sel:DWORD
	v_bfe_i32 v66, v66, 0, 1
	v_lshrrev_b32_e32 v76, 18, v55
	v_cndmask_b32_e64 v56, 0, -1, s[34:35]
	v_bfe_i32 v76, v76, 0, 1
	v_lshlrev_b16_e32 v56, 8, v56
	v_lshlrev_b16_e32 v66, 8, v66
	v_or_b32_sdwa v77, v76, v56 dst_sel:WORD_1 dst_unused:UNUSED_PAD src0_sel:BYTE_0 src1_sel:DWORD
	v_or_b32_sdwa v78, v60, v66 dst_sel:DWORD dst_unused:UNUSED_PAD src0_sel:BYTE_0 src1_sel:DWORD
	v_or_b32_sdwa v77, v78, v77 dst_sel:DWORD dst_unused:UNUSED_PAD src0_sel:WORD_0 src1_sel:DWORD
	v_xor_b32_e32 v59, v59, v77
	v_and_b32_e32 v77, 0xffffff00, v59
	v_sub_i16 v66, v77, v66 clamp
	v_lshlrev_b16_e32 v77, 8, v59
	v_lshlrev_b16_e32 v60, 8, v60
	v_and_b32_e32 v66, 0xffffff00, v66
	v_sub_i16 v60, v77, v60 clamp
	v_or_b32_sdwa v60, v60, v66 dst_sel:DWORD dst_unused:UNUSED_PAD src0_sel:BYTE_1 src1_sel:DWORD
	v_and_b32_sdwa v66, v59, s30 dst_sel:DWORD dst_unused:UNUSED_PAD src0_sel:WORD_1 src1_sel:DWORD
	v_sub_i16 v56, v66, v56 clamp
	v_lshlrev_b16_sdwa v59, v41, v59 dst_sel:DWORD dst_unused:UNUSED_PAD src0_sel:DWORD src1_sel:WORD_1
	v_lshlrev_b16_e32 v66, 8, v76
	v_and_b32_e32 v56, 0xffffff00, v56
	v_sub_i16 v59, v59, v66 clamp
	v_or_b32_sdwa v56, v59, v56 dst_sel:WORD_1 dst_unused:UNUSED_PAD src0_sel:BYTE_1 src1_sel:DWORD
	v_lshrrev_b16_e32 v57, 5, v57
	v_or_b32_sdwa v59, v60, v56 dst_sel:DWORD dst_unused:UNUSED_PAD src0_sel:WORD_0 src1_sel:DWORD
	v_and_b32_e32 v56, 0x80000000, v55
	v_cmp_ne_u16_sdwa s[34:35], v56, v11 src0_sel:BYTE_3 src1_sel:DWORD
	v_bfe_i32 v57, v57, 0, 1
	v_lshrrev_b32_e32 v55, 22, v55
	v_cndmask_b32_e64 v56, 0, -1, s[34:35]
	v_bfe_i32 v60, v37, 2, 1
	v_bfe_i32 v55, v55, 0, 1
	v_lshlrev_b16_e32 v56, 8, v56
	v_lshlrev_b16_e32 v57, 8, v57
	v_or_b32_sdwa v66, v55, v56 dst_sel:WORD_1 dst_unused:UNUSED_PAD src0_sel:BYTE_0 src1_sel:DWORD
	v_or_b32_sdwa v76, v60, v57 dst_sel:DWORD dst_unused:UNUSED_PAD src0_sel:BYTE_0 src1_sel:DWORD
	v_or_b32_sdwa v66, v76, v66 dst_sel:DWORD dst_unused:UNUSED_PAD src0_sel:WORD_0 src1_sel:DWORD
	v_xor_b32_e32 v53, v53, v66
	v_and_b32_e32 v66, 0xffffff00, v53
	v_sub_i16 v57, v66, v57 clamp
	v_lshlrev_b16_e32 v66, 8, v53
	v_lshlrev_b16_e32 v60, 8, v60
	v_and_b32_e32 v57, 0xffffff00, v57
	v_sub_i16 v60, v66, v60 clamp
	v_or_b32_sdwa v57, v60, v57 dst_sel:DWORD dst_unused:UNUSED_PAD src0_sel:BYTE_1 src1_sel:DWORD
	v_and_b32_sdwa v60, v53, s30 dst_sel:DWORD dst_unused:UNUSED_PAD src0_sel:WORD_1 src1_sel:DWORD
	v_sub_i16 v56, v60, v56 clamp
	v_lshlrev_b16_sdwa v53, v41, v53 dst_sel:DWORD dst_unused:UNUSED_PAD src0_sel:DWORD src1_sel:WORD_1
	v_lshlrev_b16_e32 v55, 8, v55
	v_and_b32_e32 v56, 0xffffff00, v56
	v_sub_i16 v53, v53, v55 clamp
	v_or_b32_sdwa v53, v53, v56 dst_sel:WORD_1 dst_unused:UNUSED_PAD src0_sel:BYTE_1 src1_sel:DWORD
	v_bfe_i32 v56, v37, 5, 1
	v_or_b32_sdwa v60, v57, v53 dst_sel:DWORD dst_unused:UNUSED_PAD src0_sel:WORD_0 src1_sel:DWORD
	v_bfe_u32 v53, v37, 5, 8
	v_bcnt_u32_b32 v55, v53, 0
	v_and_b32_e32 v55, 1, v55
	v_lshlrev_b32_e32 v55, 7, v55
	v_xor_b32_e32 v53, v55, v53
	v_mul_lo_u32 v53, v53, s29
	v_and_b32_e32 v55, 0x8000000, v53
	v_lshrrev_b32_e32 v57, 8, v53
	v_lshrrev_b16_e32 v66, 1, v57
	v_cmp_ne_u16_sdwa s[34:35], v55, v11 src0_sel:BYTE_3 src1_sel:DWORD
	v_bfe_i32 v66, v66, 0, 1
	v_lshrrev_b32_e32 v76, 18, v53
	v_cndmask_b32_e64 v55, 0, -1, s[34:35]
	v_bfe_i32 v76, v76, 0, 1
	v_lshlrev_b16_e32 v55, 8, v55
	v_lshlrev_b16_e32 v66, 8, v66
	v_or_b32_sdwa v77, v76, v55 dst_sel:WORD_1 dst_unused:UNUSED_PAD src0_sel:BYTE_0 src1_sel:DWORD
	v_or_b32_sdwa v78, v56, v66 dst_sel:DWORD dst_unused:UNUSED_PAD src0_sel:BYTE_0 src1_sel:DWORD
	v_or_b32_sdwa v77, v78, v77 dst_sel:DWORD dst_unused:UNUSED_PAD src0_sel:WORD_0 src1_sel:DWORD
	v_xor_b32_e32 v61, v61, v77
	v_and_b32_e32 v77, 0xffffff00, v61
	v_sub_i16 v66, v77, v66 clamp
	v_lshlrev_b16_e32 v77, 8, v61
	v_lshlrev_b16_e32 v56, 8, v56
	v_and_b32_e32 v66, 0xffffff00, v66
	v_sub_i16 v56, v77, v56 clamp
	v_or_b32_sdwa v56, v56, v66 dst_sel:DWORD dst_unused:UNUSED_PAD src0_sel:BYTE_1 src1_sel:DWORD
	v_and_b32_sdwa v66, v61, s30 dst_sel:DWORD dst_unused:UNUSED_PAD src0_sel:WORD_1 src1_sel:DWORD
	v_sub_i16 v55, v66, v55 clamp
	v_lshlrev_b16_sdwa v61, v41, v61 dst_sel:DWORD dst_unused:UNUSED_PAD src0_sel:DWORD src1_sel:WORD_1
	v_lshlrev_b16_e32 v66, 8, v76
	v_and_b32_e32 v55, 0xffffff00, v55
	v_sub_i16 v61, v61, v66 clamp
	v_or_b32_sdwa v55, v61, v55 dst_sel:WORD_1 dst_unused:UNUSED_PAD src0_sel:BYTE_1 src1_sel:DWORD
	v_lshrrev_b16_e32 v57, 5, v57
	v_or_b32_sdwa v61, v56, v55 dst_sel:DWORD dst_unused:UNUSED_PAD src0_sel:WORD_0 src1_sel:DWORD
	v_and_b32_e32 v55, 0x80000000, v53
	v_cmp_ne_u16_sdwa s[34:35], v55, v11 src0_sel:BYTE_3 src1_sel:DWORD
	v_bfe_i32 v57, v57, 0, 1
	v_lshrrev_b32_e32 v53, 22, v53
	v_cndmask_b32_e64 v55, 0, -1, s[34:35]
	v_bfe_i32 v56, v37, 9, 1
	v_bfe_i32 v53, v53, 0, 1
	v_lshlrev_b16_e32 v55, 8, v55
	v_lshlrev_b16_e32 v57, 8, v57
	v_or_b32_sdwa v66, v53, v55 dst_sel:WORD_1 dst_unused:UNUSED_PAD src0_sel:BYTE_0 src1_sel:DWORD
	v_or_b32_sdwa v76, v56, v57 dst_sel:DWORD dst_unused:UNUSED_PAD src0_sel:BYTE_0 src1_sel:DWORD
	v_or_b32_sdwa v66, v76, v66 dst_sel:DWORD dst_unused:UNUSED_PAD src0_sel:WORD_0 src1_sel:DWORD
	v_xor_b32_e32 v62, v62, v66
	v_and_b32_e32 v66, 0xffffff00, v62
	v_sub_i16 v57, v66, v57 clamp
	v_lshlrev_b16_e32 v66, 8, v62
	v_lshlrev_b16_e32 v56, 8, v56
	v_and_b32_e32 v57, 0xffffff00, v57
	v_sub_i16 v56, v66, v56 clamp
	v_or_b32_sdwa v56, v56, v57 dst_sel:DWORD dst_unused:UNUSED_PAD src0_sel:BYTE_1 src1_sel:DWORD
	v_and_b32_sdwa v57, v62, s30 dst_sel:DWORD dst_unused:UNUSED_PAD src0_sel:WORD_1 src1_sel:DWORD
	v_sub_i16 v55, v57, v55 clamp
	v_lshlrev_b16_sdwa v57, v41, v62 dst_sel:DWORD dst_unused:UNUSED_PAD src0_sel:DWORD src1_sel:WORD_1
	v_lshlrev_b16_e32 v53, 8, v53
	v_and_b32_e32 v55, 0xffffff00, v55
	v_sub_i16 v53, v57, v53 clamp
	v_or_b32_sdwa v53, v53, v55 dst_sel:WORD_1 dst_unused:UNUSED_PAD src0_sel:BYTE_1 src1_sel:DWORD
	v_bfe_u32 v55, v54, 7, 8
	v_or_b32_sdwa v62, v56, v53 dst_sel:DWORD dst_unused:UNUSED_PAD src0_sel:WORD_0 src1_sel:DWORD
	v_bcnt_u32_b32 v56, v55, 0
	v_and_b32_e32 v56, 1, v56
	v_lshlrev_b32_e32 v56, 7, v56
	v_xor_b32_e32 v55, v56, v55
	v_mul_lo_u32 v55, v55, s29
	v_and_b32_e32 v56, 0x8000000, v55
	v_lshrrev_b32_e32 v57, 8, v55
	v_lshrrev_b16_e32 v66, 1, v57
	v_cmp_ne_u16_sdwa s[34:35], v56, v11 src0_sel:BYTE_3 src1_sel:DWORD
	v_bfe_i32 v66, v66, 0, 1
	v_lshrrev_b32_e32 v76, 18, v55
	v_cndmask_b32_e64 v56, 0, -1, s[34:35]
	v_bfe_i32 v76, v76, 0, 1
	v_lshlrev_b16_e32 v56, 8, v56
	v_lshlrev_b16_e32 v66, 8, v66
	v_or_b32_sdwa v77, v76, v56 dst_sel:WORD_1 dst_unused:UNUSED_PAD src0_sel:BYTE_0 src1_sel:DWORD
	v_or_b32_sdwa v78, v64, v66 dst_sel:DWORD dst_unused:UNUSED_PAD src0_sel:BYTE_0 src1_sel:DWORD
	v_or_b32_sdwa v77, v78, v77 dst_sel:DWORD dst_unused:UNUSED_PAD src0_sel:WORD_0 src1_sel:DWORD
	s_waitcnt vmcnt(6)
	v_xor_b32_e32 v5, v5, v77
	v_and_b32_e32 v77, 0xffffff00, v5
	v_sub_i16 v66, v77, v66 clamp
	v_lshlrev_b16_e32 v77, 8, v5
	v_lshlrev_b16_e32 v64, 8, v64
	v_and_b32_e32 v66, 0xffffff00, v66
	v_sub_i16 v64, v77, v64 clamp
	v_or_b32_sdwa v64, v64, v66 dst_sel:DWORD dst_unused:UNUSED_PAD src0_sel:BYTE_1 src1_sel:DWORD
	v_and_b32_sdwa v66, v5, s30 dst_sel:DWORD dst_unused:UNUSED_PAD src0_sel:WORD_1 src1_sel:DWORD
	v_sub_i16 v56, v66, v56 clamp
	v_lshlrev_b16_sdwa v5, v41, v5 dst_sel:DWORD dst_unused:UNUSED_PAD src0_sel:DWORD src1_sel:WORD_1
	v_lshlrev_b16_e32 v66, 8, v76
	v_and_b32_e32 v56, 0xffffff00, v56
	v_sub_i16 v5, v5, v66 clamp
	v_or_b32_sdwa v5, v5, v56 dst_sel:WORD_1 dst_unused:UNUSED_PAD src0_sel:BYTE_1 src1_sel:DWORD
	v_lshrrev_b16_e32 v56, 5, v57
	v_or_b32_sdwa v64, v64, v5 dst_sel:DWORD dst_unused:UNUSED_PAD src0_sel:WORD_0 src1_sel:DWORD
	v_and_b32_e32 v5, 0x80000000, v55
	v_cmp_ne_u16_sdwa s[34:35], v5, v11 src0_sel:BYTE_3 src1_sel:DWORD
	v_bfe_i32 v56, v56, 0, 1
	v_lshrrev_b32_e32 v55, 22, v55
	v_cndmask_b32_e64 v5, 0, -1, s[34:35]
	v_bfe_i32 v71, v54, 14, 1
	v_lshl_or_b32 v53, v68, 16, v54
	v_bfe_i32 v54, v54, 11, 1
	v_bfe_i32 v55, v55, 0, 1
	v_lshlrev_b16_e32 v5, 8, v5
	v_lshlrev_b16_e32 v56, 8, v56
	v_or_b32_sdwa v57, v55, v5 dst_sel:WORD_1 dst_unused:UNUSED_PAD src0_sel:BYTE_0 src1_sel:DWORD
	v_or_b32_sdwa v66, v54, v56 dst_sel:DWORD dst_unused:UNUSED_PAD src0_sel:BYTE_0 src1_sel:DWORD
	v_or_b32_sdwa v57, v66, v57 dst_sel:DWORD dst_unused:UNUSED_PAD src0_sel:WORD_0 src1_sel:DWORD
	s_waitcnt vmcnt(5)
	v_xor_b32_e32 v6, v6, v57
	v_and_b32_e32 v57, 0xffffff00, v6
	v_sub_i16 v56, v57, v56 clamp
	v_lshlrev_b16_e32 v57, 8, v6
	v_lshlrev_b16_e32 v54, 8, v54
	v_and_b32_e32 v56, 0xffffff00, v56
	v_sub_i16 v54, v57, v54 clamp
	v_or_b32_sdwa v54, v54, v56 dst_sel:DWORD dst_unused:UNUSED_PAD src0_sel:BYTE_1 src1_sel:DWORD
	v_and_b32_sdwa v56, v6, s30 dst_sel:DWORD dst_unused:UNUSED_PAD src0_sel:WORD_1 src1_sel:DWORD
	v_sub_i16 v5, v56, v5 clamp
	v_lshlrev_b16_sdwa v6, v41, v6 dst_sel:DWORD dst_unused:UNUSED_PAD src0_sel:DWORD src1_sel:WORD_1
	v_lshlrev_b16_e32 v55, 8, v55
	v_and_b32_e32 v5, 0xffffff00, v5
	v_sub_i16 v6, v6, v55 clamp
	v_or_b32_sdwa v5, v6, v5 dst_sel:WORD_1 dst_unused:UNUSED_PAD src0_sel:BYTE_1 src1_sel:DWORD
	v_dot4c_i32_i8_e32 v51, v58, v7
	v_or_b32_sdwa v66, v54, v5 dst_sel:DWORD dst_unused:UNUSED_PAD src0_sel:WORD_0 src1_sel:DWORD
	v_dot4c_i32_i8_e32 v69, v64, v7
	v_dot4c_i32_i8_e32 v51, v75, v0
	;; [unrolled: 1-line block ×3, first 2 shown]
	v_bfe_u32 v0, v53, 14, 8
	v_bcnt_u32_b32 v5, v0, 0
	v_and_b32_e32 v5, 1, v5
	v_lshlrev_b32_e32 v5, 7, v5
	v_xor_b32_e32 v0, v5, v0
	v_mul_lo_u32 v0, v0, s29
	v_and_b32_e32 v5, 0x8000000, v0
	v_lshrrev_b32_e32 v6, 8, v0
	v_lshrrev_b16_e32 v7, 1, v6
	v_cmp_ne_u16_sdwa s[34:35], v5, v11 src0_sel:BYTE_3 src1_sel:DWORD
	v_bfe_i32 v7, v7, 0, 1
	v_lshrrev_b32_e32 v53, 18, v0
	v_cndmask_b32_e64 v5, 0, -1, s[34:35]
	v_bfe_i32 v53, v53, 0, 1
	v_lshlrev_b16_e32 v5, 8, v5
	v_lshlrev_b16_e32 v7, 8, v7
	v_or_b32_sdwa v54, v53, v5 dst_sel:WORD_1 dst_unused:UNUSED_PAD src0_sel:BYTE_0 src1_sel:DWORD
	v_or_b32_sdwa v55, v71, v7 dst_sel:DWORD dst_unused:UNUSED_PAD src0_sel:BYTE_0 src1_sel:DWORD
	v_or_b32_sdwa v54, v55, v54 dst_sel:DWORD dst_unused:UNUSED_PAD src0_sel:WORD_0 src1_sel:DWORD
	s_waitcnt vmcnt(4)
	v_xor_b32_e32 v54, v70, v54
	v_and_b32_e32 v55, 0xffffff00, v54
	v_sub_i16 v7, v55, v7 clamp
	v_lshlrev_b16_e32 v55, 8, v54
	v_lshlrev_b16_e32 v56, 8, v71
	v_and_b32_e32 v7, 0xffffff00, v7
	v_sub_i16 v55, v55, v56 clamp
	v_or_b32_sdwa v7, v55, v7 dst_sel:DWORD dst_unused:UNUSED_PAD src0_sel:BYTE_1 src1_sel:DWORD
	v_and_b32_sdwa v55, v54, s30 dst_sel:DWORD dst_unused:UNUSED_PAD src0_sel:WORD_1 src1_sel:DWORD
	v_sub_i16 v5, v55, v5 clamp
	v_lshlrev_b16_sdwa v54, v41, v54 dst_sel:DWORD dst_unused:UNUSED_PAD src0_sel:DWORD src1_sel:WORD_1
	v_lshlrev_b16_e32 v53, 8, v53
	v_and_b32_e32 v5, 0xffffff00, v5
	v_sub_i16 v53, v54, v53 clamp
	v_or_b32_sdwa v5, v53, v5 dst_sel:WORD_1 dst_unused:UNUSED_PAD src0_sel:BYTE_1 src1_sel:DWORD
	v_lshrrev_b16_e32 v6, 5, v6
	v_or_b32_sdwa v70, v7, v5 dst_sel:DWORD dst_unused:UNUSED_PAD src0_sel:WORD_0 src1_sel:DWORD
	v_and_b32_e32 v5, 0x80000000, v0
	v_cmp_ne_u16_sdwa s[34:35], v5, v11 src0_sel:BYTE_3 src1_sel:DWORD
	v_bfe_i32 v6, v6, 0, 1
	v_lshrrev_b32_e32 v0, 22, v0
	v_cndmask_b32_e64 v5, 0, -1, s[34:35]
	v_bfe_i32 v7, v68, 2, 1
	v_bfe_i32 v0, v0, 0, 1
	v_lshlrev_b16_e32 v5, 8, v5
	v_lshlrev_b16_e32 v6, 8, v6
	v_or_b32_sdwa v53, v0, v5 dst_sel:WORD_1 dst_unused:UNUSED_PAD src0_sel:BYTE_0 src1_sel:DWORD
	v_or_b32_sdwa v54, v7, v6 dst_sel:DWORD dst_unused:UNUSED_PAD src0_sel:BYTE_0 src1_sel:DWORD
	v_or_b32_sdwa v53, v54, v53 dst_sel:DWORD dst_unused:UNUSED_PAD src0_sel:WORD_0 src1_sel:DWORD
	s_waitcnt vmcnt(2)
	v_xor_b32_e32 v53, v65, v53
	v_and_b32_e32 v54, 0xffffff00, v53
	v_sub_i16 v6, v54, v6 clamp
	v_lshlrev_b16_e32 v54, 8, v53
	v_lshlrev_b16_e32 v7, 8, v7
	v_and_b32_e32 v6, 0xffffff00, v6
	v_sub_i16 v7, v54, v7 clamp
	v_or_b32_sdwa v6, v7, v6 dst_sel:DWORD dst_unused:UNUSED_PAD src0_sel:BYTE_1 src1_sel:DWORD
	v_and_b32_sdwa v7, v53, s30 dst_sel:DWORD dst_unused:UNUSED_PAD src0_sel:WORD_1 src1_sel:DWORD
	v_sub_i16 v5, v7, v5 clamp
	v_lshlrev_b16_sdwa v7, v41, v53 dst_sel:DWORD dst_unused:UNUSED_PAD src0_sel:DWORD src1_sel:WORD_1
	v_lshlrev_b16_e32 v0, 8, v0
	v_and_b32_e32 v5, 0xffffff00, v5
	v_sub_i16 v0, v7, v0 clamp
	v_or_b32_sdwa v0, v0, v5 dst_sel:WORD_1 dst_unused:UNUSED_PAD src0_sel:BYTE_1 src1_sel:DWORD
	v_dot4c_i32_i8_e32 v51, v59, v1
	v_or_b32_sdwa v65, v6, v0 dst_sel:DWORD dst_unused:UNUSED_PAD src0_sel:WORD_0 src1_sel:DWORD
	v_bfe_u32 v0, v68, 5, 8
	v_dot4c_i32_i8_e32 v69, v70, v1
	v_bcnt_u32_b32 v1, v0, 0
	v_and_b32_e32 v1, 1, v1
	v_lshlrev_b32_e32 v1, 7, v1
	v_xor_b32_e32 v0, v1, v0
	v_mul_lo_u32 v0, v0, s29
	v_and_b32_e32 v1, 0x8000000, v0
	v_lshrrev_b32_e32 v5, 8, v0
	v_lshrrev_b16_e32 v6, 1, v5
	v_cmp_ne_u16_sdwa s[34:35], v1, v11 src0_sel:BYTE_3 src1_sel:DWORD
	v_bfe_i32 v6, v6, 0, 1
	v_lshrrev_b32_e32 v7, 18, v0
	v_cndmask_b32_e64 v1, 0, -1, s[34:35]
	v_dot4c_i32_i8_e32 v51, v60, v2
	v_dot4c_i32_i8_e32 v69, v65, v2
	v_bfe_i32 v2, v68, 5, 1
	v_bfe_i32 v7, v7, 0, 1
	v_lshlrev_b16_e32 v1, 8, v1
	v_lshlrev_b16_e32 v6, 8, v6
	v_or_b32_sdwa v53, v7, v1 dst_sel:WORD_1 dst_unused:UNUSED_PAD src0_sel:BYTE_0 src1_sel:DWORD
	v_or_b32_sdwa v54, v2, v6 dst_sel:DWORD dst_unused:UNUSED_PAD src0_sel:BYTE_0 src1_sel:DWORD
	v_or_b32_sdwa v53, v54, v53 dst_sel:DWORD dst_unused:UNUSED_PAD src0_sel:WORD_0 src1_sel:DWORD
	v_xor_b32_e32 v53, v72, v53
	v_and_b32_e32 v54, 0xffffff00, v53
	v_sub_i16 v6, v54, v6 clamp
	v_lshlrev_b16_e32 v54, 8, v53
	v_lshlrev_b16_e32 v2, 8, v2
	v_and_b32_e32 v6, 0xffffff00, v6
	v_sub_i16 v2, v54, v2 clamp
	v_or_b32_sdwa v2, v2, v6 dst_sel:DWORD dst_unused:UNUSED_PAD src0_sel:BYTE_1 src1_sel:DWORD
	v_and_b32_sdwa v6, v53, s30 dst_sel:DWORD dst_unused:UNUSED_PAD src0_sel:WORD_1 src1_sel:DWORD
	v_sub_i16 v1, v6, v1 clamp
	v_lshlrev_b16_sdwa v6, v41, v53 dst_sel:DWORD dst_unused:UNUSED_PAD src0_sel:DWORD src1_sel:WORD_1
	v_lshlrev_b16_e32 v7, 8, v7
	v_and_b32_e32 v1, 0xffffff00, v1
	v_sub_i16 v6, v6, v7 clamp
	v_or_b32_sdwa v1, v6, v1 dst_sel:WORD_1 dst_unused:UNUSED_PAD src0_sel:BYTE_1 src1_sel:DWORD
	v_lshrrev_b16_e32 v5, 5, v5
	v_or_b32_sdwa v71, v2, v1 dst_sel:DWORD dst_unused:UNUSED_PAD src0_sel:WORD_0 src1_sel:DWORD
	v_and_b32_e32 v1, 0x80000000, v0
	v_cmp_ne_u16_sdwa s[34:35], v1, v11 src0_sel:BYTE_3 src1_sel:DWORD
	v_bfe_i32 v5, v5, 0, 1
	v_lshrrev_b32_e32 v0, 22, v0
	v_cndmask_b32_e64 v1, 0, -1, s[34:35]
	v_bfe_i32 v2, v68, 9, 1
	v_bfe_i32 v0, v0, 0, 1
	v_lshlrev_b16_e32 v1, 8, v1
	v_lshlrev_b16_e32 v5, 8, v5
	v_or_b32_sdwa v6, v0, v1 dst_sel:WORD_1 dst_unused:UNUSED_PAD src0_sel:BYTE_0 src1_sel:DWORD
	v_or_b32_sdwa v7, v2, v5 dst_sel:DWORD dst_unused:UNUSED_PAD src0_sel:BYTE_0 src1_sel:DWORD
	v_or_b32_sdwa v6, v7, v6 dst_sel:DWORD dst_unused:UNUSED_PAD src0_sel:WORD_0 src1_sel:DWORD
	s_waitcnt vmcnt(1)
	v_xor_b32_e32 v6, v73, v6
	v_and_b32_e32 v7, 0xffffff00, v6
	v_sub_i16 v5, v7, v5 clamp
	v_lshlrev_b16_e32 v7, 8, v6
	v_lshlrev_b16_e32 v2, 8, v2
	v_and_b32_e32 v5, 0xffffff00, v5
	v_sub_i16 v2, v7, v2 clamp
	v_or_b32_sdwa v2, v2, v5 dst_sel:DWORD dst_unused:UNUSED_PAD src0_sel:BYTE_1 src1_sel:DWORD
	v_and_b32_sdwa v5, v6, s30 dst_sel:DWORD dst_unused:UNUSED_PAD src0_sel:WORD_1 src1_sel:DWORD
	v_sub_i16 v1, v5, v1 clamp
	v_lshlrev_b16_sdwa v5, v41, v6 dst_sel:DWORD dst_unused:UNUSED_PAD src0_sel:DWORD src1_sel:WORD_1
	v_lshlrev_b16_e32 v0, 8, v0
	v_and_b32_e32 v1, 0xffffff00, v1
	v_sub_i16 v0, v5, v0 clamp
	v_dot4c_i32_i8_e32 v51, v61, v3
	v_or_b32_sdwa v0, v0, v1 dst_sel:WORD_1 dst_unused:UNUSED_PAD src0_sel:BYTE_1 src1_sel:DWORD
	v_dot4c_i32_i8_e32 v51, v62, v36
	v_or_b32_sdwa v72, v2, v0 dst_sel:DWORD dst_unused:UNUSED_PAD src0_sel:WORD_0 src1_sel:DWORD
	v_dot4c_i32_i8_e32 v69, v71, v3
	v_dot4c_i32_i8_e32 v69, v72, v36
	v_lshrrev_b32_e32 v0, 31, v51
	v_add_u32_e32 v0, v51, v0
	v_lshrrev_b32_e32 v73, 12, v37
	v_lshrrev_b32_e32 v1, 31, v69
	v_ashrrev_i32_e32 v0, 1, v0
	v_add_u32_e32 v1, v69, v1
	v_lshrrev_b32_e32 v68, 12, v68
	v_ashrrev_i32_e32 v2, 1, v1
	v_mad_u64_u32 v[0:1], s[34:35], v51, v73, v[0:1]
	v_mad_u64_u32 v[2:3], s[34:35], v69, v68, v[2:3]
	v_lshrrev_b32_e32 v1, 31, v0
	v_add_u32_e32 v0, v0, v1
	v_lshrrev_b32_e32 v1, 31, v2
	v_add_u32_e32 v1, v2, v1
	v_ashrrev_i32_e32 v0, 1, v0
	v_ashrrev_i32_e32 v1, 1, v1
	v_cvt_f32_i32_e32 v7, v1
	v_cvt_f32_i32_e32 v6, v0
	scratch_load_dwordx4 v[0:3], off, off offset:16
	s_waitcnt vmcnt(1)
	v_cvt_f32_f16_e32 v37, v74
	v_cvt_f32_f16_e32 v36, v52
	v_pk_mul_f32 v[4:5], v[4:5], v[36:37] op_sel_hi:[0,1]
	s_waitcnt vmcnt(0)
	v_pk_fma_f32 v[0:1], v[4:5], v[6:7], v[0:1]
	v_add_u32_e32 v4, s15, v39
	v_mad_u64_u32 v[4:5], s[34:35], v4, 36, s[24:25]
	v_mad_u64_u32 v[56:57], s[34:35], v12, 36, v[4:5]
	global_load_dword v51, v[56:57], off offset:32
	global_load_dwordx4 v[4:7], v[56:57], off offset:16
	global_load_dwordx4 v[52:55], v[56:57], off
	v_mov_b32_e32 v56, 0
	s_waitcnt vmcnt(0)
	v_dot4c_i32_i8_e32 v56, v38, v53
	v_mov_b32_e32 v38, 0
	v_dot4c_i32_i8_e32 v56, v50, v54
	v_dot4c_i32_i8_e32 v38, v67, v53
	;; [unrolled: 1-line block ×15, first 2 shown]
	v_cvt_f32_f16_e32 v52, v52
	v_lshrrev_b32_e32 v4, 31, v56
	v_add_u32_e32 v4, v56, v4
	v_lshrrev_b32_e32 v5, 31, v38
	v_ashrrev_i32_e32 v4, 1, v4
	v_add_u32_e32 v5, v38, v5
	v_ashrrev_i32_e32 v6, 1, v5
	v_mad_u64_u32 v[4:5], s[34:35], v56, v73, v[4:5]
	v_lshrrev_b32_e32 v5, 31, v4
	v_mad_u64_u32 v[6:7], s[34:35], v38, v68, v[6:7]
	v_add_u32_e32 v4, v4, v5
	v_ashrrev_i32_e32 v38, 1, v4
	v_lshrrev_b32_e32 v4, 31, v6
	v_add_u32_e32 v4, v6, v4
	v_ashrrev_i32_e32 v6, 1, v4
	v_cvt_f32_i32_e32 v7, v6
	v_cvt_f32_i32_e32 v6, v38
	v_pk_mul_f32 v[4:5], v[52:53], v[36:37] op_sel_hi:[0,1]
	v_pk_fma_f32 v[2:3], v[4:5], v[6:7], v[2:3]
	scratch_store_dwordx4 off, v[0:3], off offset:16
	s_nop 1
	v_add_u32_e32 v0, s19, v39
	v_mad_u64_u32 v[0:1], s[34:35], v0, 36, s[24:25]
	v_mad_u64_u32 v[50:51], s[34:35], v12, 36, v[0:1]
	global_load_dword v36, v[50:51], off offset:32
	global_load_dwordx4 v[0:3], v[50:51], off offset:16
	global_load_dwordx4 v[4:7], v[50:51], off
	global_load_ushort v37, v[32:33], off offset:2
	s_nop 0
	global_load_ushort v50, v[30:31], off offset:2
	global_load_ushort v51, v[30:31], off offset:4
	;; [unrolled: 1-line block ×5, first 2 shown]
	s_waitcnt vmcnt(5)
	v_and_b32_sdwa v33, s23, v37 dst_sel:DWORD dst_unused:UNUSED_PAD src0_sel:DWORD src1_sel:BYTE_0
	v_lshlrev_b32_e32 v33, 2, v33
	global_load_dword v33, v33, s[20:21]
	v_lshlrev_b32_sdwa v37, v40, v37 dst_sel:DWORD dst_unused:UNUSED_PAD src0_sel:DWORD src1_sel:BYTE_1
	global_load_dword v37, v37, s[20:21]
	s_waitcnt vmcnt(3)
	v_and_b32_e32 v53, 0xffff, v38
	v_and_b32_e32 v54, 0xff, v53
	v_bcnt_u32_b32 v55, v54, 0
	v_and_b32_e32 v55, 1, v55
	v_lshlrev_b32_e32 v55, 7, v55
	v_xor_b32_e32 v54, v55, v54
	v_mul_lo_u32 v54, v54, s29
	v_and_b32_e32 v55, 0x8000000, v54
	v_lshrrev_b32_e32 v56, 8, v54
	v_lshrrev_b16_e32 v57, 1, v56
	v_cmp_ne_u16_sdwa s[34:35], v55, v11 src0_sel:BYTE_3 src1_sel:DWORD
	v_and_b32_e32 v38, 1, v38
	v_bfe_i32 v57, v57, 0, 1
	v_lshrrev_b32_e32 v58, 18, v54
	v_cndmask_b32_e64 v55, 0, -1, s[34:35]
	v_sub_u16_e32 v38, 0, v38
	v_bfe_i32 v58, v58, 0, 1
	v_lshlrev_b16_e32 v55, 8, v55
	v_lshlrev_b16_e32 v57, 8, v57
	v_or_b32_sdwa v59, v58, v55 dst_sel:WORD_1 dst_unused:UNUSED_PAD src0_sel:BYTE_0 src1_sel:DWORD
	v_or_b32_sdwa v60, v38, v57 dst_sel:DWORD dst_unused:UNUSED_PAD src0_sel:BYTE_0 src1_sel:DWORD
	v_or_b32_sdwa v59, v60, v59 dst_sel:DWORD dst_unused:UNUSED_PAD src0_sel:WORD_0 src1_sel:DWORD
	v_lshlrev_b16_e32 v38, 8, v38
	v_lshrrev_b16_e32 v56, 5, v56
	v_bfe_i32 v56, v56, 0, 1
	v_lshlrev_b16_e32 v56, 8, v56
	v_cvt_f32_f16_e32 v4, v4
	s_waitcnt vmcnt(1)
	v_xor_b32_e32 v33, v33, v59
	v_and_b32_e32 v59, 0xffffff00, v33
	v_sub_i16 v57, v59, v57 clamp
	v_lshlrev_b16_e32 v59, 8, v33
	v_and_b32_e32 v57, 0xffffff00, v57
	v_sub_i16 v38, v59, v38 clamp
	v_or_b32_sdwa v38, v38, v57 dst_sel:DWORD dst_unused:UNUSED_PAD src0_sel:BYTE_1 src1_sel:DWORD
	v_and_b32_sdwa v57, v33, s30 dst_sel:DWORD dst_unused:UNUSED_PAD src0_sel:WORD_1 src1_sel:DWORD
	v_sub_i16 v55, v57, v55 clamp
	v_lshlrev_b16_sdwa v33, v41, v33 dst_sel:DWORD dst_unused:UNUSED_PAD src0_sel:DWORD src1_sel:WORD_1
	v_lshlrev_b16_e32 v57, 8, v58
	v_and_b32_e32 v55, 0xffffff00, v55
	v_sub_i16 v33, v33, v57 clamp
	v_or_b32_sdwa v33, v33, v55 dst_sel:WORD_1 dst_unused:UNUSED_PAD src0_sel:BYTE_1 src1_sel:DWORD
	v_bfe_i32 v55, v53, 4, 1
	v_or_b32_sdwa v33, v38, v33 dst_sel:DWORD dst_unused:UNUSED_PAD src0_sel:WORD_0 src1_sel:DWORD
	v_and_b32_e32 v38, 0x80000000, v54
	v_cmp_ne_u16_sdwa s[34:35], v38, v11 src0_sel:BYTE_3 src1_sel:DWORD
	v_lshrrev_b32_e32 v54, 22, v54
	v_bfe_i32 v54, v54, 0, 1
	v_cndmask_b32_e64 v38, 0, -1, s[34:35]
	v_lshlrev_b16_e32 v38, 8, v38
	v_or_b32_sdwa v57, v54, v38 dst_sel:WORD_1 dst_unused:UNUSED_PAD src0_sel:BYTE_0 src1_sel:DWORD
	v_or_b32_sdwa v58, v55, v56 dst_sel:DWORD dst_unused:UNUSED_PAD src0_sel:BYTE_0 src1_sel:DWORD
	v_or_b32_sdwa v57, v58, v57 dst_sel:DWORD dst_unused:UNUSED_PAD src0_sel:WORD_0 src1_sel:DWORD
	s_waitcnt vmcnt(0)
	v_xor_b32_e32 v37, v37, v57
	v_and_b32_e32 v57, 0xffffff00, v37
	v_sub_i16 v56, v57, v56 clamp
	v_lshlrev_b16_e32 v57, 8, v37
	v_lshlrev_b16_e32 v55, 8, v55
	v_and_b32_e32 v56, 0xffffff00, v56
	v_sub_i16 v55, v57, v55 clamp
	v_or_b32_sdwa v55, v55, v56 dst_sel:DWORD dst_unused:UNUSED_PAD src0_sel:BYTE_1 src1_sel:DWORD
	v_and_b32_sdwa v56, v37, s30 dst_sel:DWORD dst_unused:UNUSED_PAD src0_sel:WORD_1 src1_sel:DWORD
	v_sub_i16 v38, v56, v38 clamp
	v_lshlrev_b16_sdwa v37, v41, v37 dst_sel:DWORD dst_unused:UNUSED_PAD src0_sel:DWORD src1_sel:WORD_1
	v_lshlrev_b16_e32 v54, 8, v54
	v_and_b32_e32 v38, 0xffffff00, v38
	v_sub_i16 v37, v37, v54 clamp
	v_and_b32_sdwa v54, s23, v50 dst_sel:DWORD dst_unused:UNUSED_PAD src0_sel:DWORD src1_sel:BYTE_0
	v_or_b32_sdwa v37, v37, v38 dst_sel:WORD_1 dst_unused:UNUSED_PAD src0_sel:BYTE_1 src1_sel:DWORD
	v_lshlrev_b32_e32 v54, 2, v54
	v_lshlrev_b32_sdwa v50, v40, v50 dst_sel:DWORD dst_unused:UNUSED_PAD src0_sel:DWORD src1_sel:BYTE_1
	v_or_b32_sdwa v37, v55, v37 dst_sel:DWORD dst_unused:UNUSED_PAD src0_sel:WORD_0 src1_sel:DWORD
	global_load_dword v54, v54, s[20:21]
	v_bfe_i32 v56, v53, 7, 1
	global_load_dword v55, v50, s[20:21]
	v_and_b32_sdwa v50, s23, v51 dst_sel:DWORD dst_unused:UNUSED_PAD src0_sel:DWORD src1_sel:BYTE_0
	v_lshlrev_b32_e32 v50, 2, v50
	global_load_dword v57, v50, s[20:21]
	v_lshlrev_b32_sdwa v50, v40, v51 dst_sel:DWORD dst_unused:UNUSED_PAD src0_sel:DWORD src1_sel:BYTE_1
	global_load_dword v51, v50, s[20:21]
	v_and_b32_sdwa v50, s23, v52 dst_sel:DWORD dst_unused:UNUSED_PAD src0_sel:DWORD src1_sel:BYTE_0
	v_lshlrev_b32_e32 v50, 2, v50
	v_lshlrev_b32_sdwa v52, v40, v52 dst_sel:DWORD dst_unused:UNUSED_PAD src0_sel:DWORD src1_sel:BYTE_1
	global_load_dword v59, v50, s[20:21]
	global_load_dword v60, v52, s[20:21]
	s_nop 0
	global_load_ushort v50, v[22:23], off
	global_load_ushort v61, v[34:35], off offset:2
	global_load_ushort v62, v[28:29], off offset:2
	;; [unrolled: 1-line block ×5, first 2 shown]
	v_mov_b32_e32 v38, 0
	v_dot4c_i32_i8_e32 v38, v33, v5
	v_dot4c_i32_i8_e32 v38, v37, v6
	v_bfe_i32 v58, v53, 14, 1
	global_load_ushort v35, v[26:27], off offset:66
	s_waitcnt vmcnt(5)
	v_and_b32_sdwa v52, s23, v61 dst_sel:DWORD dst_unused:UNUSED_PAD src0_sel:DWORD src1_sel:BYTE_0
	v_lshlrev_b32_e32 v52, 2, v52
	global_load_dword v52, v52, s[20:21]
	v_lshlrev_b32_sdwa v61, v40, v61 dst_sel:DWORD dst_unused:UNUSED_PAD src0_sel:DWORD src1_sel:BYTE_1
	global_load_dword v61, v61, s[20:21]
	s_waitcnt vmcnt(3)
	v_and_b32_e32 v34, 0xffff, v65
	v_and_b32_e32 v66, 0xff, v34
	v_bcnt_u32_b32 v67, v66, 0
	v_and_b32_e32 v67, 1, v67
	v_lshlrev_b32_e32 v67, 7, v67
	v_xor_b32_e32 v66, v67, v66
	v_mul_lo_u32 v66, v66, s29
	v_and_b32_e32 v67, 0x8000000, v66
	v_lshrrev_b32_e32 v68, 8, v66
	v_lshrrev_b16_e32 v69, 1, v68
	v_cmp_ne_u16_sdwa s[34:35], v67, v11 src0_sel:BYTE_3 src1_sel:DWORD
	v_and_b32_e32 v65, 1, v65
	v_bfe_i32 v69, v69, 0, 1
	v_lshrrev_b32_e32 v70, 18, v66
	v_cndmask_b32_e64 v67, 0, -1, s[34:35]
	v_sub_u16_e32 v65, 0, v65
	v_bfe_i32 v70, v70, 0, 1
	v_lshlrev_b16_e32 v67, 8, v67
	v_lshlrev_b16_e32 v69, 8, v69
	v_or_b32_sdwa v71, v70, v67 dst_sel:WORD_1 dst_unused:UNUSED_PAD src0_sel:BYTE_0 src1_sel:DWORD
	v_or_b32_sdwa v72, v65, v69 dst_sel:DWORD dst_unused:UNUSED_PAD src0_sel:BYTE_0 src1_sel:DWORD
	v_or_b32_sdwa v71, v72, v71 dst_sel:DWORD dst_unused:UNUSED_PAD src0_sel:WORD_0 src1_sel:DWORD
	v_lshlrev_b16_e32 v65, 8, v65
	v_lshrrev_b16_e32 v68, 5, v68
	v_bfe_i32 v68, v68, 0, 1
	v_lshlrev_b16_e32 v68, 8, v68
	s_waitcnt vmcnt(1)
	v_xor_b32_e32 v52, v52, v71
	v_and_b32_e32 v71, 0xffffff00, v52
	v_sub_i16 v69, v71, v69 clamp
	v_lshlrev_b16_e32 v71, 8, v52
	v_and_b32_e32 v69, 0xffffff00, v69
	v_sub_i16 v65, v71, v65 clamp
	v_bfe_u32 v71, v53, 7, 8
	v_or_b32_sdwa v65, v65, v69 dst_sel:DWORD dst_unused:UNUSED_PAD src0_sel:BYTE_1 src1_sel:DWORD
	v_and_b32_sdwa v69, v52, s30 dst_sel:DWORD dst_unused:UNUSED_PAD src0_sel:WORD_1 src1_sel:DWORD
	v_bcnt_u32_b32 v72, v71, 0
	v_sub_i16 v67, v69, v67 clamp
	v_lshlrev_b16_sdwa v52, v41, v52 dst_sel:DWORD dst_unused:UNUSED_PAD src0_sel:DWORD src1_sel:WORD_1
	v_lshlrev_b16_e32 v69, 8, v70
	v_and_b32_e32 v72, 1, v72
	v_and_b32_e32 v67, 0xffffff00, v67
	v_sub_i16 v52, v52, v69 clamp
	v_lshlrev_b32_e32 v72, 7, v72
	v_or_b32_sdwa v52, v52, v67 dst_sel:WORD_1 dst_unused:UNUSED_PAD src0_sel:BYTE_1 src1_sel:DWORD
	v_xor_b32_e32 v71, v72, v71
	v_or_b32_sdwa v65, v65, v52 dst_sel:DWORD dst_unused:UNUSED_PAD src0_sel:WORD_0 src1_sel:DWORD
	v_and_b32_e32 v52, 0x80000000, v66
	v_mul_lo_u32 v71, v71, s29
	v_cmp_ne_u16_sdwa s[34:35], v52, v11 src0_sel:BYTE_3 src1_sel:DWORD
	v_and_b32_e32 v72, 0x8000000, v71
	v_lshrrev_b32_e32 v73, 8, v71
	v_cndmask_b32_e64 v52, 0, -1, s[34:35]
	v_lshrrev_b16_e32 v74, 1, v73
	v_cmp_ne_u16_sdwa s[34:35], v72, v11 src0_sel:BYTE_3 src1_sel:DWORD
	v_lshrrev_b32_e32 v66, 22, v66
	v_bfe_i32 v74, v74, 0, 1
	v_lshrrev_b32_e32 v75, 18, v71
	v_cndmask_b32_e64 v72, 0, -1, s[34:35]
	v_bfe_i32 v67, v34, 4, 1
	v_bfe_i32 v66, v66, 0, 1
	v_lshlrev_b16_e32 v52, 8, v52
	v_bfe_i32 v75, v75, 0, 1
	v_lshlrev_b16_e32 v72, 8, v72
	v_lshlrev_b16_e32 v74, 8, v74
	v_or_b32_sdwa v69, v66, v52 dst_sel:WORD_1 dst_unused:UNUSED_PAD src0_sel:BYTE_0 src1_sel:DWORD
	v_or_b32_sdwa v70, v67, v68 dst_sel:DWORD dst_unused:UNUSED_PAD src0_sel:BYTE_0 src1_sel:DWORD
	v_or_b32_sdwa v76, v75, v72 dst_sel:WORD_1 dst_unused:UNUSED_PAD src0_sel:BYTE_0 src1_sel:DWORD
	v_or_b32_sdwa v77, v56, v74 dst_sel:DWORD dst_unused:UNUSED_PAD src0_sel:BYTE_0 src1_sel:DWORD
	v_or_b32_sdwa v69, v70, v69 dst_sel:DWORD dst_unused:UNUSED_PAD src0_sel:WORD_0 src1_sel:DWORD
	v_or_b32_sdwa v76, v77, v76 dst_sel:DWORD dst_unused:UNUSED_PAD src0_sel:WORD_0 src1_sel:DWORD
	s_waitcnt vmcnt(0)
	v_xor_b32_e32 v61, v61, v69
	v_xor_b32_e32 v54, v54, v76
	v_and_b32_e32 v69, 0xffffff00, v61
	v_and_b32_e32 v76, 0xffffff00, v54
	v_sub_i16 v68, v69, v68 clamp
	v_lshlrev_b16_e32 v69, 8, v61
	v_lshlrev_b16_e32 v67, 8, v67
	v_sub_i16 v74, v76, v74 clamp
	v_lshlrev_b16_e32 v76, 8, v54
	v_lshlrev_b16_e32 v56, 8, v56
	v_and_b32_e32 v68, 0xffffff00, v68
	v_sub_i16 v67, v69, v67 clamp
	v_and_b32_e32 v74, 0xffffff00, v74
	v_sub_i16 v56, v76, v56 clamp
	v_or_b32_sdwa v67, v67, v68 dst_sel:DWORD dst_unused:UNUSED_PAD src0_sel:BYTE_1 src1_sel:DWORD
	v_and_b32_sdwa v68, v61, s30 dst_sel:DWORD dst_unused:UNUSED_PAD src0_sel:WORD_1 src1_sel:DWORD
	v_or_b32_sdwa v56, v56, v74 dst_sel:DWORD dst_unused:UNUSED_PAD src0_sel:BYTE_1 src1_sel:DWORD
	v_and_b32_sdwa v74, v54, s30 dst_sel:DWORD dst_unused:UNUSED_PAD src0_sel:WORD_1 src1_sel:DWORD
	v_sub_i16 v52, v68, v52 clamp
	v_lshlrev_b16_sdwa v61, v41, v61 dst_sel:DWORD dst_unused:UNUSED_PAD src0_sel:DWORD src1_sel:WORD_1
	v_lshlrev_b16_e32 v66, 8, v66
	v_sub_i16 v72, v74, v72 clamp
	v_lshlrev_b16_sdwa v54, v41, v54 dst_sel:DWORD dst_unused:UNUSED_PAD src0_sel:DWORD src1_sel:WORD_1
	v_lshlrev_b16_e32 v74, 8, v75
	v_and_b32_e32 v52, 0xffffff00, v52
	v_sub_i16 v61, v61, v66 clamp
	v_and_b32_e32 v72, 0xffffff00, v72
	v_sub_i16 v54, v54, v74 clamp
	v_or_b32_sdwa v52, v61, v52 dst_sel:WORD_1 dst_unused:UNUSED_PAD src0_sel:BYTE_1 src1_sel:DWORD
	v_or_b32_sdwa v54, v54, v72 dst_sel:WORD_1 dst_unused:UNUSED_PAD src0_sel:BYTE_1 src1_sel:DWORD
	v_or_b32_sdwa v61, v67, v52 dst_sel:DWORD dst_unused:UNUSED_PAD src0_sel:WORD_0 src1_sel:DWORD
	v_mov_b32_e32 v52, 0
	v_or_b32_sdwa v56, v56, v54 dst_sel:DWORD dst_unused:UNUSED_PAD src0_sel:WORD_0 src1_sel:DWORD
	v_and_b32_e32 v54, 0x80000000, v71
	v_dot4c_i32_i8_e32 v52, v65, v5
	v_and_b32_sdwa v5, s23, v62 dst_sel:DWORD dst_unused:UNUSED_PAD src0_sel:DWORD src1_sel:BYTE_0
	v_and_b32_sdwa v66, s23, v63 dst_sel:DWORD dst_unused:UNUSED_PAD src0_sel:DWORD src1_sel:BYTE_0
	;; [unrolled: 1-line block ×3, first 2 shown]
	v_lshrrev_b16_e32 v72, 5, v73
	v_cmp_ne_u16_sdwa s[34:35], v54, v11 src0_sel:BYTE_3 src1_sel:DWORD
	v_dot4c_i32_i8_e32 v52, v61, v6
	v_lshlrev_b32_e32 v5, 2, v5
	v_lshlrev_b32_sdwa v6, v40, v62 dst_sel:DWORD dst_unused:UNUSED_PAD src0_sel:DWORD src1_sel:BYTE_1
	v_lshlrev_b32_e32 v66, 2, v66
	v_lshlrev_b32_sdwa v63, v40, v63 dst_sel:DWORD dst_unused:UNUSED_PAD src0_sel:DWORD src1_sel:BYTE_1
	;; [unrolled: 2-line block ×3, first 2 shown]
	v_bfe_i32 v72, v72, 0, 1
	v_lshrrev_b32_e32 v71, 22, v71
	v_cndmask_b32_e64 v54, 0, -1, s[34:35]
	global_load_dword v5, v5, s[20:21]
	v_bfe_i32 v71, v71, 0, 1
	global_load_dword v6, v6, s[20:21]
	v_lshlrev_b16_e32 v54, 8, v54
	global_load_dword v66, v66, s[20:21]
	v_lshlrev_b16_e32 v72, 8, v72
	global_load_dword v68, v68, s[20:21]
	v_or_b32_sdwa v73, v71, v54 dst_sel:WORD_1 dst_unused:UNUSED_PAD src0_sel:BYTE_0 src1_sel:DWORD
	global_load_dword v63, v63, s[20:21]
	s_nop 0
	global_load_dword v69, v64, s[20:21]
	global_load_ushort v70, v[20:21], off
	v_lshl_or_b32 v64, v32, 16, v53
	v_bfe_i32 v53, v53, 11, 1
	v_or_b32_sdwa v74, v53, v72 dst_sel:DWORD dst_unused:UNUSED_PAD src0_sel:BYTE_0 src1_sel:DWORD
	v_or_b32_sdwa v73, v74, v73 dst_sel:DWORD dst_unused:UNUSED_PAD src0_sel:WORD_0 src1_sel:DWORD
	v_xor_b32_e32 v55, v55, v73
	v_and_b32_e32 v73, 0xffffff00, v55
	v_sub_i16 v72, v73, v72 clamp
	v_lshlrev_b16_e32 v73, 8, v55
	v_lshlrev_b16_e32 v53, 8, v53
	v_and_b32_e32 v72, 0xffffff00, v72
	v_sub_i16 v53, v73, v53 clamp
	v_or_b32_sdwa v53, v53, v72 dst_sel:DWORD dst_unused:UNUSED_PAD src0_sel:BYTE_1 src1_sel:DWORD
	v_and_b32_sdwa v72, v55, s30 dst_sel:DWORD dst_unused:UNUSED_PAD src0_sel:WORD_1 src1_sel:DWORD
	v_sub_i16 v54, v72, v54 clamp
	v_lshlrev_b16_sdwa v55, v41, v55 dst_sel:DWORD dst_unused:UNUSED_PAD src0_sel:DWORD src1_sel:WORD_1
	v_lshlrev_b16_e32 v71, 8, v71
	v_and_b32_e32 v54, 0xffffff00, v54
	v_sub_i16 v55, v55, v71 clamp
	v_or_b32_sdwa v54, v55, v54 dst_sel:WORD_1 dst_unused:UNUSED_PAD src0_sel:BYTE_1 src1_sel:DWORD
	v_bfe_i32 v62, v34, 7, 1
	v_or_b32_sdwa v71, v53, v54 dst_sel:DWORD dst_unused:UNUSED_PAD src0_sel:WORD_0 src1_sel:DWORD
	v_bfe_u32 v53, v64, 14, 8
	v_bcnt_u32_b32 v54, v53, 0
	v_and_b32_e32 v54, 1, v54
	v_lshlrev_b32_e32 v54, 7, v54
	v_xor_b32_e32 v53, v54, v53
	v_mul_lo_u32 v53, v53, s29
	v_and_b32_e32 v54, 0x8000000, v53
	v_lshrrev_b32_e32 v55, 8, v53
	v_lshrrev_b16_e32 v64, 1, v55
	v_cmp_ne_u16_sdwa s[34:35], v54, v11 src0_sel:BYTE_3 src1_sel:DWORD
	v_bfe_i32 v64, v64, 0, 1
	v_lshrrev_b32_e32 v72, 18, v53
	v_cndmask_b32_e64 v54, 0, -1, s[34:35]
	v_bfe_i32 v72, v72, 0, 1
	v_lshlrev_b16_e32 v54, 8, v54
	v_lshlrev_b16_e32 v64, 8, v64
	v_or_b32_sdwa v73, v72, v54 dst_sel:WORD_1 dst_unused:UNUSED_PAD src0_sel:BYTE_0 src1_sel:DWORD
	v_or_b32_sdwa v74, v58, v64 dst_sel:DWORD dst_unused:UNUSED_PAD src0_sel:BYTE_0 src1_sel:DWORD
	v_or_b32_sdwa v73, v74, v73 dst_sel:DWORD dst_unused:UNUSED_PAD src0_sel:WORD_0 src1_sel:DWORD
	v_xor_b32_e32 v57, v57, v73
	v_and_b32_e32 v73, 0xffffff00, v57
	v_sub_i16 v64, v73, v64 clamp
	v_lshlrev_b16_e32 v73, 8, v57
	v_lshlrev_b16_e32 v58, 8, v58
	v_and_b32_e32 v64, 0xffffff00, v64
	v_sub_i16 v58, v73, v58 clamp
	v_or_b32_sdwa v58, v58, v64 dst_sel:DWORD dst_unused:UNUSED_PAD src0_sel:BYTE_1 src1_sel:DWORD
	v_and_b32_sdwa v64, v57, s30 dst_sel:DWORD dst_unused:UNUSED_PAD src0_sel:WORD_1 src1_sel:DWORD
	v_sub_i16 v54, v64, v54 clamp
	v_lshlrev_b16_sdwa v57, v41, v57 dst_sel:DWORD dst_unused:UNUSED_PAD src0_sel:DWORD src1_sel:WORD_1
	v_lshlrev_b16_e32 v64, 8, v72
	v_and_b32_e32 v54, 0xffffff00, v54
	v_sub_i16 v57, v57, v64 clamp
	v_or_b32_sdwa v54, v57, v54 dst_sel:WORD_1 dst_unused:UNUSED_PAD src0_sel:BYTE_1 src1_sel:DWORD
	v_lshrrev_b16_e32 v55, 5, v55
	v_or_b32_sdwa v57, v58, v54 dst_sel:DWORD dst_unused:UNUSED_PAD src0_sel:WORD_0 src1_sel:DWORD
	v_and_b32_e32 v54, 0x80000000, v53
	v_cmp_ne_u16_sdwa s[34:35], v54, v11 src0_sel:BYTE_3 src1_sel:DWORD
	v_bfe_i32 v55, v55, 0, 1
	v_lshrrev_b32_e32 v53, 22, v53
	v_cndmask_b32_e64 v54, 0, -1, s[34:35]
	v_bfe_i32 v58, v32, 2, 1
	v_bfe_i32 v53, v53, 0, 1
	v_lshlrev_b16_e32 v54, 8, v54
	v_lshlrev_b16_e32 v55, 8, v55
	v_or_b32_sdwa v64, v53, v54 dst_sel:WORD_1 dst_unused:UNUSED_PAD src0_sel:BYTE_0 src1_sel:DWORD
	v_or_b32_sdwa v72, v58, v55 dst_sel:DWORD dst_unused:UNUSED_PAD src0_sel:BYTE_0 src1_sel:DWORD
	v_or_b32_sdwa v64, v72, v64 dst_sel:DWORD dst_unused:UNUSED_PAD src0_sel:WORD_0 src1_sel:DWORD
	v_xor_b32_e32 v51, v51, v64
	v_and_b32_e32 v64, 0xffffff00, v51
	v_sub_i16 v55, v64, v55 clamp
	v_lshlrev_b16_e32 v64, 8, v51
	v_lshlrev_b16_e32 v58, 8, v58
	v_and_b32_e32 v55, 0xffffff00, v55
	v_sub_i16 v58, v64, v58 clamp
	v_or_b32_sdwa v55, v58, v55 dst_sel:DWORD dst_unused:UNUSED_PAD src0_sel:BYTE_1 src1_sel:DWORD
	v_and_b32_sdwa v58, v51, s30 dst_sel:DWORD dst_unused:UNUSED_PAD src0_sel:WORD_1 src1_sel:DWORD
	v_sub_i16 v54, v58, v54 clamp
	v_lshlrev_b16_sdwa v51, v41, v51 dst_sel:DWORD dst_unused:UNUSED_PAD src0_sel:DWORD src1_sel:WORD_1
	v_lshlrev_b16_e32 v53, 8, v53
	v_and_b32_e32 v54, 0xffffff00, v54
	v_sub_i16 v51, v51, v53 clamp
	v_or_b32_sdwa v51, v51, v54 dst_sel:WORD_1 dst_unused:UNUSED_PAD src0_sel:BYTE_1 src1_sel:DWORD
	v_bfe_i32 v54, v32, 5, 1
	v_or_b32_sdwa v58, v55, v51 dst_sel:DWORD dst_unused:UNUSED_PAD src0_sel:WORD_0 src1_sel:DWORD
	v_bfe_u32 v51, v32, 5, 8
	v_bcnt_u32_b32 v53, v51, 0
	v_and_b32_e32 v53, 1, v53
	v_lshlrev_b32_e32 v53, 7, v53
	v_xor_b32_e32 v51, v53, v51
	v_mul_lo_u32 v51, v51, s29
	v_and_b32_e32 v53, 0x8000000, v51
	v_lshrrev_b32_e32 v55, 8, v51
	v_lshrrev_b16_e32 v64, 1, v55
	v_cmp_ne_u16_sdwa s[34:35], v53, v11 src0_sel:BYTE_3 src1_sel:DWORD
	v_bfe_i32 v64, v64, 0, 1
	v_lshrrev_b32_e32 v72, 18, v51
	v_cndmask_b32_e64 v53, 0, -1, s[34:35]
	v_bfe_i32 v72, v72, 0, 1
	v_lshlrev_b16_e32 v53, 8, v53
	v_lshlrev_b16_e32 v64, 8, v64
	v_or_b32_sdwa v73, v72, v53 dst_sel:WORD_1 dst_unused:UNUSED_PAD src0_sel:BYTE_0 src1_sel:DWORD
	v_or_b32_sdwa v74, v54, v64 dst_sel:DWORD dst_unused:UNUSED_PAD src0_sel:BYTE_0 src1_sel:DWORD
	v_or_b32_sdwa v73, v74, v73 dst_sel:DWORD dst_unused:UNUSED_PAD src0_sel:WORD_0 src1_sel:DWORD
	v_xor_b32_e32 v59, v59, v73
	v_and_b32_e32 v73, 0xffffff00, v59
	v_sub_i16 v64, v73, v64 clamp
	v_lshlrev_b16_e32 v73, 8, v59
	v_lshlrev_b16_e32 v54, 8, v54
	v_and_b32_e32 v64, 0xffffff00, v64
	v_sub_i16 v54, v73, v54 clamp
	v_or_b32_sdwa v54, v54, v64 dst_sel:DWORD dst_unused:UNUSED_PAD src0_sel:BYTE_1 src1_sel:DWORD
	v_and_b32_sdwa v64, v59, s30 dst_sel:DWORD dst_unused:UNUSED_PAD src0_sel:WORD_1 src1_sel:DWORD
	v_sub_i16 v53, v64, v53 clamp
	v_lshlrev_b16_sdwa v59, v41, v59 dst_sel:DWORD dst_unused:UNUSED_PAD src0_sel:DWORD src1_sel:WORD_1
	v_lshlrev_b16_e32 v64, 8, v72
	v_and_b32_e32 v53, 0xffffff00, v53
	v_sub_i16 v59, v59, v64 clamp
	v_or_b32_sdwa v53, v59, v53 dst_sel:WORD_1 dst_unused:UNUSED_PAD src0_sel:BYTE_1 src1_sel:DWORD
	v_lshrrev_b16_e32 v55, 5, v55
	v_or_b32_sdwa v59, v54, v53 dst_sel:DWORD dst_unused:UNUSED_PAD src0_sel:WORD_0 src1_sel:DWORD
	v_and_b32_e32 v53, 0x80000000, v51
	v_cmp_ne_u16_sdwa s[34:35], v53, v11 src0_sel:BYTE_3 src1_sel:DWORD
	v_bfe_i32 v55, v55, 0, 1
	v_lshrrev_b32_e32 v51, 22, v51
	v_cndmask_b32_e64 v53, 0, -1, s[34:35]
	v_bfe_i32 v54, v32, 9, 1
	v_bfe_i32 v51, v51, 0, 1
	v_lshlrev_b16_e32 v53, 8, v53
	v_lshlrev_b16_e32 v55, 8, v55
	v_or_b32_sdwa v64, v51, v53 dst_sel:WORD_1 dst_unused:UNUSED_PAD src0_sel:BYTE_0 src1_sel:DWORD
	v_or_b32_sdwa v72, v54, v55 dst_sel:DWORD dst_unused:UNUSED_PAD src0_sel:BYTE_0 src1_sel:DWORD
	v_or_b32_sdwa v64, v72, v64 dst_sel:DWORD dst_unused:UNUSED_PAD src0_sel:WORD_0 src1_sel:DWORD
	v_xor_b32_e32 v60, v60, v64
	v_and_b32_e32 v64, 0xffffff00, v60
	v_sub_i16 v55, v64, v55 clamp
	v_lshlrev_b16_e32 v64, 8, v60
	v_lshlrev_b16_e32 v54, 8, v54
	v_and_b32_e32 v55, 0xffffff00, v55
	v_sub_i16 v54, v64, v54 clamp
	v_or_b32_sdwa v54, v54, v55 dst_sel:DWORD dst_unused:UNUSED_PAD src0_sel:BYTE_1 src1_sel:DWORD
	v_and_b32_sdwa v55, v60, s30 dst_sel:DWORD dst_unused:UNUSED_PAD src0_sel:WORD_1 src1_sel:DWORD
	v_sub_i16 v53, v55, v53 clamp
	v_lshlrev_b16_sdwa v55, v41, v60 dst_sel:DWORD dst_unused:UNUSED_PAD src0_sel:DWORD src1_sel:WORD_1
	v_lshlrev_b16_e32 v51, 8, v51
	v_and_b32_e32 v53, 0xffffff00, v53
	v_sub_i16 v51, v55, v51 clamp
	v_or_b32_sdwa v51, v51, v53 dst_sel:WORD_1 dst_unused:UNUSED_PAD src0_sel:BYTE_1 src1_sel:DWORD
	v_bfe_u32 v53, v34, 7, 8
	v_or_b32_sdwa v60, v54, v51 dst_sel:DWORD dst_unused:UNUSED_PAD src0_sel:WORD_0 src1_sel:DWORD
	v_bcnt_u32_b32 v54, v53, 0
	v_and_b32_e32 v54, 1, v54
	v_lshlrev_b32_e32 v54, 7, v54
	v_xor_b32_e32 v53, v54, v53
	v_mul_lo_u32 v53, v53, s29
	v_and_b32_e32 v54, 0x8000000, v53
	v_lshrrev_b32_e32 v55, 8, v53
	v_lshrrev_b16_e32 v64, 1, v55
	v_cmp_ne_u16_sdwa s[34:35], v54, v11 src0_sel:BYTE_3 src1_sel:DWORD
	v_bfe_i32 v64, v64, 0, 1
	v_lshrrev_b32_e32 v72, 18, v53
	v_cndmask_b32_e64 v54, 0, -1, s[34:35]
	v_bfe_i32 v72, v72, 0, 1
	v_lshlrev_b16_e32 v54, 8, v54
	v_lshlrev_b16_e32 v64, 8, v64
	v_or_b32_sdwa v73, v72, v54 dst_sel:WORD_1 dst_unused:UNUSED_PAD src0_sel:BYTE_0 src1_sel:DWORD
	v_or_b32_sdwa v74, v62, v64 dst_sel:DWORD dst_unused:UNUSED_PAD src0_sel:BYTE_0 src1_sel:DWORD
	v_or_b32_sdwa v73, v74, v73 dst_sel:DWORD dst_unused:UNUSED_PAD src0_sel:WORD_0 src1_sel:DWORD
	s_waitcnt vmcnt(6)
	v_xor_b32_e32 v5, v5, v73
	v_and_b32_e32 v73, 0xffffff00, v5
	v_sub_i16 v64, v73, v64 clamp
	v_lshlrev_b16_e32 v73, 8, v5
	v_lshlrev_b16_e32 v62, 8, v62
	v_and_b32_e32 v64, 0xffffff00, v64
	v_sub_i16 v62, v73, v62 clamp
	v_or_b32_sdwa v62, v62, v64 dst_sel:DWORD dst_unused:UNUSED_PAD src0_sel:BYTE_1 src1_sel:DWORD
	v_and_b32_sdwa v64, v5, s30 dst_sel:DWORD dst_unused:UNUSED_PAD src0_sel:WORD_1 src1_sel:DWORD
	v_sub_i16 v54, v64, v54 clamp
	v_lshlrev_b16_sdwa v5, v41, v5 dst_sel:DWORD dst_unused:UNUSED_PAD src0_sel:DWORD src1_sel:WORD_1
	v_lshlrev_b16_e32 v64, 8, v72
	v_and_b32_e32 v54, 0xffffff00, v54
	v_sub_i16 v5, v5, v64 clamp
	v_or_b32_sdwa v5, v5, v54 dst_sel:WORD_1 dst_unused:UNUSED_PAD src0_sel:BYTE_1 src1_sel:DWORD
	v_lshrrev_b16_e32 v54, 5, v55
	v_or_b32_sdwa v62, v62, v5 dst_sel:DWORD dst_unused:UNUSED_PAD src0_sel:WORD_0 src1_sel:DWORD
	v_and_b32_e32 v5, 0x80000000, v53
	v_cmp_ne_u16_sdwa s[34:35], v5, v11 src0_sel:BYTE_3 src1_sel:DWORD
	v_bfe_i32 v54, v54, 0, 1
	v_lshrrev_b32_e32 v53, 22, v53
	v_cndmask_b32_e64 v5, 0, -1, s[34:35]
	v_bfe_i32 v67, v34, 14, 1
	v_lshl_or_b32 v51, v35, 16, v34
	v_bfe_i32 v34, v34, 11, 1
	v_bfe_i32 v53, v53, 0, 1
	v_lshlrev_b16_e32 v5, 8, v5
	v_lshlrev_b16_e32 v54, 8, v54
	v_or_b32_sdwa v55, v53, v5 dst_sel:WORD_1 dst_unused:UNUSED_PAD src0_sel:BYTE_0 src1_sel:DWORD
	v_or_b32_sdwa v64, v34, v54 dst_sel:DWORD dst_unused:UNUSED_PAD src0_sel:BYTE_0 src1_sel:DWORD
	v_or_b32_sdwa v55, v64, v55 dst_sel:DWORD dst_unused:UNUSED_PAD src0_sel:WORD_0 src1_sel:DWORD
	s_waitcnt vmcnt(5)
	v_xor_b32_e32 v6, v6, v55
	v_and_b32_e32 v55, 0xffffff00, v6
	v_sub_i16 v54, v55, v54 clamp
	v_lshlrev_b16_e32 v55, 8, v6
	v_lshlrev_b16_e32 v34, 8, v34
	v_and_b32_e32 v54, 0xffffff00, v54
	v_sub_i16 v34, v55, v34 clamp
	v_or_b32_sdwa v34, v34, v54 dst_sel:DWORD dst_unused:UNUSED_PAD src0_sel:BYTE_1 src1_sel:DWORD
	v_and_b32_sdwa v54, v6, s30 dst_sel:DWORD dst_unused:UNUSED_PAD src0_sel:WORD_1 src1_sel:DWORD
	v_sub_i16 v5, v54, v5 clamp
	v_lshlrev_b16_sdwa v6, v41, v6 dst_sel:DWORD dst_unused:UNUSED_PAD src0_sel:DWORD src1_sel:WORD_1
	v_lshlrev_b16_e32 v53, 8, v53
	v_and_b32_e32 v5, 0xffffff00, v5
	v_sub_i16 v6, v6, v53 clamp
	v_or_b32_sdwa v5, v6, v5 dst_sel:WORD_1 dst_unused:UNUSED_PAD src0_sel:BYTE_1 src1_sel:DWORD
	v_dot4c_i32_i8_e32 v38, v56, v7
	v_or_b32_sdwa v64, v34, v5 dst_sel:DWORD dst_unused:UNUSED_PAD src0_sel:WORD_0 src1_sel:DWORD
	v_dot4c_i32_i8_e32 v52, v62, v7
	v_dot4c_i32_i8_e32 v38, v71, v0
	;; [unrolled: 1-line block ×3, first 2 shown]
	v_bfe_u32 v0, v51, 14, 8
	v_bcnt_u32_b32 v5, v0, 0
	v_and_b32_e32 v5, 1, v5
	v_lshlrev_b32_e32 v5, 7, v5
	v_xor_b32_e32 v0, v5, v0
	v_mul_lo_u32 v0, v0, s29
	v_and_b32_e32 v5, 0x8000000, v0
	v_lshrrev_b32_e32 v6, 8, v0
	v_lshrrev_b16_e32 v7, 1, v6
	v_cmp_ne_u16_sdwa s[34:35], v5, v11 src0_sel:BYTE_3 src1_sel:DWORD
	v_bfe_i32 v7, v7, 0, 1
	v_lshrrev_b32_e32 v34, 18, v0
	v_cndmask_b32_e64 v5, 0, -1, s[34:35]
	v_bfe_i32 v34, v34, 0, 1
	v_lshlrev_b16_e32 v5, 8, v5
	v_lshlrev_b16_e32 v7, 8, v7
	v_or_b32_sdwa v51, v34, v5 dst_sel:WORD_1 dst_unused:UNUSED_PAD src0_sel:BYTE_0 src1_sel:DWORD
	v_or_b32_sdwa v53, v67, v7 dst_sel:DWORD dst_unused:UNUSED_PAD src0_sel:BYTE_0 src1_sel:DWORD
	v_or_b32_sdwa v51, v53, v51 dst_sel:DWORD dst_unused:UNUSED_PAD src0_sel:WORD_0 src1_sel:DWORD
	s_waitcnt vmcnt(4)
	v_xor_b32_e32 v51, v66, v51
	v_and_b32_e32 v53, 0xffffff00, v51
	v_sub_i16 v7, v53, v7 clamp
	v_lshlrev_b16_e32 v53, 8, v51
	v_lshlrev_b16_e32 v54, 8, v67
	v_and_b32_e32 v7, 0xffffff00, v7
	v_sub_i16 v53, v53, v54 clamp
	v_or_b32_sdwa v7, v53, v7 dst_sel:DWORD dst_unused:UNUSED_PAD src0_sel:BYTE_1 src1_sel:DWORD
	v_and_b32_sdwa v53, v51, s30 dst_sel:DWORD dst_unused:UNUSED_PAD src0_sel:WORD_1 src1_sel:DWORD
	v_sub_i16 v5, v53, v5 clamp
	v_lshlrev_b16_sdwa v51, v41, v51 dst_sel:DWORD dst_unused:UNUSED_PAD src0_sel:DWORD src1_sel:WORD_1
	v_lshlrev_b16_e32 v34, 8, v34
	v_and_b32_e32 v5, 0xffffff00, v5
	v_sub_i16 v34, v51, v34 clamp
	v_or_b32_sdwa v5, v34, v5 dst_sel:WORD_1 dst_unused:UNUSED_PAD src0_sel:BYTE_1 src1_sel:DWORD
	v_lshrrev_b16_e32 v6, 5, v6
	v_or_b32_sdwa v66, v7, v5 dst_sel:DWORD dst_unused:UNUSED_PAD src0_sel:WORD_0 src1_sel:DWORD
	v_and_b32_e32 v5, 0x80000000, v0
	v_cmp_ne_u16_sdwa s[34:35], v5, v11 src0_sel:BYTE_3 src1_sel:DWORD
	v_bfe_i32 v6, v6, 0, 1
	v_lshrrev_b32_e32 v0, 22, v0
	v_cndmask_b32_e64 v5, 0, -1, s[34:35]
	v_bfe_i32 v7, v35, 2, 1
	v_bfe_i32 v0, v0, 0, 1
	v_lshlrev_b16_e32 v5, 8, v5
	v_lshlrev_b16_e32 v6, 8, v6
	v_or_b32_sdwa v34, v0, v5 dst_sel:WORD_1 dst_unused:UNUSED_PAD src0_sel:BYTE_0 src1_sel:DWORD
	v_or_b32_sdwa v51, v7, v6 dst_sel:DWORD dst_unused:UNUSED_PAD src0_sel:BYTE_0 src1_sel:DWORD
	v_or_b32_sdwa v34, v51, v34 dst_sel:DWORD dst_unused:UNUSED_PAD src0_sel:WORD_0 src1_sel:DWORD
	s_waitcnt vmcnt(2)
	v_xor_b32_e32 v34, v63, v34
	v_and_b32_e32 v51, 0xffffff00, v34
	v_sub_i16 v6, v51, v6 clamp
	v_lshlrev_b16_e32 v51, 8, v34
	v_lshlrev_b16_e32 v7, 8, v7
	v_and_b32_e32 v6, 0xffffff00, v6
	v_sub_i16 v7, v51, v7 clamp
	v_or_b32_sdwa v6, v7, v6 dst_sel:DWORD dst_unused:UNUSED_PAD src0_sel:BYTE_1 src1_sel:DWORD
	v_and_b32_sdwa v7, v34, s30 dst_sel:DWORD dst_unused:UNUSED_PAD src0_sel:WORD_1 src1_sel:DWORD
	v_sub_i16 v5, v7, v5 clamp
	v_lshlrev_b16_sdwa v7, v41, v34 dst_sel:DWORD dst_unused:UNUSED_PAD src0_sel:DWORD src1_sel:WORD_1
	v_lshlrev_b16_e32 v0, 8, v0
	v_and_b32_e32 v5, 0xffffff00, v5
	v_sub_i16 v0, v7, v0 clamp
	v_or_b32_sdwa v0, v0, v5 dst_sel:WORD_1 dst_unused:UNUSED_PAD src0_sel:BYTE_1 src1_sel:DWORD
	v_dot4c_i32_i8_e32 v38, v57, v1
	v_or_b32_sdwa v63, v6, v0 dst_sel:DWORD dst_unused:UNUSED_PAD src0_sel:WORD_0 src1_sel:DWORD
	v_bfe_u32 v0, v35, 5, 8
	v_dot4c_i32_i8_e32 v52, v66, v1
	v_bcnt_u32_b32 v1, v0, 0
	v_and_b32_e32 v1, 1, v1
	v_lshlrev_b32_e32 v1, 7, v1
	v_xor_b32_e32 v0, v1, v0
	v_mul_lo_u32 v0, v0, s29
	v_and_b32_e32 v1, 0x8000000, v0
	v_lshrrev_b32_e32 v5, 8, v0
	v_lshrrev_b16_e32 v6, 1, v5
	v_cmp_ne_u16_sdwa s[34:35], v1, v11 src0_sel:BYTE_3 src1_sel:DWORD
	v_bfe_i32 v6, v6, 0, 1
	v_lshrrev_b32_e32 v7, 18, v0
	v_cndmask_b32_e64 v1, 0, -1, s[34:35]
	v_dot4c_i32_i8_e32 v38, v58, v2
	v_dot4c_i32_i8_e32 v52, v63, v2
	v_bfe_i32 v2, v35, 5, 1
	v_bfe_i32 v7, v7, 0, 1
	v_lshlrev_b16_e32 v1, 8, v1
	v_lshlrev_b16_e32 v6, 8, v6
	v_or_b32_sdwa v34, v7, v1 dst_sel:WORD_1 dst_unused:UNUSED_PAD src0_sel:BYTE_0 src1_sel:DWORD
	v_or_b32_sdwa v51, v2, v6 dst_sel:DWORD dst_unused:UNUSED_PAD src0_sel:BYTE_0 src1_sel:DWORD
	v_or_b32_sdwa v34, v51, v34 dst_sel:DWORD dst_unused:UNUSED_PAD src0_sel:WORD_0 src1_sel:DWORD
	v_xor_b32_e32 v34, v68, v34
	v_and_b32_e32 v51, 0xffffff00, v34
	v_sub_i16 v6, v51, v6 clamp
	v_lshlrev_b16_e32 v51, 8, v34
	v_lshlrev_b16_e32 v2, 8, v2
	v_and_b32_e32 v6, 0xffffff00, v6
	v_sub_i16 v2, v51, v2 clamp
	v_or_b32_sdwa v2, v2, v6 dst_sel:DWORD dst_unused:UNUSED_PAD src0_sel:BYTE_1 src1_sel:DWORD
	v_and_b32_sdwa v6, v34, s30 dst_sel:DWORD dst_unused:UNUSED_PAD src0_sel:WORD_1 src1_sel:DWORD
	v_sub_i16 v1, v6, v1 clamp
	v_lshlrev_b16_sdwa v6, v41, v34 dst_sel:DWORD dst_unused:UNUSED_PAD src0_sel:DWORD src1_sel:WORD_1
	v_lshlrev_b16_e32 v7, 8, v7
	v_and_b32_e32 v1, 0xffffff00, v1
	v_sub_i16 v6, v6, v7 clamp
	v_or_b32_sdwa v1, v6, v1 dst_sel:WORD_1 dst_unused:UNUSED_PAD src0_sel:BYTE_1 src1_sel:DWORD
	v_lshrrev_b16_e32 v5, 5, v5
	v_or_b32_sdwa v67, v2, v1 dst_sel:DWORD dst_unused:UNUSED_PAD src0_sel:WORD_0 src1_sel:DWORD
	v_and_b32_e32 v1, 0x80000000, v0
	v_cmp_ne_u16_sdwa s[34:35], v1, v11 src0_sel:BYTE_3 src1_sel:DWORD
	v_bfe_i32 v5, v5, 0, 1
	v_lshrrev_b32_e32 v0, 22, v0
	v_cndmask_b32_e64 v1, 0, -1, s[34:35]
	v_bfe_i32 v2, v35, 9, 1
	v_bfe_i32 v0, v0, 0, 1
	v_lshlrev_b16_e32 v1, 8, v1
	v_lshlrev_b16_e32 v5, 8, v5
	v_or_b32_sdwa v6, v0, v1 dst_sel:WORD_1 dst_unused:UNUSED_PAD src0_sel:BYTE_0 src1_sel:DWORD
	v_or_b32_sdwa v7, v2, v5 dst_sel:DWORD dst_unused:UNUSED_PAD src0_sel:BYTE_0 src1_sel:DWORD
	v_or_b32_sdwa v6, v7, v6 dst_sel:DWORD dst_unused:UNUSED_PAD src0_sel:WORD_0 src1_sel:DWORD
	s_waitcnt vmcnt(1)
	v_xor_b32_e32 v6, v69, v6
	v_and_b32_e32 v7, 0xffffff00, v6
	v_sub_i16 v5, v7, v5 clamp
	v_lshlrev_b16_e32 v7, 8, v6
	v_lshlrev_b16_e32 v2, 8, v2
	v_and_b32_e32 v5, 0xffffff00, v5
	v_sub_i16 v2, v7, v2 clamp
	v_or_b32_sdwa v2, v2, v5 dst_sel:DWORD dst_unused:UNUSED_PAD src0_sel:BYTE_1 src1_sel:DWORD
	v_and_b32_sdwa v5, v6, s30 dst_sel:DWORD dst_unused:UNUSED_PAD src0_sel:WORD_1 src1_sel:DWORD
	v_sub_i16 v1, v5, v1 clamp
	v_lshlrev_b16_sdwa v5, v41, v6 dst_sel:DWORD dst_unused:UNUSED_PAD src0_sel:DWORD src1_sel:WORD_1
	v_lshlrev_b16_e32 v0, 8, v0
	v_and_b32_e32 v1, 0xffffff00, v1
	v_sub_i16 v0, v5, v0 clamp
	v_dot4c_i32_i8_e32 v38, v59, v3
	v_or_b32_sdwa v0, v0, v1 dst_sel:WORD_1 dst_unused:UNUSED_PAD src0_sel:BYTE_1 src1_sel:DWORD
	v_dot4c_i32_i8_e32 v38, v60, v36
	v_or_b32_sdwa v68, v2, v0 dst_sel:DWORD dst_unused:UNUSED_PAD src0_sel:WORD_0 src1_sel:DWORD
	v_dot4c_i32_i8_e32 v52, v67, v3
	v_dot4c_i32_i8_e32 v52, v68, v36
	v_lshrrev_b32_e32 v0, 31, v38
	v_add_u32_e32 v0, v38, v0
	v_lshrrev_b32_e32 v36, 12, v32
	v_lshrrev_b32_e32 v1, 31, v52
	v_ashrrev_i32_e32 v0, 1, v0
	v_add_u32_e32 v1, v52, v1
	v_lshrrev_b32_e32 v69, 12, v35
	v_ashrrev_i32_e32 v2, 1, v1
	v_mad_u64_u32 v[0:1], s[34:35], v38, v36, v[0:1]
	v_mad_u64_u32 v[2:3], s[34:35], v52, v69, v[2:3]
	v_lshrrev_b32_e32 v1, 31, v0
	v_add_u32_e32 v0, v0, v1
	v_lshrrev_b32_e32 v1, 31, v2
	v_add_u32_e32 v1, v2, v1
	v_ashrrev_i32_e32 v0, 1, v0
	v_ashrrev_i32_e32 v1, 1, v1
	v_cvt_f32_i32_e32 v7, v1
	v_cvt_f32_i32_e32 v6, v0
	scratch_load_dwordx4 v[0:3], off, off offset:32
	s_waitcnt vmcnt(1)
	v_cvt_f32_f16_e32 v35, v70
	v_cvt_f32_f16_e32 v34, v50
	v_pk_mul_f32 v[4:5], v[4:5], v[34:35] op_sel_hi:[0,1]
	s_waitcnt vmcnt(0)
	v_pk_fma_f32 v[0:1], v[4:5], v[6:7], v[0:1]
	v_add_u32_e32 v4, s26, v39
	v_mad_u64_u32 v[4:5], s[34:35], v4, 36, s[24:25]
	v_mad_u64_u32 v[54:55], s[34:35], v12, 36, v[4:5]
	global_load_dword v38, v[54:55], off offset:32
	global_load_dwordx4 v[4:7], v[54:55], off offset:16
	global_load_dwordx4 v[50:53], v[54:55], off
	s_waitcnt vmcnt(0)
	v_cvt_f32_f16_e32 v32, v50
	v_mov_b32_e32 v50, 0
	v_dot4c_i32_i8_e32 v50, v33, v51
	v_mov_b32_e32 v33, 0
	v_dot4c_i32_i8_e32 v50, v37, v52
	v_dot4c_i32_i8_e32 v33, v65, v51
	;; [unrolled: 1-line block ×15, first 2 shown]
	s_nop 0
	v_lshrrev_b32_e32 v4, 31, v50
	v_add_u32_e32 v4, v50, v4
	v_lshrrev_b32_e32 v5, 31, v33
	v_ashrrev_i32_e32 v4, 1, v4
	v_add_u32_e32 v5, v33, v5
	v_ashrrev_i32_e32 v6, 1, v5
	v_mad_u64_u32 v[4:5], s[34:35], v50, v36, v[4:5]
	v_lshrrev_b32_e32 v5, 31, v4
	v_mad_u64_u32 v[6:7], s[34:35], v33, v69, v[6:7]
	v_add_u32_e32 v4, v4, v5
	v_ashrrev_i32_e32 v33, 1, v4
	v_lshrrev_b32_e32 v4, 31, v6
	v_add_u32_e32 v4, v6, v4
	v_ashrrev_i32_e32 v6, 1, v4
	v_cvt_f32_i32_e32 v7, v6
	v_cvt_f32_i32_e32 v6, v33
	v_pk_mul_f32 v[4:5], v[32:33], v[34:35] op_sel_hi:[0,1]
	v_lshlrev_b32_sdwa v33, v40, v48 dst_sel:DWORD dst_unused:UNUSED_PAD src0_sel:DWORD src1_sel:BYTE_1
	v_and_b32_e32 v36, 1, v43
	v_pk_fma_f32 v[2:3], v[4:5], v[6:7], v[2:3]
	scratch_store_dwordx4 off, v[0:3], off offset:32
	v_sub_u16_e32 v36, 0, v36
	s_nop 0
	v_add_u32_e32 v0, s27, v39
	v_mad_u64_u32 v[0:1], s[34:35], v0, 36, s[24:25]
	v_mad_u64_u32 v[34:35], s[34:35], v12, 36, v[0:1]
	global_load_dword v32, v[34:35], off offset:32
	global_load_dwordx4 v[0:3], v[34:35], off offset:16
	global_load_dwordx4 v[4:7], v[34:35], off
	v_and_b32_e32 v34, 0xff, v43
	global_load_ushort v31, v[30:31], off offset:6
	v_bcnt_u32_b32 v35, v34, 0
	global_load_ushort v25, v[24:25], off offset:66
	v_lshlrev_b32_sdwa v24, v40, v48 dst_sel:DWORD dst_unused:UNUSED_PAD src0_sel:DWORD src1_sel:BYTE_0
	global_load_dword v24, v24, s[20:21]
	v_and_b32_e32 v35, 1, v35
	global_load_dword v33, v33, s[20:21]
	v_lshlrev_b32_e32 v35, 7, v35
	v_xor_b32_e32 v34, v35, v34
	v_mul_lo_u32 v34, v34, s29
	v_and_b32_e32 v35, 0x8000000, v34
	v_lshrrev_b32_e32 v37, 8, v34
	v_lshrrev_b16_e32 v38, 1, v37
	v_cmp_ne_u16_sdwa s[34:35], v35, v11 src0_sel:BYTE_3 src1_sel:DWORD
	v_bfe_i32 v38, v38, 0, 1
	v_lshrrev_b32_e32 v48, 18, v34
	v_cndmask_b32_e64 v35, 0, -1, s[34:35]
	v_bfe_i32 v48, v48, 0, 1
	v_lshlrev_b16_e32 v35, 8, v35
	v_lshlrev_b16_e32 v38, 8, v38
	v_or_b32_sdwa v50, v48, v35 dst_sel:WORD_1 dst_unused:UNUSED_PAD src0_sel:BYTE_0 src1_sel:DWORD
	v_or_b32_sdwa v51, v36, v38 dst_sel:DWORD dst_unused:UNUSED_PAD src0_sel:BYTE_0 src1_sel:DWORD
	v_or_b32_sdwa v50, v51, v50 dst_sel:DWORD dst_unused:UNUSED_PAD src0_sel:WORD_0 src1_sel:DWORD
	v_lshlrev_b16_e32 v36, 8, v36
	v_lshrrev_b16_e32 v37, 5, v37
	v_bfe_i32 v37, v37, 0, 1
	v_lshlrev_b16_e32 v37, 8, v37
	v_and_b32_e32 v30, 0xffff, v43
	v_bfe_i32 v51, v43, 7, 1
	v_add_u32_e32 v39, 64, v39
	s_waitcnt vmcnt(4)
	v_cvt_f32_f16_e32 v4, v4
	s_waitcnt vmcnt(1)
	v_xor_b32_e32 v24, v24, v50
	v_and_b32_e32 v50, 0xffffff00, v24
	v_sub_i16 v38, v50, v38 clamp
	v_lshlrev_b16_e32 v50, 8, v24
	v_and_b32_e32 v38, 0xffffff00, v38
	v_sub_i16 v36, v50, v36 clamp
	v_or_b32_sdwa v36, v36, v38 dst_sel:DWORD dst_unused:UNUSED_PAD src0_sel:BYTE_1 src1_sel:DWORD
	v_and_b32_sdwa v38, v24, s30 dst_sel:DWORD dst_unused:UNUSED_PAD src0_sel:WORD_1 src1_sel:DWORD
	v_sub_i16 v35, v38, v35 clamp
	v_lshlrev_b16_sdwa v24, v41, v24 dst_sel:DWORD dst_unused:UNUSED_PAD src0_sel:DWORD src1_sel:WORD_1
	v_lshlrev_b16_e32 v38, 8, v48
	v_and_b32_e32 v35, 0xffffff00, v35
	v_sub_i16 v24, v24, v38 clamp
	v_or_b32_sdwa v24, v24, v35 dst_sel:WORD_1 dst_unused:UNUSED_PAD src0_sel:BYTE_1 src1_sel:DWORD
	v_and_b32_e32 v35, 0x80000000, v34
	v_cmp_ne_u16_sdwa s[34:35], v35, v11 src0_sel:BYTE_3 src1_sel:DWORD
	v_lshrrev_b32_e32 v34, 22, v34
	v_or_b32_sdwa v24, v36, v24 dst_sel:DWORD dst_unused:UNUSED_PAD src0_sel:WORD_0 src1_sel:DWORD
	v_cndmask_b32_e64 v35, 0, -1, s[34:35]
	v_bfe_i32 v36, v43, 4, 1
	v_bfe_i32 v34, v34, 0, 1
	v_lshlrev_b16_e32 v35, 8, v35
	v_or_b32_sdwa v38, v34, v35 dst_sel:WORD_1 dst_unused:UNUSED_PAD src0_sel:BYTE_0 src1_sel:DWORD
	v_or_b32_sdwa v48, v36, v37 dst_sel:DWORD dst_unused:UNUSED_PAD src0_sel:BYTE_0 src1_sel:DWORD
	v_or_b32_sdwa v38, v48, v38 dst_sel:DWORD dst_unused:UNUSED_PAD src0_sel:WORD_0 src1_sel:DWORD
	s_waitcnt vmcnt(0)
	v_xor_b32_e32 v33, v33, v38
	v_and_b32_e32 v38, 0xffffff00, v33
	v_sub_i16 v37, v38, v37 clamp
	v_lshlrev_b16_e32 v38, 8, v33
	v_lshlrev_b16_e32 v36, 8, v36
	v_and_b32_e32 v37, 0xffffff00, v37
	v_sub_i16 v36, v38, v36 clamp
	v_or_b32_sdwa v36, v36, v37 dst_sel:DWORD dst_unused:UNUSED_PAD src0_sel:BYTE_1 src1_sel:DWORD
	v_and_b32_sdwa v37, v33, s30 dst_sel:DWORD dst_unused:UNUSED_PAD src0_sel:WORD_1 src1_sel:DWORD
	v_sub_i16 v35, v37, v35 clamp
	v_lshlrev_b16_sdwa v33, v41, v33 dst_sel:DWORD dst_unused:UNUSED_PAD src0_sel:DWORD src1_sel:WORD_1
	v_lshlrev_b16_e32 v34, 8, v34
	v_and_b32_e32 v35, 0xffffff00, v35
	v_sub_i16 v33, v33, v34 clamp
	v_or_b32_sdwa v33, v33, v35 dst_sel:WORD_1 dst_unused:UNUSED_PAD src0_sel:BYTE_1 src1_sel:DWORD
	v_lshlrev_b32_sdwa v35, v40, v31 dst_sel:DWORD dst_unused:UNUSED_PAD src0_sel:DWORD src1_sel:BYTE_1
	v_or_b32_sdwa v34, v36, v33 dst_sel:DWORD dst_unused:UNUSED_PAD src0_sel:WORD_0 src1_sel:DWORD
	v_mov_b32_e32 v33, 0
	v_dot4c_i32_i8_e32 v33, v24, v5
	v_lshlrev_b32_sdwa v24, v40, v47 dst_sel:DWORD dst_unused:UNUSED_PAD src0_sel:DWORD src1_sel:BYTE_0
	global_load_dword v52, v24, s[20:21]
	v_lshlrev_b32_sdwa v24, v40, v47 dst_sel:DWORD dst_unused:UNUSED_PAD src0_sel:DWORD src1_sel:BYTE_1
	global_load_dword v50, v24, s[20:21]
	v_lshlrev_b32_sdwa v24, v40, v46 dst_sel:DWORD dst_unused:UNUSED_PAD src0_sel:DWORD src1_sel:BYTE_0
	global_load_dword v48, v24, s[20:21]
	v_lshlrev_b32_sdwa v24, v40, v46 dst_sel:DWORD dst_unused:UNUSED_PAD src0_sel:DWORD src1_sel:BYTE_1
	global_load_dword v46, v24, s[20:21]
	v_and_b32_sdwa v24, s23, v31 dst_sel:DWORD dst_unused:UNUSED_PAD src0_sel:DWORD src1_sel:BYTE_0
	v_lshlrev_b32_e32 v24, 2, v24
	v_dot4c_i32_i8_e32 v33, v34, v6
	global_load_dword v34, v24, s[20:21]
	global_load_dword v31, v35, s[20:21]
	s_nop 0
	global_load_ushort v24, v[22:23], off
	global_load_ushort v53, v[28:29], off offset:6
	v_lshlrev_b32_sdwa v23, v40, v49 dst_sel:DWORD dst_unused:UNUSED_PAD src0_sel:DWORD src1_sel:BYTE_0
	global_load_dword v23, v23, s[20:21]
	v_and_b32_e32 v35, 1, v42
	global_load_ushort v22, v[26:27], off offset:66
	v_lshlrev_b32_sdwa v26, v40, v49 dst_sel:DWORD dst_unused:UNUSED_PAD src0_sel:DWORD src1_sel:BYTE_1
	global_load_dword v26, v26, s[20:21]
	v_and_b32_e32 v27, 0xff, v42
	v_bcnt_u32_b32 v29, v27, 0
	v_and_b32_e32 v29, 1, v29
	v_lshlrev_b32_e32 v29, 7, v29
	v_xor_b32_e32 v27, v29, v27
	v_mul_lo_u32 v27, v27, s29
	v_and_b32_e32 v29, 0x8000000, v27
	v_lshrrev_b32_e32 v36, 8, v27
	v_lshrrev_b16_e32 v37, 1, v36
	v_cmp_ne_u16_sdwa s[34:35], v29, v11 src0_sel:BYTE_3 src1_sel:DWORD
	v_bfe_i32 v37, v37, 0, 1
	v_lshrrev_b32_e32 v38, 18, v27
	v_cndmask_b32_e64 v29, 0, -1, s[34:35]
	v_sub_u16_e32 v35, 0, v35
	v_bfe_i32 v38, v38, 0, 1
	v_lshlrev_b16_e32 v29, 8, v29
	v_lshlrev_b16_e32 v37, 8, v37
	v_or_b32_sdwa v49, v38, v29 dst_sel:WORD_1 dst_unused:UNUSED_PAD src0_sel:BYTE_0 src1_sel:DWORD
	v_or_b32_sdwa v54, v35, v37 dst_sel:DWORD dst_unused:UNUSED_PAD src0_sel:BYTE_0 src1_sel:DWORD
	v_or_b32_sdwa v49, v54, v49 dst_sel:DWORD dst_unused:UNUSED_PAD src0_sel:WORD_0 src1_sel:DWORD
	v_lshlrev_b16_e32 v35, 8, v35
	v_lshrrev_b16_e32 v36, 5, v36
	v_bfe_i32 v36, v36, 0, 1
	v_lshlrev_b16_e32 v36, 8, v36
	v_bfe_i32 v47, v43, 14, 1
	v_and_b32_e32 v28, 0xffff, v42
	s_waitcnt vmcnt(2)
	v_xor_b32_e32 v23, v23, v49
	v_and_b32_e32 v49, 0xffffff00, v23
	v_sub_i16 v37, v49, v37 clamp
	v_lshlrev_b16_e32 v49, 8, v23
	v_and_b32_e32 v37, 0xffffff00, v37
	v_sub_i16 v35, v49, v35 clamp
	v_or_b32_sdwa v35, v35, v37 dst_sel:DWORD dst_unused:UNUSED_PAD src0_sel:BYTE_1 src1_sel:DWORD
	v_and_b32_sdwa v37, v23, s30 dst_sel:DWORD dst_unused:UNUSED_PAD src0_sel:WORD_1 src1_sel:DWORD
	v_sub_i16 v29, v37, v29 clamp
	v_lshlrev_b16_sdwa v23, v41, v23 dst_sel:DWORD dst_unused:UNUSED_PAD src0_sel:DWORD src1_sel:WORD_1
	v_lshlrev_b16_e32 v37, 8, v38
	v_and_b32_e32 v29, 0xffffff00, v29
	v_sub_i16 v23, v23, v37 clamp
	v_or_b32_sdwa v23, v23, v29 dst_sel:WORD_1 dst_unused:UNUSED_PAD src0_sel:BYTE_1 src1_sel:DWORD
	s_nop 0
	v_or_b32_sdwa v29, v35, v23 dst_sel:DWORD dst_unused:UNUSED_PAD src0_sel:WORD_0 src1_sel:DWORD
	v_and_b32_e32 v23, 0x80000000, v27
	v_cmp_ne_u16_sdwa s[34:35], v23, v11 src0_sel:BYTE_3 src1_sel:DWORD
	v_lshrrev_b32_e32 v27, 22, v27
	v_bfe_i32 v35, v42, 4, 1
	v_cndmask_b32_e64 v23, 0, -1, s[34:35]
	v_bfe_i32 v27, v27, 0, 1
	v_lshlrev_b16_e32 v23, 8, v23
	v_or_b32_sdwa v37, v27, v23 dst_sel:WORD_1 dst_unused:UNUSED_PAD src0_sel:BYTE_0 src1_sel:DWORD
	v_or_b32_sdwa v38, v35, v36 dst_sel:DWORD dst_unused:UNUSED_PAD src0_sel:BYTE_0 src1_sel:DWORD
	v_or_b32_sdwa v37, v38, v37 dst_sel:DWORD dst_unused:UNUSED_PAD src0_sel:WORD_0 src1_sel:DWORD
	s_waitcnt vmcnt(0)
	v_xor_b32_e32 v26, v26, v37
	v_and_b32_e32 v37, 0xffffff00, v26
	v_sub_i16 v36, v37, v36 clamp
	v_lshlrev_b16_e32 v37, 8, v26
	v_lshlrev_b16_e32 v35, 8, v35
	v_and_b32_e32 v36, 0xffffff00, v36
	v_sub_i16 v35, v37, v35 clamp
	v_or_b32_sdwa v35, v35, v36 dst_sel:DWORD dst_unused:UNUSED_PAD src0_sel:BYTE_1 src1_sel:DWORD
	v_and_b32_sdwa v36, v26, s30 dst_sel:DWORD dst_unused:UNUSED_PAD src0_sel:WORD_1 src1_sel:DWORD
	v_sub_i16 v23, v36, v23 clamp
	v_lshlrev_b16_sdwa v26, v41, v26 dst_sel:DWORD dst_unused:UNUSED_PAD src0_sel:DWORD src1_sel:WORD_1
	v_lshlrev_b16_e32 v27, 8, v27
	v_and_b32_e32 v23, 0xffffff00, v23
	v_sub_i16 v26, v26, v27 clamp
	v_or_b32_sdwa v23, v26, v23 dst_sel:WORD_1 dst_unused:UNUSED_PAD src0_sel:BYTE_1 src1_sel:DWORD
	v_bfe_i32 v37, v42, 7, 1
	v_or_b32_sdwa v26, v35, v23 dst_sel:DWORD dst_unused:UNUSED_PAD src0_sel:WORD_0 src1_sel:DWORD
	v_mov_b32_e32 v23, 0
	v_dot4c_i32_i8_e32 v23, v29, v5
	v_lshlrev_b32_sdwa v5, v40, v45 dst_sel:DWORD dst_unused:UNUSED_PAD src0_sel:DWORD src1_sel:BYTE_0
	global_load_dword v38, v5, s[20:21]
	v_lshlrev_b32_sdwa v5, v40, v45 dst_sel:DWORD dst_unused:UNUSED_PAD src0_sel:DWORD src1_sel:BYTE_1
	global_load_dword v36, v5, s[20:21]
	v_lshlrev_b32_sdwa v5, v40, v44 dst_sel:DWORD dst_unused:UNUSED_PAD src0_sel:DWORD src1_sel:BYTE_0
	global_load_dword v35, v5, s[20:21]
	v_lshlrev_b32_sdwa v5, v40, v44 dst_sel:DWORD dst_unused:UNUSED_PAD src0_sel:DWORD src1_sel:BYTE_1
	global_load_dword v27, v5, s[20:21]
	v_and_b32_sdwa v5, s23, v53 dst_sel:DWORD dst_unused:UNUSED_PAD src0_sel:DWORD src1_sel:BYTE_0
	v_lshlrev_b32_e32 v5, 2, v5
	v_lshlrev_b32_sdwa v44, v40, v53 dst_sel:DWORD dst_unused:UNUSED_PAD src0_sel:DWORD src1_sel:BYTE_1
	v_dot4c_i32_i8_e32 v23, v26, v6
	global_load_dword v26, v5, s[20:21]
	global_load_dword v6, v44, s[20:21]
	s_nop 0
	global_load_ushort v5, v[20:21], off
	v_bfe_u32 v21, v43, 7, 8
	v_lshl_or_b32 v20, v25, 16, v30
	v_bcnt_u32_b32 v30, v21, 0
	v_and_b32_e32 v30, 1, v30
	v_lshlrev_b32_e32 v30, 7, v30
	v_xor_b32_e32 v21, v30, v21
	v_mul_lo_u32 v21, v21, s29
	v_and_b32_e32 v30, 0x8000000, v21
	v_lshrrev_b32_e32 v44, 8, v21
	v_lshrrev_b16_e32 v45, 1, v44
	v_cmp_ne_u16_sdwa s[20:21], v30, v11 src0_sel:BYTE_3 src1_sel:DWORD
	v_bfe_i32 v45, v45, 0, 1
	v_lshrrev_b32_e32 v49, 18, v21
	v_cndmask_b32_e64 v30, 0, -1, s[20:21]
	v_bfe_i32 v49, v49, 0, 1
	v_lshlrev_b16_e32 v30, 8, v30
	v_lshlrev_b16_e32 v45, 8, v45
	v_or_b32_sdwa v53, v49, v30 dst_sel:WORD_1 dst_unused:UNUSED_PAD src0_sel:BYTE_0 src1_sel:DWORD
	v_or_b32_sdwa v54, v51, v45 dst_sel:DWORD dst_unused:UNUSED_PAD src0_sel:BYTE_0 src1_sel:DWORD
	v_or_b32_sdwa v53, v54, v53 dst_sel:DWORD dst_unused:UNUSED_PAD src0_sel:WORD_0 src1_sel:DWORD
	v_xor_b32_e32 v52, v52, v53
	v_and_b32_e32 v53, 0xffffff00, v52
	v_sub_i16 v45, v53, v45 clamp
	v_lshlrev_b16_e32 v53, 8, v52
	v_lshlrev_b16_e32 v51, 8, v51
	v_and_b32_e32 v45, 0xffffff00, v45
	v_sub_i16 v51, v53, v51 clamp
	v_or_b32_sdwa v45, v51, v45 dst_sel:DWORD dst_unused:UNUSED_PAD src0_sel:BYTE_1 src1_sel:DWORD
	v_and_b32_sdwa v51, v52, s30 dst_sel:DWORD dst_unused:UNUSED_PAD src0_sel:WORD_1 src1_sel:DWORD
	v_sub_i16 v30, v51, v30 clamp
	v_lshlrev_b16_sdwa v51, v41, v52 dst_sel:DWORD dst_unused:UNUSED_PAD src0_sel:DWORD src1_sel:WORD_1
	v_lshlrev_b16_e32 v49, 8, v49
	v_and_b32_e32 v30, 0xffffff00, v30
	v_sub_i16 v49, v51, v49 clamp
	v_or_b32_sdwa v30, v49, v30 dst_sel:WORD_1 dst_unused:UNUSED_PAD src0_sel:BYTE_1 src1_sel:DWORD
	v_lshrrev_b16_e32 v44, 5, v44
	v_or_b32_sdwa v30, v45, v30 dst_sel:DWORD dst_unused:UNUSED_PAD src0_sel:WORD_0 src1_sel:DWORD
	v_and_b32_e32 v45, 0x80000000, v21
	v_cmp_ne_u16_sdwa s[20:21], v45, v11 src0_sel:BYTE_3 src1_sel:DWORD
	v_bfe_i32 v44, v44, 0, 1
	v_lshrrev_b32_e32 v21, 22, v21
	v_cndmask_b32_e64 v45, 0, -1, s[20:21]
	v_bfe_i32 v43, v43, 11, 1
	v_bfe_i32 v21, v21, 0, 1
	v_lshlrev_b16_e32 v45, 8, v45
	v_lshlrev_b16_e32 v44, 8, v44
	v_or_b32_sdwa v49, v21, v45 dst_sel:WORD_1 dst_unused:UNUSED_PAD src0_sel:BYTE_0 src1_sel:DWORD
	v_or_b32_sdwa v51, v43, v44 dst_sel:DWORD dst_unused:UNUSED_PAD src0_sel:BYTE_0 src1_sel:DWORD
	v_or_b32_sdwa v49, v51, v49 dst_sel:DWORD dst_unused:UNUSED_PAD src0_sel:WORD_0 src1_sel:DWORD
	v_xor_b32_e32 v49, v50, v49
	v_and_b32_e32 v50, 0xffffff00, v49
	v_sub_i16 v44, v50, v44 clamp
	v_lshlrev_b16_e32 v50, 8, v49
	v_lshlrev_b16_e32 v43, 8, v43
	v_and_b32_e32 v44, 0xffffff00, v44
	v_sub_i16 v43, v50, v43 clamp
	v_or_b32_sdwa v43, v43, v44 dst_sel:DWORD dst_unused:UNUSED_PAD src0_sel:BYTE_1 src1_sel:DWORD
	v_and_b32_sdwa v44, v49, s30 dst_sel:DWORD dst_unused:UNUSED_PAD src0_sel:WORD_1 src1_sel:DWORD
	v_sub_i16 v44, v44, v45 clamp
	v_lshlrev_b16_sdwa v45, v41, v49 dst_sel:DWORD dst_unused:UNUSED_PAD src0_sel:DWORD src1_sel:WORD_1
	v_lshlrev_b16_e32 v21, 8, v21
	v_and_b32_e32 v44, 0xffffff00, v44
	v_sub_i16 v21, v45, v21 clamp
	v_or_b32_sdwa v21, v21, v44 dst_sel:WORD_1 dst_unused:UNUSED_PAD src0_sel:BYTE_1 src1_sel:DWORD
	v_dot4c_i32_i8_e32 v33, v30, v7
	v_or_b32_sdwa v21, v43, v21 dst_sel:DWORD dst_unused:UNUSED_PAD src0_sel:WORD_0 src1_sel:DWORD
	v_bfe_u32 v20, v20, 14, 8
	v_dot4c_i32_i8_e32 v33, v21, v0
	v_bcnt_u32_b32 v21, v20, 0
	v_and_b32_e32 v21, 1, v21
	v_lshlrev_b32_e32 v21, 7, v21
	v_xor_b32_e32 v20, v21, v20
	v_mul_lo_u32 v20, v20, s29
	v_and_b32_e32 v21, 0x8000000, v20
	v_lshrrev_b32_e32 v30, 8, v20
	v_lshrrev_b16_e32 v43, 1, v30
	v_cmp_ne_u16_sdwa s[20:21], v21, v11 src0_sel:BYTE_3 src1_sel:DWORD
	v_bfe_i32 v43, v43, 0, 1
	v_lshrrev_b32_e32 v44, 18, v20
	v_cndmask_b32_e64 v21, 0, -1, s[20:21]
	v_bfe_i32 v44, v44, 0, 1
	v_lshlrev_b16_e32 v21, 8, v21
	v_lshlrev_b16_e32 v43, 8, v43
	v_or_b32_sdwa v45, v44, v21 dst_sel:WORD_1 dst_unused:UNUSED_PAD src0_sel:BYTE_0 src1_sel:DWORD
	v_or_b32_sdwa v49, v47, v43 dst_sel:DWORD dst_unused:UNUSED_PAD src0_sel:BYTE_0 src1_sel:DWORD
	v_or_b32_sdwa v45, v49, v45 dst_sel:DWORD dst_unused:UNUSED_PAD src0_sel:WORD_0 src1_sel:DWORD
	v_xor_b32_e32 v45, v48, v45
	v_and_b32_e32 v48, 0xffffff00, v45
	v_sub_i16 v43, v48, v43 clamp
	v_lshlrev_b16_e32 v48, 8, v45
	v_lshlrev_b16_e32 v47, 8, v47
	v_and_b32_e32 v43, 0xffffff00, v43
	v_sub_i16 v47, v48, v47 clamp
	v_or_b32_sdwa v43, v47, v43 dst_sel:DWORD dst_unused:UNUSED_PAD src0_sel:BYTE_1 src1_sel:DWORD
	v_and_b32_sdwa v47, v45, s30 dst_sel:DWORD dst_unused:UNUSED_PAD src0_sel:WORD_1 src1_sel:DWORD
	v_sub_i16 v21, v47, v21 clamp
	v_lshlrev_b16_sdwa v45, v41, v45 dst_sel:DWORD dst_unused:UNUSED_PAD src0_sel:DWORD src1_sel:WORD_1
	v_lshlrev_b16_e32 v44, 8, v44
	v_and_b32_e32 v21, 0xffffff00, v21
	v_sub_i16 v44, v45, v44 clamp
	v_or_b32_sdwa v21, v44, v21 dst_sel:WORD_1 dst_unused:UNUSED_PAD src0_sel:BYTE_1 src1_sel:DWORD
	v_lshrrev_b16_e32 v30, 5, v30
	v_or_b32_sdwa v21, v43, v21 dst_sel:DWORD dst_unused:UNUSED_PAD src0_sel:WORD_0 src1_sel:DWORD
	v_and_b32_e32 v43, 0x80000000, v20
	v_cmp_ne_u16_sdwa s[20:21], v43, v11 src0_sel:BYTE_3 src1_sel:DWORD
	v_bfe_i32 v30, v30, 0, 1
	v_lshrrev_b32_e32 v20, 22, v20
	v_cndmask_b32_e64 v43, 0, -1, s[20:21]
	v_bfe_i32 v44, v25, 2, 1
	v_bfe_i32 v20, v20, 0, 1
	v_lshlrev_b16_e32 v43, 8, v43
	v_lshlrev_b16_e32 v30, 8, v30
	v_or_b32_sdwa v45, v20, v43 dst_sel:WORD_1 dst_unused:UNUSED_PAD src0_sel:BYTE_0 src1_sel:DWORD
	v_or_b32_sdwa v47, v44, v30 dst_sel:DWORD dst_unused:UNUSED_PAD src0_sel:BYTE_0 src1_sel:DWORD
	v_or_b32_sdwa v45, v47, v45 dst_sel:DWORD dst_unused:UNUSED_PAD src0_sel:WORD_0 src1_sel:DWORD
	v_xor_b32_e32 v45, v46, v45
	v_and_b32_e32 v46, 0xffffff00, v45
	v_sub_i16 v30, v46, v30 clamp
	v_lshlrev_b16_e32 v46, 8, v45
	v_lshlrev_b16_e32 v44, 8, v44
	v_and_b32_e32 v30, 0xffffff00, v30
	v_sub_i16 v44, v46, v44 clamp
	v_or_b32_sdwa v30, v44, v30 dst_sel:DWORD dst_unused:UNUSED_PAD src0_sel:BYTE_1 src1_sel:DWORD
	v_and_b32_sdwa v44, v45, s30 dst_sel:DWORD dst_unused:UNUSED_PAD src0_sel:WORD_1 src1_sel:DWORD
	v_sub_i16 v43, v44, v43 clamp
	v_lshlrev_b16_sdwa v44, v41, v45 dst_sel:DWORD dst_unused:UNUSED_PAD src0_sel:DWORD src1_sel:WORD_1
	v_lshlrev_b16_e32 v20, 8, v20
	v_and_b32_e32 v43, 0xffffff00, v43
	v_sub_i16 v20, v44, v20 clamp
	v_or_b32_sdwa v20, v20, v43 dst_sel:WORD_1 dst_unused:UNUSED_PAD src0_sel:BYTE_1 src1_sel:DWORD
	v_dot4c_i32_i8_e32 v33, v21, v1
	v_or_b32_sdwa v20, v30, v20 dst_sel:DWORD dst_unused:UNUSED_PAD src0_sel:WORD_0 src1_sel:DWORD
	v_dot4c_i32_i8_e32 v33, v20, v2
	v_bfe_u32 v20, v25, 5, 8
	v_bcnt_u32_b32 v21, v20, 0
	v_and_b32_e32 v21, 1, v21
	v_lshlrev_b32_e32 v21, 7, v21
	v_xor_b32_e32 v20, v21, v20
	v_mul_lo_u32 v20, v20, s29
	v_and_b32_e32 v21, 0x8000000, v20
	v_lshrrev_b32_e32 v43, 8, v20
	v_lshrrev_b16_e32 v44, 1, v43
	v_cmp_ne_u16_sdwa s[20:21], v21, v11 src0_sel:BYTE_3 src1_sel:DWORD
	v_bfe_i32 v44, v44, 0, 1
	v_lshrrev_b32_e32 v45, 18, v20
	v_cndmask_b32_e64 v21, 0, -1, s[20:21]
	v_bfe_i32 v30, v25, 5, 1
	v_bfe_i32 v45, v45, 0, 1
	v_lshlrev_b16_e32 v21, 8, v21
	v_lshlrev_b16_e32 v44, 8, v44
	v_or_b32_sdwa v46, v45, v21 dst_sel:WORD_1 dst_unused:UNUSED_PAD src0_sel:BYTE_0 src1_sel:DWORD
	v_or_b32_sdwa v47, v30, v44 dst_sel:DWORD dst_unused:UNUSED_PAD src0_sel:BYTE_0 src1_sel:DWORD
	v_or_b32_sdwa v46, v47, v46 dst_sel:DWORD dst_unused:UNUSED_PAD src0_sel:WORD_0 src1_sel:DWORD
	v_xor_b32_e32 v34, v34, v46
	v_and_b32_e32 v46, 0xffffff00, v34
	v_sub_i16 v44, v46, v44 clamp
	v_lshlrev_b16_e32 v46, 8, v34
	v_lshlrev_b16_e32 v30, 8, v30
	v_and_b32_e32 v44, 0xffffff00, v44
	v_sub_i16 v30, v46, v30 clamp
	v_or_b32_sdwa v30, v30, v44 dst_sel:DWORD dst_unused:UNUSED_PAD src0_sel:BYTE_1 src1_sel:DWORD
	v_and_b32_sdwa v44, v34, s30 dst_sel:DWORD dst_unused:UNUSED_PAD src0_sel:WORD_1 src1_sel:DWORD
	v_sub_i16 v21, v44, v21 clamp
	v_lshlrev_b16_sdwa v34, v41, v34 dst_sel:DWORD dst_unused:UNUSED_PAD src0_sel:DWORD src1_sel:WORD_1
	v_lshlrev_b16_e32 v44, 8, v45
	v_and_b32_e32 v21, 0xffffff00, v21
	v_sub_i16 v34, v34, v44 clamp
	v_or_b32_sdwa v21, v34, v21 dst_sel:WORD_1 dst_unused:UNUSED_PAD src0_sel:BYTE_1 src1_sel:DWORD
	v_lshrrev_b16_e32 v43, 5, v43
	v_or_b32_sdwa v21, v30, v21 dst_sel:DWORD dst_unused:UNUSED_PAD src0_sel:WORD_0 src1_sel:DWORD
	v_and_b32_e32 v30, 0x80000000, v20
	v_cmp_ne_u16_sdwa s[20:21], v30, v11 src0_sel:BYTE_3 src1_sel:DWORD
	v_bfe_i32 v43, v43, 0, 1
	v_lshrrev_b32_e32 v20, 22, v20
	v_cndmask_b32_e64 v30, 0, -1, s[20:21]
	v_bfe_i32 v34, v25, 9, 1
	v_bfe_i32 v20, v20, 0, 1
	v_lshlrev_b16_e32 v30, 8, v30
	v_lshlrev_b16_e32 v43, 8, v43
	v_or_b32_sdwa v44, v20, v30 dst_sel:WORD_1 dst_unused:UNUSED_PAD src0_sel:BYTE_0 src1_sel:DWORD
	v_or_b32_sdwa v45, v34, v43 dst_sel:DWORD dst_unused:UNUSED_PAD src0_sel:BYTE_0 src1_sel:DWORD
	v_or_b32_sdwa v44, v45, v44 dst_sel:DWORD dst_unused:UNUSED_PAD src0_sel:WORD_0 src1_sel:DWORD
	v_xor_b32_e32 v31, v31, v44
	v_and_b32_e32 v44, 0xffffff00, v31
	v_sub_i16 v43, v44, v43 clamp
	v_lshlrev_b16_e32 v44, 8, v31
	v_lshlrev_b16_e32 v34, 8, v34
	v_and_b32_e32 v43, 0xffffff00, v43
	v_sub_i16 v34, v44, v34 clamp
	v_or_b32_sdwa v34, v34, v43 dst_sel:DWORD dst_unused:UNUSED_PAD src0_sel:BYTE_1 src1_sel:DWORD
	v_and_b32_sdwa v43, v31, s30 dst_sel:DWORD dst_unused:UNUSED_PAD src0_sel:WORD_1 src1_sel:DWORD
	v_sub_i16 v30, v43, v30 clamp
	v_lshlrev_b16_sdwa v31, v41, v31 dst_sel:DWORD dst_unused:UNUSED_PAD src0_sel:DWORD src1_sel:WORD_1
	v_lshlrev_b16_e32 v20, 8, v20
	v_and_b32_e32 v30, 0xffffff00, v30
	v_sub_i16 v20, v31, v20 clamp
	v_or_b32_sdwa v20, v20, v30 dst_sel:WORD_1 dst_unused:UNUSED_PAD src0_sel:BYTE_1 src1_sel:DWORD
	v_dot4c_i32_i8_e32 v33, v21, v3
	v_or_b32_sdwa v20, v34, v20 dst_sel:DWORD dst_unused:UNUSED_PAD src0_sel:WORD_0 src1_sel:DWORD
	v_bfe_u32 v21, v42, 7, 8
	v_dot4c_i32_i8_e32 v33, v20, v32
	v_lshl_or_b32 v20, v22, 16, v28
	v_bcnt_u32_b32 v28, v21, 0
	v_and_b32_e32 v28, 1, v28
	v_lshlrev_b32_e32 v28, 7, v28
	v_xor_b32_e32 v21, v28, v21
	v_mul_lo_u32 v21, v21, s29
	v_and_b32_e32 v28, 0x8000000, v21
	v_lshrrev_b32_e32 v30, 8, v21
	v_lshrrev_b16_e32 v31, 1, v30
	v_cmp_ne_u16_sdwa s[20:21], v28, v11 src0_sel:BYTE_3 src1_sel:DWORD
	v_bfe_i32 v31, v31, 0, 1
	v_lshrrev_b32_e32 v34, 18, v21
	v_cndmask_b32_e64 v28, 0, -1, s[20:21]
	v_bfe_i32 v34, v34, 0, 1
	v_lshlrev_b16_e32 v28, 8, v28
	v_lshlrev_b16_e32 v31, 8, v31
	v_or_b32_sdwa v43, v34, v28 dst_sel:WORD_1 dst_unused:UNUSED_PAD src0_sel:BYTE_0 src1_sel:DWORD
	v_or_b32_sdwa v44, v37, v31 dst_sel:DWORD dst_unused:UNUSED_PAD src0_sel:BYTE_0 src1_sel:DWORD
	v_or_b32_sdwa v43, v44, v43 dst_sel:DWORD dst_unused:UNUSED_PAD src0_sel:WORD_0 src1_sel:DWORD
	s_waitcnt vmcnt(6)
	v_xor_b32_e32 v38, v38, v43
	v_and_b32_e32 v43, 0xffffff00, v38
	v_sub_i16 v31, v43, v31 clamp
	v_lshlrev_b16_e32 v43, 8, v38
	v_lshlrev_b16_e32 v37, 8, v37
	v_and_b32_e32 v31, 0xffffff00, v31
	v_sub_i16 v37, v43, v37 clamp
	v_or_b32_sdwa v31, v37, v31 dst_sel:DWORD dst_unused:UNUSED_PAD src0_sel:BYTE_1 src1_sel:DWORD
	v_and_b32_sdwa v37, v38, s30 dst_sel:DWORD dst_unused:UNUSED_PAD src0_sel:WORD_1 src1_sel:DWORD
	v_sub_i16 v28, v37, v28 clamp
	v_lshlrev_b16_sdwa v37, v41, v38 dst_sel:DWORD dst_unused:UNUSED_PAD src0_sel:DWORD src1_sel:WORD_1
	v_lshlrev_b16_e32 v34, 8, v34
	v_and_b32_e32 v28, 0xffffff00, v28
	v_sub_i16 v34, v37, v34 clamp
	v_or_b32_sdwa v28, v34, v28 dst_sel:WORD_1 dst_unused:UNUSED_PAD src0_sel:BYTE_1 src1_sel:DWORD
	v_lshrrev_b16_e32 v30, 5, v30
	v_or_b32_sdwa v28, v31, v28 dst_sel:DWORD dst_unused:UNUSED_PAD src0_sel:WORD_0 src1_sel:DWORD
	v_and_b32_e32 v31, 0x80000000, v21
	v_cmp_ne_u16_sdwa s[20:21], v31, v11 src0_sel:BYTE_3 src1_sel:DWORD
	v_bfe_i32 v30, v30, 0, 1
	v_lshrrev_b32_e32 v21, 22, v21
	v_cndmask_b32_e64 v31, 0, -1, s[20:21]
	v_bfe_i32 v34, v42, 11, 1
	v_bfe_i32 v21, v21, 0, 1
	v_lshlrev_b16_e32 v31, 8, v31
	v_lshlrev_b16_e32 v30, 8, v30
	v_or_b32_sdwa v37, v21, v31 dst_sel:WORD_1 dst_unused:UNUSED_PAD src0_sel:BYTE_0 src1_sel:DWORD
	v_or_b32_sdwa v38, v34, v30 dst_sel:DWORD dst_unused:UNUSED_PAD src0_sel:BYTE_0 src1_sel:DWORD
	v_or_b32_sdwa v37, v38, v37 dst_sel:DWORD dst_unused:UNUSED_PAD src0_sel:WORD_0 src1_sel:DWORD
	s_waitcnt vmcnt(5)
	v_xor_b32_e32 v36, v36, v37
	v_and_b32_e32 v37, 0xffffff00, v36
	v_sub_i16 v30, v37, v30 clamp
	v_lshlrev_b16_e32 v37, 8, v36
	v_lshlrev_b16_e32 v34, 8, v34
	v_and_b32_e32 v30, 0xffffff00, v30
	v_sub_i16 v34, v37, v34 clamp
	v_or_b32_sdwa v30, v34, v30 dst_sel:DWORD dst_unused:UNUSED_PAD src0_sel:BYTE_1 src1_sel:DWORD
	v_and_b32_sdwa v34, v36, s30 dst_sel:DWORD dst_unused:UNUSED_PAD src0_sel:WORD_1 src1_sel:DWORD
	v_sub_i16 v31, v34, v31 clamp
	v_lshlrev_b16_sdwa v34, v41, v36 dst_sel:DWORD dst_unused:UNUSED_PAD src0_sel:DWORD src1_sel:WORD_1
	v_lshlrev_b16_e32 v21, 8, v21
	v_and_b32_e32 v31, 0xffffff00, v31
	v_sub_i16 v21, v34, v21 clamp
	v_or_b32_sdwa v21, v21, v31 dst_sel:WORD_1 dst_unused:UNUSED_PAD src0_sel:BYTE_1 src1_sel:DWORD
	v_dot4c_i32_i8_e32 v23, v28, v7
	v_or_b32_sdwa v21, v30, v21 dst_sel:DWORD dst_unused:UNUSED_PAD src0_sel:WORD_0 src1_sel:DWORD
	v_dot4c_i32_i8_e32 v23, v21, v0
	v_bfe_u32 v0, v20, 14, 8
	v_bcnt_u32_b32 v7, v0, 0
	v_and_b32_e32 v7, 1, v7
	v_lshlrev_b32_e32 v7, 7, v7
	v_xor_b32_e32 v0, v7, v0
	v_mul_lo_u32 v0, v0, s29
	v_and_b32_e32 v7, 0x8000000, v0
	v_lshrrev_b32_e32 v20, 8, v0
	v_lshrrev_b16_e32 v21, 1, v20
	v_cmp_ne_u16_sdwa s[20:21], v7, v11 src0_sel:BYTE_3 src1_sel:DWORD
	v_bfe_i32 v21, v21, 0, 1
	v_lshrrev_b32_e32 v28, 18, v0
	v_cndmask_b32_e64 v7, 0, -1, s[20:21]
	v_bfe_i32 v29, v42, 14, 1
	v_bfe_i32 v28, v28, 0, 1
	v_lshlrev_b16_e32 v7, 8, v7
	v_lshlrev_b16_e32 v21, 8, v21
	v_or_b32_sdwa v30, v28, v7 dst_sel:WORD_1 dst_unused:UNUSED_PAD src0_sel:BYTE_0 src1_sel:DWORD
	v_or_b32_sdwa v31, v29, v21 dst_sel:DWORD dst_unused:UNUSED_PAD src0_sel:BYTE_0 src1_sel:DWORD
	v_or_b32_sdwa v30, v31, v30 dst_sel:DWORD dst_unused:UNUSED_PAD src0_sel:WORD_0 src1_sel:DWORD
	s_waitcnt vmcnt(4)
	v_xor_b32_e32 v30, v35, v30
	v_and_b32_e32 v31, 0xffffff00, v30
	v_sub_i16 v21, v31, v21 clamp
	v_lshlrev_b16_e32 v31, 8, v30
	v_lshlrev_b16_e32 v29, 8, v29
	v_and_b32_e32 v21, 0xffffff00, v21
	v_sub_i16 v29, v31, v29 clamp
	v_or_b32_sdwa v21, v29, v21 dst_sel:DWORD dst_unused:UNUSED_PAD src0_sel:BYTE_1 src1_sel:DWORD
	v_and_b32_sdwa v29, v30, s30 dst_sel:DWORD dst_unused:UNUSED_PAD src0_sel:WORD_1 src1_sel:DWORD
	v_sub_i16 v7, v29, v7 clamp
	v_lshlrev_b16_sdwa v29, v41, v30 dst_sel:DWORD dst_unused:UNUSED_PAD src0_sel:DWORD src1_sel:WORD_1
	v_lshlrev_b16_e32 v28, 8, v28
	v_and_b32_e32 v7, 0xffffff00, v7
	v_sub_i16 v28, v29, v28 clamp
	v_or_b32_sdwa v7, v28, v7 dst_sel:WORD_1 dst_unused:UNUSED_PAD src0_sel:BYTE_1 src1_sel:DWORD
	v_lshrrev_b16_e32 v20, 5, v20
	v_or_b32_sdwa v7, v21, v7 dst_sel:DWORD dst_unused:UNUSED_PAD src0_sel:WORD_0 src1_sel:DWORD
	v_and_b32_e32 v21, 0x80000000, v0
	v_cmp_ne_u16_sdwa s[20:21], v21, v11 src0_sel:BYTE_3 src1_sel:DWORD
	v_bfe_i32 v20, v20, 0, 1
	v_lshrrev_b32_e32 v0, 22, v0
	v_cndmask_b32_e64 v21, 0, -1, s[20:21]
	v_bfe_i32 v28, v22, 2, 1
	v_bfe_i32 v0, v0, 0, 1
	v_lshlrev_b16_e32 v21, 8, v21
	v_lshlrev_b16_e32 v20, 8, v20
	v_or_b32_sdwa v29, v0, v21 dst_sel:WORD_1 dst_unused:UNUSED_PAD src0_sel:BYTE_0 src1_sel:DWORD
	v_or_b32_sdwa v30, v28, v20 dst_sel:DWORD dst_unused:UNUSED_PAD src0_sel:BYTE_0 src1_sel:DWORD
	v_or_b32_sdwa v29, v30, v29 dst_sel:DWORD dst_unused:UNUSED_PAD src0_sel:WORD_0 src1_sel:DWORD
	s_waitcnt vmcnt(3)
	v_xor_b32_e32 v27, v27, v29
	v_and_b32_e32 v29, 0xffffff00, v27
	v_sub_i16 v20, v29, v20 clamp
	v_lshlrev_b16_e32 v29, 8, v27
	v_lshlrev_b16_e32 v28, 8, v28
	v_and_b32_e32 v20, 0xffffff00, v20
	v_sub_i16 v28, v29, v28 clamp
	v_or_b32_sdwa v20, v28, v20 dst_sel:DWORD dst_unused:UNUSED_PAD src0_sel:BYTE_1 src1_sel:DWORD
	v_and_b32_sdwa v28, v27, s30 dst_sel:DWORD dst_unused:UNUSED_PAD src0_sel:WORD_1 src1_sel:DWORD
	v_sub_i16 v21, v28, v21 clamp
	v_lshlrev_b16_sdwa v27, v41, v27 dst_sel:DWORD dst_unused:UNUSED_PAD src0_sel:DWORD src1_sel:WORD_1
	v_lshlrev_b16_e32 v0, 8, v0
	v_and_b32_e32 v21, 0xffffff00, v21
	v_sub_i16 v0, v27, v0 clamp
	v_or_b32_sdwa v0, v0, v21 dst_sel:WORD_1 dst_unused:UNUSED_PAD src0_sel:BYTE_1 src1_sel:DWORD
	v_dot4c_i32_i8_e32 v23, v7, v1
	v_or_b32_sdwa v0, v20, v0 dst_sel:DWORD dst_unused:UNUSED_PAD src0_sel:WORD_0 src1_sel:DWORD
	v_dot4c_i32_i8_e32 v23, v0, v2
	v_bfe_u32 v0, v22, 5, 8
	v_bcnt_u32_b32 v1, v0, 0
	v_and_b32_e32 v1, 1, v1
	v_lshlrev_b32_e32 v1, 7, v1
	v_xor_b32_e32 v0, v1, v0
	v_mul_lo_u32 v0, v0, s29
	v_and_b32_e32 v20, 0x8000000, v0
	v_lshrrev_b32_e32 v1, 8, v0
	v_lshrrev_b16_e32 v2, 1, v1
	v_cmp_ne_u16_sdwa s[20:21], v20, v11 src0_sel:BYTE_3 src1_sel:DWORD
	v_bfe_i32 v21, v2, 0, 1
	v_lshrrev_b32_e32 v2, 18, v0
	v_cndmask_b32_e64 v20, 0, -1, s[20:21]
	v_bfe_i32 v7, v22, 5, 1
	v_bfe_i32 v2, v2, 0, 1
	v_lshlrev_b16_e32 v20, 8, v20
	v_lshlrev_b16_e32 v21, 8, v21
	v_or_b32_sdwa v27, v2, v20 dst_sel:WORD_1 dst_unused:UNUSED_PAD src0_sel:BYTE_0 src1_sel:DWORD
	v_or_b32_sdwa v28, v7, v21 dst_sel:DWORD dst_unused:UNUSED_PAD src0_sel:BYTE_0 src1_sel:DWORD
	v_or_b32_sdwa v27, v28, v27 dst_sel:DWORD dst_unused:UNUSED_PAD src0_sel:WORD_0 src1_sel:DWORD
	s_waitcnt vmcnt(2)
	v_xor_b32_e32 v26, v26, v27
	v_and_b32_e32 v27, 0xffffff00, v26
	v_sub_i16 v21, v27, v21 clamp
	v_lshlrev_b16_e32 v27, 8, v26
	v_lshlrev_b16_e32 v7, 8, v7
	v_and_b32_e32 v21, 0xffffff00, v21
	v_sub_i16 v7, v27, v7 clamp
	v_or_b32_sdwa v7, v7, v21 dst_sel:DWORD dst_unused:UNUSED_PAD src0_sel:BYTE_1 src1_sel:DWORD
	v_and_b32_sdwa v21, v26, s30 dst_sel:DWORD dst_unused:UNUSED_PAD src0_sel:WORD_1 src1_sel:DWORD
	v_sub_i16 v20, v21, v20 clamp
	v_lshlrev_b16_sdwa v21, v41, v26 dst_sel:DWORD dst_unused:UNUSED_PAD src0_sel:DWORD src1_sel:WORD_1
	v_lshlrev_b16_e32 v2, 8, v2
	v_and_b32_e32 v20, 0xffffff00, v20
	v_sub_i16 v2, v21, v2 clamp
	v_or_b32_sdwa v2, v2, v20 dst_sel:WORD_1 dst_unused:UNUSED_PAD src0_sel:BYTE_1 src1_sel:DWORD
	v_lshrrev_b16_e32 v1, 5, v1
	v_or_b32_sdwa v2, v7, v2 dst_sel:DWORD dst_unused:UNUSED_PAD src0_sel:WORD_0 src1_sel:DWORD
	v_and_b32_e32 v7, 0x80000000, v0
	v_cmp_ne_u16_sdwa s[20:21], v7, v11 src0_sel:BYTE_3 src1_sel:DWORD
	v_bfe_i32 v1, v1, 0, 1
	v_lshrrev_b32_e32 v0, 22, v0
	v_cndmask_b32_e64 v7, 0, -1, s[20:21]
	v_bfe_i32 v20, v22, 9, 1
	v_bfe_i32 v0, v0, 0, 1
	v_lshlrev_b16_e32 v7, 8, v7
	v_lshlrev_b16_e32 v1, 8, v1
	v_or_b32_sdwa v21, v0, v7 dst_sel:WORD_1 dst_unused:UNUSED_PAD src0_sel:BYTE_0 src1_sel:DWORD
	v_or_b32_sdwa v26, v20, v1 dst_sel:DWORD dst_unused:UNUSED_PAD src0_sel:BYTE_0 src1_sel:DWORD
	v_or_b32_sdwa v21, v26, v21 dst_sel:DWORD dst_unused:UNUSED_PAD src0_sel:WORD_0 src1_sel:DWORD
	s_waitcnt vmcnt(1)
	v_xor_b32_e32 v6, v6, v21
	v_and_b32_e32 v21, 0xffffff00, v6
	v_sub_i16 v1, v21, v1 clamp
	v_lshlrev_b16_e32 v21, 8, v6
	v_lshlrev_b16_e32 v20, 8, v20
	v_and_b32_e32 v1, 0xffffff00, v1
	v_sub_i16 v20, v21, v20 clamp
	v_or_b32_sdwa v1, v20, v1 dst_sel:DWORD dst_unused:UNUSED_PAD src0_sel:BYTE_1 src1_sel:DWORD
	v_and_b32_sdwa v20, v6, s30 dst_sel:DWORD dst_unused:UNUSED_PAD src0_sel:WORD_1 src1_sel:DWORD
	v_sub_i16 v7, v20, v7 clamp
	v_lshlrev_b16_sdwa v6, v41, v6 dst_sel:DWORD dst_unused:UNUSED_PAD src0_sel:DWORD src1_sel:WORD_1
	v_lshlrev_b16_e32 v0, 8, v0
	v_and_b32_e32 v7, 0xffffff00, v7
	v_sub_i16 v0, v6, v0 clamp
	v_or_b32_sdwa v0, v0, v7 dst_sel:WORD_1 dst_unused:UNUSED_PAD src0_sel:BYTE_1 src1_sel:DWORD
	v_dot4c_i32_i8_e32 v23, v2, v3
	v_or_b32_sdwa v0, v1, v0 dst_sel:DWORD dst_unused:UNUSED_PAD src0_sel:WORD_0 src1_sel:DWORD
	v_dot4c_i32_i8_e32 v23, v0, v32
	v_lshrrev_b32_e32 v0, 31, v33
	v_add_u32_e32 v0, v33, v0
	v_lshrrev_b32_e32 v1, 12, v25
	v_ashrrev_i32_e32 v0, 1, v0
	v_lshrrev_b32_e32 v2, 31, v23
	v_add_u32_e32 v2, v23, v2
	v_mad_u64_u32 v[0:1], s[20:21], v33, v1, v[0:1]
	v_lshrrev_b32_e32 v3, 12, v22
	v_ashrrev_i32_e32 v2, 1, v2
	v_lshrrev_b32_e32 v1, 31, v0
	v_mad_u64_u32 v[6:7], s[20:21], v23, v3, v[2:3]
	v_add_u32_e32 v0, v0, v1
	v_ashrrev_i32_e32 v2, 1, v0
	v_lshrrev_b32_e32 v0, 31, v6
	v_add_u32_e32 v0, v6, v0
	v_ashrrev_i32_e32 v3, 1, v0
	s_waitcnt vmcnt(0)
	v_cvt_f32_f16_e32 v1, v5
	v_cvt_f32_f16_e32 v0, v24
	v_cvt_f32_i32_e32 v3, v3
	v_cvt_f32_i32_e32 v2, v2
	v_pk_mul_f32 v[0:1], v[4:5], v[0:1] op_sel_hi:[0,1]
	scratch_load_dwordx2 v[4:5], off, off offset:48
	s_waitcnt vmcnt(0)
	v_pk_fma_f32 v[0:1], v[0:1], v[2:3], v[4:5]
	scratch_store_dwordx2 off, v[0:1], off offset:48
	s_andn2_b64 exec, exec, s[12:13]
	s_cbranch_execnz .LBB202_2
.LBB202_3:
	s_or_b64 exec, exec, s[6:7]
	s_mov_b32 s5, 0
	v_cmp_eq_u32_e32 vcc, 0, v9
	s_waitcnt lgkmcnt(0)
	; wave barrier
	s_and_saveexec_b64 s[6:7], vcc
	s_cbranch_execz .LBB202_18
; %bb.4:
	scratch_load_dwordx2 v[2:3], off, off
	v_mbcnt_lo_u32_b32 v0, -1, 0
	v_mbcnt_hi_u32_b32 v9, -1, v0
	s_load_dwordx2 s[6:7], s[0:1], 0x38
	s_mul_i32 s0, s3, s14
	v_or_b32_e32 v1, s2, v8
	v_and_b32_e32 v0, 64, v9
	s_mul_i32 s4, s4, s18
	s_add_i32 s2, s0, s2
	v_cmp_gt_u32_e64 s[0:1], s10, v1
	v_xor_b32_e32 v1, 32, v9
	v_add_u32_e32 v14, 64, v0
	s_add_i32 s4, s2, s4
	v_cmp_lt_i32_e64 s[2:3], v1, v14
	v_cmp_gt_u32_e32 vcc, 2, v8
	s_nop 0
	v_cndmask_b32_e64 v0, v9, v1, s[2:3]
	v_lshlrev_b32_e32 v0, 2, v0
	v_xor_b32_e32 v1, 16, v9
	v_cmp_lt_i32_e64 s[2:3], v1, v14
	s_waitcnt vmcnt(0)
	ds_bpermute_b32 v4, v0, v2
	ds_bpermute_b32 v5, v0, v3
	v_cndmask_b32_e64 v1, v9, v1, s[2:3]
	v_lshlrev_b32_e32 v1, 2, v1
	s_waitcnt lgkmcnt(0)
	v_pk_add_f32 v[4:5], v[2:3], v[4:5]
	ds_bpermute_b32 v6, v1, v4
	ds_bpermute_b32 v7, v1, v5
	v_xor_b32_e32 v2, 8, v9
	v_cmp_lt_i32_e64 s[2:3], v2, v14
	v_xor_b32_e32 v3, 4, v9
	s_waitcnt lgkmcnt(0)
	v_pk_add_f32 v[4:5], v[4:5], v[6:7]
	v_cndmask_b32_e64 v2, v9, v2, s[2:3]
	v_lshlrev_b32_e32 v2, 2, v2
	ds_bpermute_b32 v6, v2, v4
	ds_bpermute_b32 v7, v2, v5
	v_cmp_lt_i32_e64 s[2:3], v3, v14
	s_waitcnt lgkmcnt(0)
	v_pk_add_f32 v[6:7], v[4:5], v[6:7]
	v_cndmask_b32_e64 v3, v9, v3, s[2:3]
	v_lshlrev_b32_e32 v3, 2, v3
	ds_bpermute_b32 v10, v3, v6
	ds_bpermute_b32 v11, v3, v7
	v_xor_b32_e32 v4, 2, v9
	v_cmp_lt_i32_e64 s[2:3], v4, v14
	v_xor_b32_e32 v5, 1, v9
	s_waitcnt lgkmcnt(0)
	v_pk_add_f32 v[10:11], v[6:7], v[10:11]
	v_cndmask_b32_e64 v4, v9, v4, s[2:3]
	v_lshlrev_b32_e32 v4, 2, v4
	ds_bpermute_b32 v12, v4, v10
	ds_bpermute_b32 v13, v4, v11
	v_cmp_lt_i32_e64 s[2:3], v5, v14
	s_waitcnt lgkmcnt(0)
	v_pk_add_f32 v[10:11], v[10:11], v[12:13]
	v_cndmask_b32_e64 v5, v9, v5, s[2:3]
	v_lshlrev_b32_e32 v6, 2, v5
	ds_bpermute_b32 v12, v6, v10
	ds_bpermute_b32 v13, v6, v11
	s_lshl_b64 s[2:3], s[4:5], 2
	s_add_u32 s2, s6, s2
	s_addc_u32 s3, s7, s3
	s_and_b64 s[0:1], vcc, s[0:1]
	s_waitcnt lgkmcnt(0)
	v_pk_add_f32 v[10:11], v[10:11], v[12:13]
	v_lshlrev_b32_e32 v5, 2, v8
	scratch_store_dwordx2 off, v[10:11], off
	s_and_saveexec_b64 s[4:5], s[0:1]
	s_cbranch_execz .LBB202_6
; %bb.5:
	scratch_load_dword v7, v5, off
	s_waitcnt vmcnt(0)
	global_store_dword v5, v7, s[2:3]
.LBB202_6:
	s_or_b64 exec, exec, s[4:5]
	scratch_load_dwordx2 v[10:11], off, off offset:8
	s_waitcnt vmcnt(0)
	ds_bpermute_b32 v12, v0, v10
	ds_bpermute_b32 v13, v0, v11
	s_waitcnt lgkmcnt(0)
	v_pk_add_f32 v[10:11], v[10:11], v[12:13]
	ds_bpermute_b32 v12, v1, v10
	ds_bpermute_b32 v13, v1, v11
	s_waitcnt lgkmcnt(0)
	v_pk_add_f32 v[10:11], v[10:11], v[12:13]
	;; [unrolled: 4-line block ×6, first 2 shown]
	scratch_store_dwordx2 off, v[10:11], off offset:8
	s_and_saveexec_b64 s[4:5], s[0:1]
	s_cbranch_execz .LBB202_8
; %bb.7:
	scratch_load_dword v7, v5, off offset:8
	v_add_u32_e32 v10, s10, v8
	v_mov_b32_e32 v11, 0
	v_lshl_add_u64 v[10:11], v[10:11], 2, s[2:3]
	s_waitcnt vmcnt(0)
	global_store_dword v[10:11], v7, off
.LBB202_8:
	s_or_b64 exec, exec, s[4:5]
	scratch_load_dwordx2 v[10:11], off, off offset:16
	s_waitcnt vmcnt(0)
	ds_bpermute_b32 v12, v0, v10
	ds_bpermute_b32 v13, v0, v11
	s_waitcnt lgkmcnt(0)
	v_pk_add_f32 v[10:11], v[10:11], v[12:13]
	ds_bpermute_b32 v12, v1, v10
	ds_bpermute_b32 v13, v1, v11
	s_waitcnt lgkmcnt(0)
	v_pk_add_f32 v[10:11], v[10:11], v[12:13]
	ds_bpermute_b32 v12, v2, v10
	ds_bpermute_b32 v13, v2, v11
	s_waitcnt lgkmcnt(0)
	v_pk_add_f32 v[10:11], v[10:11], v[12:13]
	ds_bpermute_b32 v12, v3, v10
	ds_bpermute_b32 v13, v3, v11
	s_waitcnt lgkmcnt(0)
	v_pk_add_f32 v[10:11], v[10:11], v[12:13]
	ds_bpermute_b32 v12, v4, v10
	ds_bpermute_b32 v13, v4, v11
	s_waitcnt lgkmcnt(0)
	v_pk_add_f32 v[10:11], v[10:11], v[12:13]
	ds_bpermute_b32 v12, v6, v10
	ds_bpermute_b32 v13, v6, v11
	s_waitcnt lgkmcnt(0)
	v_pk_add_f32 v[10:11], v[10:11], v[12:13]
	scratch_store_dwordx2 off, v[10:11], off offset:16
	s_and_saveexec_b64 s[4:5], s[0:1]
	s_cbranch_execz .LBB202_10
; %bb.9:
	scratch_load_dword v7, v5, off offset:16
	v_lshl_or_b32 v10, s10, 1, v8
	v_mov_b32_e32 v11, 0
	v_lshl_add_u64 v[10:11], v[10:11], 2, s[2:3]
	s_waitcnt vmcnt(0)
	global_store_dword v[10:11], v7, off
.LBB202_10:
	s_or_b64 exec, exec, s[4:5]
	scratch_load_dwordx2 v[10:11], off, off offset:24
	s_waitcnt vmcnt(0)
	ds_bpermute_b32 v12, v0, v10
	ds_bpermute_b32 v13, v0, v11
	s_waitcnt lgkmcnt(0)
	v_pk_add_f32 v[10:11], v[10:11], v[12:13]
	ds_bpermute_b32 v12, v1, v10
	ds_bpermute_b32 v13, v1, v11
	s_waitcnt lgkmcnt(0)
	v_pk_add_f32 v[10:11], v[10:11], v[12:13]
	;; [unrolled: 4-line block ×6, first 2 shown]
	scratch_store_dwordx2 off, v[10:11], off offset:24
	s_and_saveexec_b64 s[4:5], s[0:1]
	s_cbranch_execz .LBB202_12
; %bb.11:
	scratch_load_dword v7, v5, off offset:24
	v_mad_u64_u32 v[10:11], s[6:7], s10, 3, v[8:9]
	v_mov_b32_e32 v11, 0
	v_lshl_add_u64 v[10:11], v[10:11], 2, s[2:3]
	s_waitcnt vmcnt(0)
	global_store_dword v[10:11], v7, off
.LBB202_12:
	s_or_b64 exec, exec, s[4:5]
	scratch_load_dwordx2 v[10:11], off, off offset:32
	s_waitcnt vmcnt(0)
	ds_bpermute_b32 v12, v0, v10
	ds_bpermute_b32 v13, v0, v11
	s_waitcnt lgkmcnt(0)
	v_pk_add_f32 v[10:11], v[10:11], v[12:13]
	ds_bpermute_b32 v12, v1, v10
	ds_bpermute_b32 v13, v1, v11
	s_waitcnt lgkmcnt(0)
	v_pk_add_f32 v[10:11], v[10:11], v[12:13]
	;; [unrolled: 4-line block ×6, first 2 shown]
	scratch_store_dwordx2 off, v[10:11], off offset:32
	s_and_saveexec_b64 s[4:5], s[0:1]
	s_cbranch_execz .LBB202_14
; %bb.13:
	scratch_load_dword v7, v5, off offset:32
	v_lshl_or_b32 v10, s10, 2, v8
	v_mov_b32_e32 v11, 0
	v_lshl_add_u64 v[10:11], v[10:11], 2, s[2:3]
	s_waitcnt vmcnt(0)
	global_store_dword v[10:11], v7, off
.LBB202_14:
	s_or_b64 exec, exec, s[4:5]
	scratch_load_dwordx2 v[10:11], off, off offset:40
	s_waitcnt vmcnt(0)
	ds_bpermute_b32 v12, v0, v10
	ds_bpermute_b32 v13, v0, v11
	s_waitcnt lgkmcnt(0)
	v_pk_add_f32 v[10:11], v[10:11], v[12:13]
	ds_bpermute_b32 v12, v1, v10
	ds_bpermute_b32 v13, v1, v11
	s_waitcnt lgkmcnt(0)
	v_pk_add_f32 v[10:11], v[10:11], v[12:13]
	;; [unrolled: 4-line block ×6, first 2 shown]
	scratch_store_dwordx2 off, v[10:11], off offset:40
	s_and_saveexec_b64 s[4:5], s[0:1]
	s_cbranch_execz .LBB202_16
; %bb.15:
	scratch_load_dword v7, v5, off offset:40
	v_mad_u64_u32 v[10:11], s[6:7], s10, 5, v[8:9]
	v_mov_b32_e32 v11, 0
	v_lshl_add_u64 v[10:11], v[10:11], 2, s[2:3]
	s_waitcnt vmcnt(0)
	global_store_dword v[10:11], v7, off
.LBB202_16:
	s_or_b64 exec, exec, s[4:5]
	scratch_load_dwordx2 v[10:11], off, off offset:48
	s_waitcnt vmcnt(0)
	ds_bpermute_b32 v12, v0, v10
	ds_bpermute_b32 v13, v0, v11
	s_waitcnt lgkmcnt(0)
	v_pk_add_f32 v[10:11], v[10:11], v[12:13]
	ds_bpermute_b32 v0, v1, v10
	ds_bpermute_b32 v1, v1, v11
	s_waitcnt lgkmcnt(0)
	v_pk_add_f32 v[0:1], v[10:11], v[0:1]
	;; [unrolled: 4-line block ×6, first 2 shown]
	scratch_store_dwordx2 off, v[0:1], off offset:48
	s_and_b64 exec, exec, s[0:1]
	s_cbranch_execz .LBB202_18
; %bb.17:
	scratch_load_dword v2, v5, off offset:48
	s_mul_i32 s0, s10, 6
	v_or_b32_e32 v0, s0, v8
	v_mov_b32_e32 v1, 0
	v_lshl_add_u64 v[0:1], v[0:1], 2, s[2:3]
	s_waitcnt vmcnt(0)
	global_store_dword v[0:1], v2, off
.LBB202_18:
	s_endpgm
	.section	.rodata,"a",@progbits
	.p2align	6, 0x0
	.amdhsa_kernel _ZL13mul_mat_vec_qIL9ggml_type18ELi7ELb0ELb0EEvPKvS2_PKi31ggml_cuda_mm_fusion_args_devicePfj15HIP_vector_typeIjLj3EEjjjS8_jjjS8_jjjj
		.amdhsa_group_segment_fixed_size 0
		.amdhsa_private_segment_fixed_size 64
		.amdhsa_kernarg_size 144
		.amdhsa_user_sgpr_count 2
		.amdhsa_user_sgpr_dispatch_ptr 0
		.amdhsa_user_sgpr_queue_ptr 0
		.amdhsa_user_sgpr_kernarg_segment_ptr 1
		.amdhsa_user_sgpr_dispatch_id 0
		.amdhsa_user_sgpr_kernarg_preload_length 0
		.amdhsa_user_sgpr_kernarg_preload_offset 0
		.amdhsa_user_sgpr_private_segment_size 0
		.amdhsa_uses_dynamic_stack 0
		.amdhsa_enable_private_segment 1
		.amdhsa_system_sgpr_workgroup_id_x 1
		.amdhsa_system_sgpr_workgroup_id_y 1
		.amdhsa_system_sgpr_workgroup_id_z 1
		.amdhsa_system_sgpr_workgroup_info 0
		.amdhsa_system_vgpr_workitem_id 1
		.amdhsa_next_free_vgpr 95
		.amdhsa_next_free_sgpr 36
		.amdhsa_accum_offset 96
		.amdhsa_reserve_vcc 1
		.amdhsa_float_round_mode_32 0
		.amdhsa_float_round_mode_16_64 0
		.amdhsa_float_denorm_mode_32 3
		.amdhsa_float_denorm_mode_16_64 3
		.amdhsa_dx10_clamp 1
		.amdhsa_ieee_mode 1
		.amdhsa_fp16_overflow 0
		.amdhsa_tg_split 0
		.amdhsa_exception_fp_ieee_invalid_op 0
		.amdhsa_exception_fp_denorm_src 0
		.amdhsa_exception_fp_ieee_div_zero 0
		.amdhsa_exception_fp_ieee_overflow 0
		.amdhsa_exception_fp_ieee_underflow 0
		.amdhsa_exception_fp_ieee_inexact 0
		.amdhsa_exception_int_div_zero 0
	.end_amdhsa_kernel
	.section	.text._ZL13mul_mat_vec_qIL9ggml_type18ELi7ELb0ELb0EEvPKvS2_PKi31ggml_cuda_mm_fusion_args_devicePfj15HIP_vector_typeIjLj3EEjjjS8_jjjS8_jjjj,"axG",@progbits,_ZL13mul_mat_vec_qIL9ggml_type18ELi7ELb0ELb0EEvPKvS2_PKi31ggml_cuda_mm_fusion_args_devicePfj15HIP_vector_typeIjLj3EEjjjS8_jjjS8_jjjj,comdat
.Lfunc_end202:
	.size	_ZL13mul_mat_vec_qIL9ggml_type18ELi7ELb0ELb0EEvPKvS2_PKi31ggml_cuda_mm_fusion_args_devicePfj15HIP_vector_typeIjLj3EEjjjS8_jjjS8_jjjj, .Lfunc_end202-_ZL13mul_mat_vec_qIL9ggml_type18ELi7ELb0ELb0EEvPKvS2_PKi31ggml_cuda_mm_fusion_args_devicePfj15HIP_vector_typeIjLj3EEjjjS8_jjjS8_jjjj
                                        ; -- End function
	.section	.AMDGPU.csdata,"",@progbits
; Kernel info:
; codeLenInByte = 22588
; NumSgprs: 42
; NumVgprs: 95
; NumAgprs: 0
; TotalNumVgprs: 95
; ScratchSize: 64
; MemoryBound: 0
; FloatMode: 240
; IeeeMode: 1
; LDSByteSize: 0 bytes/workgroup (compile time only)
; SGPRBlocks: 5
; VGPRBlocks: 11
; NumSGPRsForWavesPerEU: 42
; NumVGPRsForWavesPerEU: 95
; AccumOffset: 96
; Occupancy: 5
; WaveLimiterHint : 0
; COMPUTE_PGM_RSRC2:SCRATCH_EN: 1
; COMPUTE_PGM_RSRC2:USER_SGPR: 2
; COMPUTE_PGM_RSRC2:TRAP_HANDLER: 0
; COMPUTE_PGM_RSRC2:TGID_X_EN: 1
; COMPUTE_PGM_RSRC2:TGID_Y_EN: 1
; COMPUTE_PGM_RSRC2:TGID_Z_EN: 1
; COMPUTE_PGM_RSRC2:TIDIG_COMP_CNT: 1
; COMPUTE_PGM_RSRC3_GFX90A:ACCUM_OFFSET: 23
; COMPUTE_PGM_RSRC3_GFX90A:TG_SPLIT: 0
	.section	.text._ZL13mul_mat_vec_qIL9ggml_type18ELi8ELb0ELb0EEvPKvS2_PKi31ggml_cuda_mm_fusion_args_devicePfj15HIP_vector_typeIjLj3EEjjjS8_jjjS8_jjjj,"axG",@progbits,_ZL13mul_mat_vec_qIL9ggml_type18ELi8ELb0ELb0EEvPKvS2_PKi31ggml_cuda_mm_fusion_args_devicePfj15HIP_vector_typeIjLj3EEjjjS8_jjjS8_jjjj,comdat
	.globl	_ZL13mul_mat_vec_qIL9ggml_type18ELi8ELb0ELb0EEvPKvS2_PKi31ggml_cuda_mm_fusion_args_devicePfj15HIP_vector_typeIjLj3EEjjjS8_jjjS8_jjjj ; -- Begin function _ZL13mul_mat_vec_qIL9ggml_type18ELi8ELb0ELb0EEvPKvS2_PKi31ggml_cuda_mm_fusion_args_devicePfj15HIP_vector_typeIjLj3EEjjjS8_jjjS8_jjjj
	.p2align	8
	.type	_ZL13mul_mat_vec_qIL9ggml_type18ELi8ELb0ELb0EEvPKvS2_PKi31ggml_cuda_mm_fusion_args_devicePfj15HIP_vector_typeIjLj3EEjjjS8_jjjS8_jjjj,@function
_ZL13mul_mat_vec_qIL9ggml_type18ELi8ELb0ELb0EEvPKvS2_PKi31ggml_cuda_mm_fusion_args_devicePfj15HIP_vector_typeIjLj3EEjjjS8_jjjS8_jjjj: ; @_ZL13mul_mat_vec_qIL9ggml_type18ELi8ELb0ELb0EEvPKvS2_PKi31ggml_cuda_mm_fusion_args_devicePfj15HIP_vector_typeIjLj3EEjjjS8_jjjS8_jjjj
; %bb.0:
	v_bfe_u32 v13, v0, 10, 10
	v_and_b32_e32 v12, 0x3ff, v0
	s_mov_b32 s20, 0
	s_load_dword s5, s[0:1], 0x40
	s_load_dwordx4 s[8:11], s[0:1], 0x50
	s_load_dword s27, s[0:1], 0x60
	s_load_dwordx4 s[12:15], s[0:1], 0x68
	;; [unrolled: 2-line block ×3, first 2 shown]
	v_lshl_or_b32 v4, v13, 6, v12
	s_mov_b32 s21, s20
	s_waitcnt lgkmcnt(0)
	s_lshr_b32 s5, s5, 8
	s_mov_b32 s22, s20
	s_mov_b32 s23, s20
	v_mov_b64_e32 v[0:1], s[20:21]
	v_lshrrev_b32_e32 v17, 3, v4
	s_lshl_b32 s2, s2, 1
	v_mov_b64_e32 v[2:3], s[22:23]
	v_cmp_gt_u32_e32 vcc, s5, v17
	scratch_store_dwordx4 off, v[0:3], off offset:48
	scratch_store_dwordx4 off, v[0:3], off offset:32
	;; [unrolled: 1-line block ×3, first 2 shown]
	scratch_store_dwordx4 off, v[0:3], off
	s_and_saveexec_b64 s[6:7], vcc
	s_cbranch_execz .LBB203_3
; %bb.1:
	s_load_dwordx4 s[20:23], s[0:1], 0x0
	s_mul_i32 s17, s4, s17
	s_mul_i32 s24, s17, 36
	;; [unrolled: 1-line block ×3, first 2 shown]
	s_mul_hi_u32 s19, s17, 36
	s_waitcnt lgkmcnt(0)
	s_add_u32 s24, s22, s24
	s_addc_u32 s19, s23, s19
	s_mul_i32 s30, s13, 36
	s_mul_hi_u32 s31, s13, 36
	s_add_u32 s24, s24, s30
	s_mul_hi_u32 s11, s11, s3
	s_addc_u32 s25, s19, s31
	s_add_i32 s11, s3, s11
	s_lshr_b32 s11, s11, s27
	s_mul_i32 s12, s11, s12
	s_mul_hi_u32 s11, s15, s4
	s_add_i32 s11, s4, s11
	s_lshr_b32 s11, s11, s26
	s_mul_i32 s13, s11, s16
	s_add_i32 s12, s13, s12
	s_add_i32 s13, s2, 1
	s_mul_i32 s16, s2, s8
	s_mul_i32 s8, s8, s13
	v_lshl_add_u32 v1, v13, 6, v12
	s_add_i32 s29, s12, s16
	s_add_i32 s8, s12, s8
	v_lshrrev_b32_e32 v1, 3, v1
	s_movk_i32 s12, 0x120
	v_mov_b64_e32 v[4:5], s[30:31]
	v_mad_u64_u32 v[4:5], s[12:13], v1, s12, v[4:5]
	v_lshlrev_b32_e32 v0, 1, v12
	v_and_b32_e32 v16, 7, v12
	v_mad_u64_u32 v[4:5], s[12:13], s17, 36, v[4:5]
	v_and_b32_e32 v0, 14, v0
	v_mad_u64_u32 v[4:5], s[12:13], v16, 36, v[4:5]
	v_lshlrev_b32_e32 v2, 1, v0
	v_mov_b32_e32 v15, 0
	v_lshl_add_u64 v[4:5], v[4:5], 0, s[22:23]
	s_lshl_b32 s11, s9, 1
	s_mul_i32 s15, s9, 3
	s_lshl_b32 s19, s9, 2
	s_mul_i32 s26, s9, 5
	s_mul_i32 s27, s9, 6
	;; [unrolled: 1-line block ×3, first 2 shown]
	v_lshlrev_b32_e32 v39, 3, v17
	v_lshl_add_u64 v[18:19], v[4:5], 0, 16
	s_mov_b64 s[12:13], 0
	s_movk_i32 s22, 0x62
	v_mov_b64_e32 v[20:21], s[20:21]
	v_lshlrev_b32_e32 v14, 1, v2
	v_lshlrev_b32_e32 v22, 1, v0
	s_mov_b32 s23, 0xffff
	s_mov_b32 s30, 0x1010101
	s_movk_i32 s31, 0xff00
	s_mov_b64 s[16:17], 0x900
	v_mov_b32_e32 v23, v15
	v_mov_b32_e32 v40, 2
	;; [unrolled: 1-line block ×3, first 2 shown]
.LBB203_2:                              ; =>This Inner Loop Header: Depth=1
	v_add_u32_e32 v8, s29, v17
	v_mad_i64_i32 v[10:11], s[20:21], v8, s22, v[20:21]
	v_lshl_add_u64 v[32:33], v[10:11], 0, v[14:15]
	global_load_dword v36, v[18:19], off offset:16
	global_load_dwordx4 v[0:3], v[18:19], off
	global_load_dwordx4 v[4:7], v[18:19], off offset:-16
	global_load_ushort v26, v[32:33], off offset:2
	v_lshl_add_u64 v[8:9], v[10:11], 0, 2
	v_lshl_add_u64 v[24:25], v[8:9], 0, v[22:23]
	;; [unrolled: 1-line block ×3, first 2 shown]
	global_load_dword v49, v[32:33], off offset:2
	global_load_dword v45, v[34:35], off offset:2
	global_load_dword v44, v[34:35], off offset:4
	global_load_ushort v8, v[24:25], off offset:64
	global_load_dword v43, v[24:25], off offset:64
	s_getpc_b64 s[20:21]
	s_add_u32 s20, s20, _ZL11iq3xxs_grid@rel32@lo+4
	s_addc_u32 s21, s21, _ZL11iq3xxs_grid@rel32@hi+12
	v_lshl_add_u64 v[18:19], v[18:19], 0, s[16:17]
	s_waitcnt vmcnt(6)
	v_cvt_f32_f16_e32 v4, v4
	s_waitcnt vmcnt(5)
	v_and_b32_sdwa v9, s23, v26 dst_sel:DWORD dst_unused:UNUSED_PAD src0_sel:DWORD src1_sel:BYTE_0
	v_lshlrev_b32_e32 v9, 2, v9
	global_load_dword v9, v9, s[20:21]
	v_lshlrev_b32_sdwa v26, v40, v26 dst_sel:DWORD dst_unused:UNUSED_PAD src0_sel:DWORD src1_sel:BYTE_1
	global_load_dword v26, v26, s[20:21]
	s_waitcnt vmcnt(3)
	v_and_b32_e32 v50, 0xffff, v8
	v_and_b32_e32 v27, 0xff, v50
	v_bcnt_u32_b32 v28, v27, 0
	v_and_b32_e32 v28, 1, v28
	v_lshlrev_b32_e32 v28, 7, v28
	v_xor_b32_e32 v27, v28, v27
	v_mul_lo_u32 v27, v27, s30
	v_and_b32_e32 v28, 0x8000000, v27
	v_lshrrev_b32_e32 v29, 8, v27
	v_lshrrev_b16_e32 v30, 1, v29
	v_cmp_ne_u16_sdwa s[34:35], v28, v15 src0_sel:BYTE_3 src1_sel:DWORD
	v_and_b32_e32 v8, 1, v8
	v_bfe_i32 v30, v30, 0, 1
	v_lshrrev_b32_e32 v31, 18, v27
	v_cndmask_b32_e64 v28, 0, -1, s[34:35]
	v_sub_u16_e32 v8, 0, v8
	v_bfe_i32 v31, v31, 0, 1
	v_lshlrev_b16_e32 v28, 8, v28
	v_lshlrev_b16_e32 v30, 8, v30
	v_or_b32_sdwa v37, v31, v28 dst_sel:WORD_1 dst_unused:UNUSED_PAD src0_sel:BYTE_0 src1_sel:DWORD
	v_or_b32_sdwa v38, v8, v30 dst_sel:DWORD dst_unused:UNUSED_PAD src0_sel:BYTE_0 src1_sel:DWORD
	v_or_b32_sdwa v37, v38, v37 dst_sel:DWORD dst_unused:UNUSED_PAD src0_sel:WORD_0 src1_sel:DWORD
	v_lshlrev_b16_e32 v8, 8, v8
	v_bfe_u32 v75, v50, 7, 8
	v_bcnt_u32_b32 v76, v75, 0
	v_and_b32_e32 v76, 1, v76
	v_lshlrev_b32_e32 v76, 7, v76
	v_xor_b32_e32 v75, v76, v75
	v_mul_lo_u32 v75, v75, s30
	v_and_b32_e32 v76, 0x8000000, v75
	v_lshrrev_b32_e32 v77, 8, v75
	v_lshrrev_b16_e32 v78, 1, v77
	v_bfe_i32 v78, v78, 0, 1
	v_lshrrev_b32_e32 v80, 18, v75
	v_bfe_i32 v62, v50, 7, 1
	v_lshlrev_b16_e32 v78, 8, v78
	v_bfe_i32 v80, v80, 0, 1
	v_or_b32_sdwa v79, v62, v78 dst_sel:DWORD dst_unused:UNUSED_PAD src0_sel:BYTE_0 src1_sel:DWORD
	v_lshlrev_b16_e32 v62, 8, v62
	v_lshrrev_b16_e32 v77, 5, v77
	v_bfe_i32 v77, v77, 0, 1
	v_lshlrev_b16_e32 v77, 8, v77
	s_waitcnt vmcnt(2)
	v_and_b32_e32 v74, 0xffff0000, v43
	v_or_b32_e32 v74, v74, v50
	v_bfe_i32 v51, v50, 14, 1
	v_lshrrev_b32_e32 v73, 16, v43
	s_waitcnt vmcnt(1)
	v_xor_b32_e32 v9, v9, v37
	v_and_b32_e32 v37, 0xffffff00, v9
	v_sub_i16 v30, v37, v30 clamp
	v_lshlrev_b16_e32 v37, 8, v9
	v_and_b32_e32 v30, 0xffffff00, v30
	v_sub_i16 v8, v37, v8 clamp
	v_or_b32_sdwa v8, v8, v30 dst_sel:DWORD dst_unused:UNUSED_PAD src0_sel:BYTE_1 src1_sel:DWORD
	v_and_b32_sdwa v30, v9, s31 dst_sel:DWORD dst_unused:UNUSED_PAD src0_sel:WORD_1 src1_sel:DWORD
	v_sub_i16 v28, v30, v28 clamp
	v_lshlrev_b16_sdwa v9, v41, v9 dst_sel:DWORD dst_unused:UNUSED_PAD src0_sel:DWORD src1_sel:WORD_1
	v_lshlrev_b16_e32 v30, 8, v31
	v_and_b32_e32 v28, 0xffffff00, v28
	v_sub_i16 v9, v9, v30 clamp
	v_or_b32_sdwa v9, v9, v28 dst_sel:WORD_1 dst_unused:UNUSED_PAD src0_sel:BYTE_1 src1_sel:DWORD
	v_lshrrev_b16_e32 v28, 5, v29
	v_or_b32_sdwa v52, v8, v9 dst_sel:DWORD dst_unused:UNUSED_PAD src0_sel:WORD_0 src1_sel:DWORD
	v_and_b32_e32 v8, 0x80000000, v27
	v_cmp_ne_u16_sdwa s[34:35], v8, v15 src0_sel:BYTE_3 src1_sel:DWORD
	v_bfe_i32 v28, v28, 0, 1
	v_lshrrev_b32_e32 v27, 22, v27
	v_cndmask_b32_e64 v8, 0, -1, s[34:35]
	v_bfe_i32 v9, v50, 4, 1
	v_bfe_i32 v27, v27, 0, 1
	v_lshlrev_b16_e32 v8, 8, v8
	v_lshlrev_b16_e32 v28, 8, v28
	v_or_b32_sdwa v29, v27, v8 dst_sel:WORD_1 dst_unused:UNUSED_PAD src0_sel:BYTE_0 src1_sel:DWORD
	v_or_b32_sdwa v30, v9, v28 dst_sel:DWORD dst_unused:UNUSED_PAD src0_sel:BYTE_0 src1_sel:DWORD
	v_or_b32_sdwa v29, v30, v29 dst_sel:DWORD dst_unused:UNUSED_PAD src0_sel:WORD_0 src1_sel:DWORD
	s_waitcnt vmcnt(0)
	v_xor_b32_e32 v26, v26, v29
	v_and_b32_e32 v29, 0xffffff00, v26
	v_sub_i16 v28, v29, v28 clamp
	v_lshlrev_b16_e32 v29, 8, v26
	v_lshlrev_b16_e32 v9, 8, v9
	v_and_b32_e32 v28, 0xffffff00, v28
	v_sub_i16 v9, v29, v9 clamp
	v_or_b32_sdwa v9, v9, v28 dst_sel:DWORD dst_unused:UNUSED_PAD src0_sel:BYTE_1 src1_sel:DWORD
	v_and_b32_sdwa v28, v26, s31 dst_sel:DWORD dst_unused:UNUSED_PAD src0_sel:WORD_1 src1_sel:DWORD
	v_sub_i16 v8, v28, v8 clamp
	v_lshlrev_b16_sdwa v26, v41, v26 dst_sel:DWORD dst_unused:UNUSED_PAD src0_sel:DWORD src1_sel:WORD_1
	v_lshlrev_b16_e32 v27, 8, v27
	v_and_b32_e32 v8, 0xffffff00, v8
	v_sub_i16 v26, v26, v27 clamp
	v_or_b32_sdwa v8, v26, v8 dst_sel:WORD_1 dst_unused:UNUSED_PAD src0_sel:BYTE_1 src1_sel:DWORD
	v_mov_b32_e32 v37, 0
	v_or_b32_sdwa v53, v9, v8 dst_sel:DWORD dst_unused:UNUSED_PAD src0_sel:WORD_0 src1_sel:DWORD
	v_lshlrev_b32_sdwa v8, v40, v49 dst_sel:DWORD dst_unused:UNUSED_PAD src0_sel:DWORD src1_sel:BYTE_2
	global_load_dword v61, v8, s[20:21]
	v_lshlrev_b32_sdwa v8, v40, v49 dst_sel:DWORD dst_unused:UNUSED_PAD src0_sel:DWORD src1_sel:BYTE_3
	global_load_dword v60, v8, s[20:21]
	v_lshlrev_b32_sdwa v8, v40, v45 dst_sel:DWORD dst_unused:UNUSED_PAD src0_sel:DWORD src1_sel:BYTE_2
	global_load_dword v59, v8, s[20:21]
	v_lshlrev_b32_sdwa v8, v40, v45 dst_sel:DWORD dst_unused:UNUSED_PAD src0_sel:DWORD src1_sel:BYTE_3
	global_load_dword v58, v8, s[20:21]
	;; [unrolled: 4-line block ×3, first 2 shown]
	global_load_ushort v38, v[10:11], off
	v_add_u32_e32 v8, s8, v17
	v_mad_i64_i32 v[8:9], s[34:35], v8, s22, v[20:21]
	v_lshl_add_u64 v[26:27], v[8:9], 0, v[14:15]
	global_load_ushort v55, v[26:27], off offset:2
	v_lshl_add_u64 v[30:31], v[8:9], 0, 2
	v_lshl_add_u64 v[28:29], v[30:31], 0, v[14:15]
	;; [unrolled: 1-line block ×3, first 2 shown]
	global_load_dword v48, v[26:27], off offset:2
	global_load_dword v47, v[28:29], off offset:2
	;; [unrolled: 1-line block ×3, first 2 shown]
	global_load_ushort v63, v[30:31], off offset:64
	global_load_dword v42, v[30:31], off offset:64
	v_dot4c_i32_i8_e32 v37, v52, v5
	v_dot4c_i32_i8_e32 v37, v53, v6
	v_add_u32_e32 v17, 8, v17
	v_cmp_le_u32_e32 vcc, s5, v17
	s_or_b64 s[12:13], vcc, s[12:13]
	s_waitcnt vmcnt(5)
	v_and_b32_sdwa v64, s23, v55 dst_sel:DWORD dst_unused:UNUSED_PAD src0_sel:DWORD src1_sel:BYTE_0
	v_lshlrev_b32_e32 v64, 2, v64
	global_load_dword v64, v64, s[20:21]
	v_lshlrev_b32_sdwa v55, v40, v55 dst_sel:DWORD dst_unused:UNUSED_PAD src0_sel:DWORD src1_sel:BYTE_1
	global_load_dword v55, v55, s[20:21]
	s_waitcnt vmcnt(3)
	v_and_b32_e32 v54, 0xffff, v63
	v_and_b32_e32 v65, 0xff, v54
	v_bcnt_u32_b32 v66, v65, 0
	v_and_b32_e32 v66, 1, v66
	v_lshlrev_b32_e32 v66, 7, v66
	v_xor_b32_e32 v65, v66, v65
	v_mul_lo_u32 v65, v65, s30
	v_and_b32_e32 v66, 0x8000000, v65
	v_lshrrev_b32_e32 v67, 8, v65
	v_lshrrev_b16_e32 v68, 1, v67
	v_cmp_ne_u16_sdwa s[34:35], v66, v15 src0_sel:BYTE_3 src1_sel:DWORD
	v_and_b32_e32 v63, 1, v63
	v_bfe_i32 v68, v68, 0, 1
	v_lshrrev_b32_e32 v69, 18, v65
	v_cndmask_b32_e64 v66, 0, -1, s[34:35]
	v_sub_u16_e32 v63, 0, v63
	v_bfe_i32 v69, v69, 0, 1
	v_lshlrev_b16_e32 v66, 8, v66
	v_lshlrev_b16_e32 v68, 8, v68
	v_or_b32_sdwa v70, v69, v66 dst_sel:WORD_1 dst_unused:UNUSED_PAD src0_sel:BYTE_0 src1_sel:DWORD
	v_or_b32_sdwa v71, v63, v68 dst_sel:DWORD dst_unused:UNUSED_PAD src0_sel:BYTE_0 src1_sel:DWORD
	v_or_b32_sdwa v70, v71, v70 dst_sel:DWORD dst_unused:UNUSED_PAD src0_sel:WORD_0 src1_sel:DWORD
	v_lshlrev_b16_e32 v63, 8, v63
	v_lshrrev_b16_e32 v67, 5, v67
	v_bfe_i32 v67, v67, 0, 1
	v_lshlrev_b16_e32 v67, 8, v67
	s_waitcnt vmcnt(1)
	v_xor_b32_e32 v64, v64, v70
	v_and_b32_e32 v70, 0xffffff00, v64
	v_sub_i16 v68, v70, v68 clamp
	v_lshlrev_b16_e32 v70, 8, v64
	v_and_b32_e32 v68, 0xffffff00, v68
	v_sub_i16 v63, v70, v63 clamp
	v_or_b32_sdwa v63, v63, v68 dst_sel:DWORD dst_unused:UNUSED_PAD src0_sel:BYTE_1 src1_sel:DWORD
	v_and_b32_sdwa v68, v64, s31 dst_sel:DWORD dst_unused:UNUSED_PAD src0_sel:WORD_1 src1_sel:DWORD
	v_sub_i16 v66, v68, v66 clamp
	v_lshlrev_b16_sdwa v64, v41, v64 dst_sel:DWORD dst_unused:UNUSED_PAD src0_sel:DWORD src1_sel:WORD_1
	v_lshlrev_b16_e32 v68, 8, v69
	v_and_b32_e32 v66, 0xffffff00, v66
	v_sub_i16 v64, v64, v68 clamp
	v_or_b32_sdwa v64, v64, v66 dst_sel:WORD_1 dst_unused:UNUSED_PAD src0_sel:BYTE_1 src1_sel:DWORD
	v_bfe_i32 v66, v54, 4, 1
	v_or_b32_sdwa v63, v63, v64 dst_sel:DWORD dst_unused:UNUSED_PAD src0_sel:WORD_0 src1_sel:DWORD
	v_and_b32_e32 v64, 0x80000000, v65
	v_cmp_ne_u16_sdwa s[34:35], v64, v15 src0_sel:BYTE_3 src1_sel:DWORD
	v_lshrrev_b32_e32 v65, 22, v65
	v_bfe_i32 v65, v65, 0, 1
	v_cndmask_b32_e64 v64, 0, -1, s[34:35]
	v_cmp_ne_u16_sdwa s[34:35], v76, v15 src0_sel:BYTE_3 src1_sel:DWORD
	v_lshlrev_b16_e32 v64, 8, v64
	v_or_b32_sdwa v68, v65, v64 dst_sel:WORD_1 dst_unused:UNUSED_PAD src0_sel:BYTE_0 src1_sel:DWORD
	v_cndmask_b32_e64 v76, 0, -1, s[34:35]
	v_lshlrev_b16_e32 v76, 8, v76
	v_or_b32_sdwa v81, v80, v76 dst_sel:WORD_1 dst_unused:UNUSED_PAD src0_sel:BYTE_0 src1_sel:DWORD
	v_lshlrev_b16_e32 v80, 8, v80
	v_or_b32_sdwa v79, v79, v81 dst_sel:DWORD dst_unused:UNUSED_PAD src0_sel:WORD_0 src1_sel:DWORD
	v_xor_b32_e32 v61, v61, v79
	v_and_b32_e32 v81, 0xffffff00, v61
	v_sub_i16 v81, v81, v78 clamp
	v_lshlrev_b16_e32 v82, 8, v61
	v_and_b32_e32 v81, 0xffffff00, v81
	v_sub_i16 v82, v82, v62 clamp
	v_or_b32_sdwa v81, v82, v81 dst_sel:DWORD dst_unused:UNUSED_PAD src0_sel:BYTE_1 src1_sel:DWORD
	v_and_b32_sdwa v82, v61, s31 dst_sel:DWORD dst_unused:UNUSED_PAD src0_sel:WORD_1 src1_sel:DWORD
	v_sub_i16 v82, v82, v76 clamp
	v_lshlrev_b16_sdwa v61, v41, v61 dst_sel:DWORD dst_unused:UNUSED_PAD src0_sel:DWORD src1_sel:WORD_1
	v_and_b32_e32 v82, 0xffffff00, v82
	v_sub_i16 v61, v61, v80 clamp
	v_or_b32_sdwa v61, v61, v82 dst_sel:WORD_1 dst_unused:UNUSED_PAD src0_sel:BYTE_1 src1_sel:DWORD
	v_or_b32_sdwa v69, v66, v67 dst_sel:DWORD dst_unused:UNUSED_PAD src0_sel:BYTE_0 src1_sel:DWORD
	v_or_b32_sdwa v61, v81, v61 dst_sel:DWORD dst_unused:UNUSED_PAD src0_sel:WORD_0 src1_sel:DWORD
	v_and_b32_e32 v81, 0x80000000, v75
	v_cmp_ne_u16_sdwa s[34:35], v81, v15 src0_sel:BYTE_3 src1_sel:DWORD
	v_or_b32_sdwa v68, v69, v68 dst_sel:DWORD dst_unused:UNUSED_PAD src0_sel:WORD_0 src1_sel:DWORD
	v_lshrrev_b32_e32 v75, 22, v75
	v_cndmask_b32_e64 v81, 0, -1, s[34:35]
	s_waitcnt vmcnt(0)
	v_xor_b32_e32 v55, v55, v68
	v_bfe_i32 v82, v50, 11, 1
	v_bfe_i32 v75, v75, 0, 1
	v_lshlrev_b16_e32 v81, 8, v81
	v_and_b32_e32 v68, 0xffffff00, v55
	v_or_b32_sdwa v83, v75, v81 dst_sel:WORD_1 dst_unused:UNUSED_PAD src0_sel:BYTE_0 src1_sel:DWORD
	v_or_b32_sdwa v84, v82, v77 dst_sel:DWORD dst_unused:UNUSED_PAD src0_sel:BYTE_0 src1_sel:DWORD
	v_sub_i16 v67, v68, v67 clamp
	v_lshlrev_b16_e32 v68, 8, v55
	v_lshlrev_b16_e32 v66, 8, v66
	v_or_b32_sdwa v83, v84, v83 dst_sel:DWORD dst_unused:UNUSED_PAD src0_sel:WORD_0 src1_sel:DWORD
	v_and_b32_e32 v67, 0xffffff00, v67
	v_sub_i16 v66, v68, v66 clamp
	v_xor_b32_e32 v60, v60, v83
	v_or_b32_sdwa v66, v66, v67 dst_sel:DWORD dst_unused:UNUSED_PAD src0_sel:BYTE_1 src1_sel:DWORD
	v_and_b32_sdwa v67, v55, s31 dst_sel:DWORD dst_unused:UNUSED_PAD src0_sel:WORD_1 src1_sel:DWORD
	v_lshlrev_b16_sdwa v55, v41, v55 dst_sel:DWORD dst_unused:UNUSED_PAD src0_sel:DWORD src1_sel:WORD_1
	v_lshlrev_b16_e32 v65, 8, v65
	v_and_b32_e32 v84, 0xffffff00, v60
	v_sub_i16 v55, v55, v65 clamp
	v_mov_b32_e32 v65, 0
	v_sub_i16 v84, v84, v77 clamp
	v_lshlrev_b16_e32 v85, 8, v60
	v_lshlrev_b16_e32 v82, 8, v82
	v_dot4c_i32_i8_e32 v65, v63, v5
	v_lshlrev_b32_sdwa v5, v40, v48 dst_sel:DWORD dst_unused:UNUSED_PAD src0_sel:DWORD src1_sel:BYTE_2
	v_and_b32_e32 v84, 0xffffff00, v84
	v_sub_i16 v85, v85, v82 clamp
	global_load_dword v5, v5, s[20:21]
	v_or_b32_sdwa v84, v85, v84 dst_sel:DWORD dst_unused:UNUSED_PAD src0_sel:BYTE_1 src1_sel:DWORD
	v_and_b32_sdwa v85, v60, s31 dst_sel:DWORD dst_unused:UNUSED_PAD src0_sel:WORD_1 src1_sel:DWORD
	v_sub_i16 v85, v85, v81 clamp
	v_lshlrev_b16_sdwa v60, v41, v60 dst_sel:DWORD dst_unused:UNUSED_PAD src0_sel:DWORD src1_sel:WORD_1
	v_lshlrev_b16_e32 v75, 8, v75
	v_and_b32_e32 v85, 0xffffff00, v85
	v_sub_i16 v60, v60, v75 clamp
	v_or_b32_sdwa v60, v60, v85 dst_sel:WORD_1 dst_unused:UNUSED_PAD src0_sel:BYTE_1 src1_sel:DWORD
	v_dot4c_i32_i8_e32 v37, v61, v7
	v_or_b32_sdwa v60, v84, v60 dst_sel:DWORD dst_unused:UNUSED_PAD src0_sel:WORD_0 src1_sel:DWORD
	v_dot4c_i32_i8_e32 v37, v60, v0
	v_bfe_u32 v60, v74, 14, 8
	v_bcnt_u32_b32 v61, v60, 0
	v_and_b32_e32 v61, 1, v61
	v_lshlrev_b32_e32 v61, 7, v61
	v_sub_i16 v64, v67, v64 clamp
	v_xor_b32_e32 v60, v61, v60
	v_and_b32_e32 v64, 0xffffff00, v64
	v_mul_lo_u32 v60, v60, s30
	v_or_b32_sdwa v55, v55, v64 dst_sel:WORD_1 dst_unused:UNUSED_PAD src0_sel:BYTE_1 src1_sel:DWORD
	v_and_b32_e32 v61, 0x8000000, v60
	v_lshrrev_b32_e32 v74, 8, v60
	v_or_b32_sdwa v64, v66, v55 dst_sel:DWORD dst_unused:UNUSED_PAD src0_sel:WORD_0 src1_sel:DWORD
	v_lshrrev_b16_e32 v84, 1, v74
	v_cmp_ne_u16_sdwa s[34:35], v61, v15 src0_sel:BYTE_3 src1_sel:DWORD
	v_dot4c_i32_i8_e32 v65, v64, v6
	v_lshlrev_b32_sdwa v6, v40, v48 dst_sel:DWORD dst_unused:UNUSED_PAD src0_sel:DWORD src1_sel:BYTE_3
	global_load_dword v6, v6, s[20:21]
	v_bfe_i32 v84, v84, 0, 1
	v_lshrrev_b32_e32 v86, 18, v60
	v_cndmask_b32_e64 v61, 0, -1, s[34:35]
	v_lshlrev_b16_e32 v84, 8, v84
	v_bfe_i32 v86, v86, 0, 1
	v_lshlrev_b16_e32 v61, 8, v61
	v_or_b32_sdwa v85, v51, v84 dst_sel:DWORD dst_unused:UNUSED_PAD src0_sel:BYTE_0 src1_sel:DWORD
	v_or_b32_sdwa v87, v86, v61 dst_sel:WORD_1 dst_unused:UNUSED_PAD src0_sel:BYTE_0 src1_sel:DWORD
	v_lshrrev_b16_e32 v74, 5, v74
	v_or_b32_sdwa v85, v85, v87 dst_sel:DWORD dst_unused:UNUSED_PAD src0_sel:WORD_0 src1_sel:DWORD
	v_xor_b32_e32 v59, v59, v85
	v_and_b32_e32 v85, 0xffffff00, v59
	v_sub_i16 v84, v85, v84 clamp
	v_lshlrev_b16_e32 v85, 8, v59
	v_lshlrev_b16_e32 v87, 8, v51
	v_and_b32_e32 v84, 0xffffff00, v84
	v_sub_i16 v85, v85, v87 clamp
	v_or_b32_sdwa v84, v85, v84 dst_sel:DWORD dst_unused:UNUSED_PAD src0_sel:BYTE_1 src1_sel:DWORD
	v_and_b32_sdwa v85, v59, s31 dst_sel:DWORD dst_unused:UNUSED_PAD src0_sel:WORD_1 src1_sel:DWORD
	v_sub_i16 v61, v85, v61 clamp
	v_lshlrev_b16_sdwa v59, v41, v59 dst_sel:DWORD dst_unused:UNUSED_PAD src0_sel:DWORD src1_sel:WORD_1
	v_lshlrev_b16_e32 v85, 8, v86
	v_and_b32_e32 v61, 0xffffff00, v61
	v_sub_i16 v59, v59, v85 clamp
	v_or_b32_sdwa v59, v59, v61 dst_sel:WORD_1 dst_unused:UNUSED_PAD src0_sel:BYTE_1 src1_sel:DWORD
	v_and_b32_e32 v61, 0x80000000, v60
	v_cmp_ne_u16_sdwa s[34:35], v61, v15 src0_sel:BYTE_3 src1_sel:DWORD
	v_bfe_i32 v74, v74, 0, 1
	v_lshrrev_b32_e32 v60, 22, v60
	v_cndmask_b32_e64 v61, 0, -1, s[34:35]
	v_or_b32_sdwa v59, v84, v59 dst_sel:DWORD dst_unused:UNUSED_PAD src0_sel:WORD_0 src1_sel:DWORD
	v_bfe_i32 v84, v73, 2, 1
	v_bfe_i32 v60, v60, 0, 1
	v_lshlrev_b16_e32 v61, 8, v61
	v_lshlrev_b16_e32 v74, 8, v74
	v_or_b32_sdwa v85, v60, v61 dst_sel:WORD_1 dst_unused:UNUSED_PAD src0_sel:BYTE_0 src1_sel:DWORD
	v_or_b32_sdwa v86, v84, v74 dst_sel:DWORD dst_unused:UNUSED_PAD src0_sel:BYTE_0 src1_sel:DWORD
	v_or_b32_sdwa v85, v86, v85 dst_sel:DWORD dst_unused:UNUSED_PAD src0_sel:WORD_0 src1_sel:DWORD
	v_xor_b32_e32 v58, v58, v85
	v_and_b32_e32 v85, 0xffffff00, v58
	v_sub_i16 v74, v85, v74 clamp
	v_lshlrev_b16_e32 v85, 8, v58
	v_lshlrev_b16_e32 v84, 8, v84
	v_and_b32_e32 v74, 0xffffff00, v74
	v_sub_i16 v84, v85, v84 clamp
	v_lshlrev_b32_sdwa v55, v40, v47 dst_sel:DWORD dst_unused:UNUSED_PAD src0_sel:DWORD src1_sel:BYTE_2
	global_load_dword v67, v55, s[20:21]
	v_or_b32_sdwa v74, v84, v74 dst_sel:DWORD dst_unused:UNUSED_PAD src0_sel:BYTE_1 src1_sel:DWORD
	v_and_b32_sdwa v84, v58, s31 dst_sel:DWORD dst_unused:UNUSED_PAD src0_sel:WORD_1 src1_sel:DWORD
	v_sub_i16 v61, v84, v61 clamp
	v_lshlrev_b16_sdwa v58, v41, v58 dst_sel:DWORD dst_unused:UNUSED_PAD src0_sel:DWORD src1_sel:WORD_1
	v_lshlrev_b16_e32 v60, 8, v60
	v_and_b32_e32 v61, 0xffffff00, v61
	v_sub_i16 v58, v58, v60 clamp
	v_or_b32_sdwa v58, v58, v61 dst_sel:WORD_1 dst_unused:UNUSED_PAD src0_sel:BYTE_1 src1_sel:DWORD
	v_dot4c_i32_i8_e32 v37, v59, v1
	v_or_b32_sdwa v58, v74, v58 dst_sel:DWORD dst_unused:UNUSED_PAD src0_sel:WORD_0 src1_sel:DWORD
	v_dot4c_i32_i8_e32 v37, v58, v2
	v_bfe_u32 v58, v43, 21, 8
	v_bcnt_u32_b32 v59, v58, 0
	v_and_b32_e32 v59, 1, v59
	v_lshlrev_b32_e32 v59, 7, v59
	v_xor_b32_e32 v58, v59, v58
	v_mul_lo_u32 v58, v58, s30
	v_and_b32_e32 v59, 0x8000000, v58
	v_lshrrev_b32_e32 v61, 8, v58
	v_lshrrev_b16_e32 v74, 1, v61
	v_cmp_ne_u16_sdwa s[34:35], v59, v15 src0_sel:BYTE_3 src1_sel:DWORD
	v_lshlrev_b32_sdwa v69, v40, v46 dst_sel:DWORD dst_unused:UNUSED_PAD src0_sel:DWORD src1_sel:BYTE_2
	global_load_dword v69, v69, s[20:21]
	v_bfe_i32 v74, v74, 0, 1
	v_lshrrev_b32_e32 v84, 18, v58
	v_cndmask_b32_e64 v59, 0, -1, s[34:35]
	v_lshlrev_b32_sdwa v55, v40, v47 dst_sel:DWORD dst_unused:UNUSED_PAD src0_sel:DWORD src1_sel:BYTE_3
	v_bfe_i32 v60, v73, 5, 1
	v_bfe_i32 v84, v84, 0, 1
	v_lshlrev_b16_e32 v59, 8, v59
	v_lshlrev_b16_e32 v74, 8, v74
	global_load_dword v68, v55, s[20:21]
	v_or_b32_sdwa v85, v84, v59 dst_sel:WORD_1 dst_unused:UNUSED_PAD src0_sel:BYTE_0 src1_sel:DWORD
	v_or_b32_sdwa v86, v60, v74 dst_sel:DWORD dst_unused:UNUSED_PAD src0_sel:BYTE_0 src1_sel:DWORD
	v_or_b32_sdwa v85, v86, v85 dst_sel:DWORD dst_unused:UNUSED_PAD src0_sel:WORD_0 src1_sel:DWORD
	v_xor_b32_e32 v57, v57, v85
	v_and_b32_e32 v85, 0xffffff00, v57
	v_sub_i16 v74, v85, v74 clamp
	v_lshlrev_b16_e32 v85, 8, v57
	v_lshlrev_b16_e32 v60, 8, v60
	v_and_b32_e32 v74, 0xffffff00, v74
	v_sub_i16 v60, v85, v60 clamp
	v_or_b32_sdwa v60, v60, v74 dst_sel:DWORD dst_unused:UNUSED_PAD src0_sel:BYTE_1 src1_sel:DWORD
	v_and_b32_sdwa v74, v57, s31 dst_sel:DWORD dst_unused:UNUSED_PAD src0_sel:WORD_1 src1_sel:DWORD
	v_sub_i16 v59, v74, v59 clamp
	v_lshlrev_b16_sdwa v57, v41, v57 dst_sel:DWORD dst_unused:UNUSED_PAD src0_sel:DWORD src1_sel:WORD_1
	v_lshlrev_b16_e32 v74, 8, v84
	v_and_b32_e32 v59, 0xffffff00, v59
	v_sub_i16 v57, v57, v74 clamp
	v_or_b32_sdwa v57, v57, v59 dst_sel:WORD_1 dst_unused:UNUSED_PAD src0_sel:BYTE_1 src1_sel:DWORD
	v_and_b32_e32 v59, 0x80000000, v58
	v_lshrrev_b16_e32 v61, 5, v61
	v_cmp_ne_u16_sdwa s[34:35], v59, v15 src0_sel:BYTE_3 src1_sel:DWORD
	v_bfe_i32 v61, v61, 0, 1
	v_lshrrev_b32_e32 v58, 22, v58
	v_cndmask_b32_e64 v59, 0, -1, s[34:35]
	v_or_b32_sdwa v57, v60, v57 dst_sel:DWORD dst_unused:UNUSED_PAD src0_sel:WORD_0 src1_sel:DWORD
	v_bfe_i32 v60, v73, 9, 1
	v_bfe_i32 v58, v58, 0, 1
	v_lshlrev_b16_e32 v59, 8, v59
	v_lshlrev_b16_e32 v61, 8, v61
	v_or_b32_sdwa v73, v58, v59 dst_sel:WORD_1 dst_unused:UNUSED_PAD src0_sel:BYTE_0 src1_sel:DWORD
	v_or_b32_sdwa v74, v60, v61 dst_sel:DWORD dst_unused:UNUSED_PAD src0_sel:BYTE_0 src1_sel:DWORD
	v_or_b32_sdwa v73, v74, v73 dst_sel:DWORD dst_unused:UNUSED_PAD src0_sel:WORD_0 src1_sel:DWORD
	v_xor_b32_e32 v56, v56, v73
	v_and_b32_e32 v73, 0xffffff00, v56
	v_sub_i16 v61, v73, v61 clamp
	v_lshlrev_b16_e32 v73, 8, v56
	v_lshlrev_b16_e32 v60, 8, v60
	v_and_b32_e32 v61, 0xffffff00, v61
	v_sub_i16 v60, v73, v60 clamp
	v_or_b32_sdwa v60, v60, v61 dst_sel:DWORD dst_unused:UNUSED_PAD src0_sel:BYTE_1 src1_sel:DWORD
	v_and_b32_sdwa v61, v56, s31 dst_sel:DWORD dst_unused:UNUSED_PAD src0_sel:WORD_1 src1_sel:DWORD
	v_lshlrev_b16_sdwa v56, v41, v56 dst_sel:DWORD dst_unused:UNUSED_PAD src0_sel:DWORD src1_sel:WORD_1
	v_lshlrev_b16_e32 v58, 8, v58
	v_dot4c_i32_i8_e32 v37, v57, v3
	v_bfe_u32 v57, v54, 7, 8
	v_sub_i16 v56, v56, v58 clamp
	v_bcnt_u32_b32 v58, v57, 0
	v_and_b32_e32 v58, 1, v58
	v_lshlrev_b32_e32 v58, 7, v58
	v_sub_i16 v59, v61, v59 clamp
	v_xor_b32_e32 v57, v58, v57
	v_and_b32_e32 v59, 0xffffff00, v59
	v_mul_lo_u32 v57, v57, s30
	v_or_b32_sdwa v56, v56, v59 dst_sel:WORD_1 dst_unused:UNUSED_PAD src0_sel:BYTE_1 src1_sel:DWORD
	v_and_b32_e32 v58, 0x8000000, v57
	v_lshrrev_b32_e32 v59, 8, v57
	v_or_b32_sdwa v56, v60, v56 dst_sel:DWORD dst_unused:UNUSED_PAD src0_sel:WORD_0 src1_sel:DWORD
	v_lshrrev_b16_e32 v60, 1, v59
	v_cmp_ne_u16_sdwa s[34:35], v58, v15 src0_sel:BYTE_3 src1_sel:DWORD
	v_bfe_i32 v60, v60, 0, 1
	v_lshrrev_b32_e32 v61, 18, v57
	v_cndmask_b32_e64 v58, 0, -1, s[34:35]
	v_bfe_i32 v66, v54, 7, 1
	v_lshlrev_b16_e32 v73, 8, v60
	v_bfe_i32 v61, v61, 0, 1
	v_lshlrev_b16_e32 v74, 8, v58
	v_or_b32_sdwa v60, v66, v73 dst_sel:DWORD dst_unused:UNUSED_PAD src0_sel:BYTE_0 src1_sel:DWORD
	v_or_b32_sdwa v58, v61, v74 dst_sel:WORD_1 dst_unused:UNUSED_PAD src0_sel:BYTE_0 src1_sel:DWORD
	v_lshlrev_b16_e32 v66, 8, v66
	v_or_b32_sdwa v84, v60, v58 dst_sel:DWORD dst_unused:UNUSED_PAD src0_sel:WORD_0 src1_sel:DWORD
	s_waitcnt vmcnt(4)
	v_xor_b32_e32 v5, v5, v84
	v_and_b32_e32 v58, 0xffffff00, v5
	v_sub_i16 v58, v58, v73 clamp
	v_lshlrev_b16_e32 v60, 8, v5
	v_and_b32_e32 v58, 0xffffff00, v58
	v_sub_i16 v60, v60, v66 clamp
	v_lshlrev_b32_sdwa v70, v40, v46 dst_sel:DWORD dst_unused:UNUSED_PAD src0_sel:DWORD src1_sel:BYTE_3
	v_or_b32_sdwa v58, v60, v58 dst_sel:DWORD dst_unused:UNUSED_PAD src0_sel:BYTE_1 src1_sel:DWORD
	v_and_b32_sdwa v60, v5, s31 dst_sel:DWORD dst_unused:UNUSED_PAD src0_sel:WORD_1 src1_sel:DWORD
	global_load_dword v71, v70, s[20:21]
	global_load_ushort v72, v[8:9], off
	v_sub_i16 v60, v60, v74 clamp
	v_lshlrev_b16_sdwa v5, v41, v5 dst_sel:DWORD dst_unused:UNUSED_PAD src0_sel:DWORD src1_sel:WORD_1
	v_lshlrev_b16_e32 v85, 8, v61
	v_and_b32_e32 v60, 0xffffff00, v60
	v_sub_i16 v5, v5, v85 clamp
	v_or_b32_sdwa v5, v5, v60 dst_sel:WORD_1 dst_unused:UNUSED_PAD src0_sel:BYTE_1 src1_sel:DWORD
	v_lshrrev_b16_e32 v59, 5, v59
	v_or_b32_sdwa v5, v58, v5 dst_sel:DWORD dst_unused:UNUSED_PAD src0_sel:WORD_0 src1_sel:DWORD
	v_and_b32_e32 v58, 0x80000000, v57
	v_cmp_ne_u16_sdwa s[34:35], v58, v15 src0_sel:BYTE_3 src1_sel:DWORD
	v_bfe_i32 v59, v59, 0, 1
	v_lshrrev_b32_e32 v57, 22, v57
	v_cndmask_b32_e64 v58, 0, -1, s[34:35]
	v_bfe_i32 v60, v54, 11, 1
	v_bfe_i32 v57, v57, 0, 1
	v_lshlrev_b16_e32 v86, 8, v58
	v_lshlrev_b16_e32 v88, 8, v59
	v_or_b32_sdwa v58, v57, v86 dst_sel:WORD_1 dst_unused:UNUSED_PAD src0_sel:BYTE_0 src1_sel:DWORD
	v_or_b32_sdwa v59, v60, v88 dst_sel:DWORD dst_unused:UNUSED_PAD src0_sel:BYTE_0 src1_sel:DWORD
	v_or_b32_sdwa v89, v59, v58 dst_sel:DWORD dst_unused:UNUSED_PAD src0_sel:WORD_0 src1_sel:DWORD
	s_waitcnt vmcnt(5)
	v_xor_b32_e32 v6, v6, v89
	v_and_b32_e32 v58, 0xffffff00, v6
	v_sub_i16 v58, v58, v88 clamp
	v_lshlrev_b16_e32 v59, 8, v6
	v_lshlrev_b16_e32 v90, 8, v60
	v_and_b32_e32 v58, 0xffffff00, v58
	v_sub_i16 v59, v59, v90 clamp
	v_or_b32_sdwa v58, v59, v58 dst_sel:DWORD dst_unused:UNUSED_PAD src0_sel:BYTE_1 src1_sel:DWORD
	v_and_b32_sdwa v59, v6, s31 dst_sel:DWORD dst_unused:UNUSED_PAD src0_sel:WORD_1 src1_sel:DWORD
	v_sub_i16 v59, v59, v86 clamp
	v_lshlrev_b16_sdwa v6, v41, v6 dst_sel:DWORD dst_unused:UNUSED_PAD src0_sel:DWORD src1_sel:WORD_1
	v_lshlrev_b16_e32 v91, 8, v57
	v_and_b32_e32 v59, 0xffffff00, v59
	v_sub_i16 v6, v6, v91 clamp
	v_dot4c_i32_i8_e32 v37, v56, v36
	v_and_b32_e32 v56, 0xffff0000, v42
	v_or_b32_sdwa v6, v6, v59 dst_sel:WORD_1 dst_unused:UNUSED_PAD src0_sel:BYTE_1 src1_sel:DWORD
	v_or_b32_e32 v56, v56, v54
	v_or_b32_sdwa v6, v58, v6 dst_sel:DWORD dst_unused:UNUSED_PAD src0_sel:WORD_0 src1_sel:DWORD
	v_dot4c_i32_i8_e32 v65, v5, v7
	v_dot4c_i32_i8_e32 v65, v6, v0
	v_bfe_u32 v0, v56, 14, 8
	v_bcnt_u32_b32 v5, v0, 0
	v_and_b32_e32 v5, 1, v5
	v_lshlrev_b32_e32 v5, 7, v5
	v_xor_b32_e32 v0, v5, v0
	v_mul_lo_u32 v0, v0, s30
	v_and_b32_e32 v5, 0x8000000, v0
	v_lshrrev_b32_e32 v6, 8, v0
	v_lshrrev_b16_e32 v7, 1, v6
	v_cmp_ne_u16_sdwa s[34:35], v5, v15 src0_sel:BYTE_3 src1_sel:DWORD
	v_bfe_i32 v7, v7, 0, 1
	v_lshrrev_b32_e32 v57, 18, v0
	v_cndmask_b32_e64 v5, 0, -1, s[34:35]
	v_bfe_i32 v55, v54, 14, 1
	v_lshlrev_b16_e32 v7, 8, v7
	v_bfe_i32 v57, v57, 0, 1
	v_lshlrev_b16_e32 v5, 8, v5
	v_or_b32_sdwa v56, v55, v7 dst_sel:DWORD dst_unused:UNUSED_PAD src0_sel:BYTE_0 src1_sel:DWORD
	v_or_b32_sdwa v58, v57, v5 dst_sel:WORD_1 dst_unused:UNUSED_PAD src0_sel:BYTE_0 src1_sel:DWORD
	v_lshlrev_b16_e32 v57, 8, v57
	v_or_b32_sdwa v56, v56, v58 dst_sel:DWORD dst_unused:UNUSED_PAD src0_sel:WORD_0 src1_sel:DWORD
	s_waitcnt vmcnt(4)
	v_xor_b32_e32 v56, v67, v56
	v_and_b32_e32 v58, 0xffffff00, v56
	v_sub_i16 v7, v58, v7 clamp
	v_lshlrev_b16_e32 v58, 8, v56
	v_lshlrev_b16_e32 v67, 8, v55
	v_and_b32_e32 v7, 0xffffff00, v7
	v_sub_i16 v58, v58, v67 clamp
	v_or_b32_sdwa v7, v58, v7 dst_sel:DWORD dst_unused:UNUSED_PAD src0_sel:BYTE_1 src1_sel:DWORD
	v_and_b32_sdwa v58, v56, s31 dst_sel:DWORD dst_unused:UNUSED_PAD src0_sel:WORD_1 src1_sel:DWORD
	v_sub_i16 v5, v58, v5 clamp
	v_lshlrev_b16_sdwa v56, v41, v56 dst_sel:DWORD dst_unused:UNUSED_PAD src0_sel:DWORD src1_sel:WORD_1
	v_and_b32_e32 v5, 0xffffff00, v5
	v_sub_i16 v56, v56, v57 clamp
	v_or_b32_sdwa v5, v56, v5 dst_sel:WORD_1 dst_unused:UNUSED_PAD src0_sel:BYTE_1 src1_sel:DWORD
	v_lshrrev_b16_e32 v6, 5, v6
	v_or_b32_sdwa v5, v7, v5 dst_sel:DWORD dst_unused:UNUSED_PAD src0_sel:WORD_0 src1_sel:DWORD
	v_and_b32_e32 v7, 0x80000000, v0
	v_cmp_ne_u16_sdwa s[34:35], v7, v15 src0_sel:BYTE_3 src1_sel:DWORD
	v_lshrrev_b32_e32 v70, 16, v42
	v_bfe_i32 v6, v6, 0, 1
	v_lshrrev_b32_e32 v0, 22, v0
	v_cndmask_b32_e64 v7, 0, -1, s[34:35]
	v_bfe_i32 v56, v70, 2, 1
	v_bfe_i32 v0, v0, 0, 1
	v_lshlrev_b16_e32 v7, 8, v7
	v_lshlrev_b16_e32 v6, 8, v6
	v_or_b32_sdwa v57, v0, v7 dst_sel:WORD_1 dst_unused:UNUSED_PAD src0_sel:BYTE_0 src1_sel:DWORD
	v_or_b32_sdwa v58, v56, v6 dst_sel:DWORD dst_unused:UNUSED_PAD src0_sel:BYTE_0 src1_sel:DWORD
	v_or_b32_sdwa v57, v58, v57 dst_sel:DWORD dst_unused:UNUSED_PAD src0_sel:WORD_0 src1_sel:DWORD
	s_waitcnt vmcnt(2)
	v_xor_b32_e32 v57, v68, v57
	v_and_b32_e32 v58, 0xffffff00, v57
	v_sub_i16 v6, v58, v6 clamp
	v_lshlrev_b16_e32 v58, 8, v57
	v_lshlrev_b16_e32 v56, 8, v56
	v_and_b32_e32 v6, 0xffffff00, v6
	v_sub_i16 v56, v58, v56 clamp
	v_or_b32_sdwa v6, v56, v6 dst_sel:DWORD dst_unused:UNUSED_PAD src0_sel:BYTE_1 src1_sel:DWORD
	v_and_b32_sdwa v56, v57, s31 dst_sel:DWORD dst_unused:UNUSED_PAD src0_sel:WORD_1 src1_sel:DWORD
	v_sub_i16 v7, v56, v7 clamp
	v_lshlrev_b16_sdwa v56, v41, v57 dst_sel:DWORD dst_unused:UNUSED_PAD src0_sel:DWORD src1_sel:WORD_1
	v_lshlrev_b16_e32 v0, 8, v0
	v_and_b32_e32 v7, 0xffffff00, v7
	v_sub_i16 v0, v56, v0 clamp
	v_or_b32_sdwa v0, v0, v7 dst_sel:WORD_1 dst_unused:UNUSED_PAD src0_sel:BYTE_1 src1_sel:DWORD
	v_dot4c_i32_i8_e32 v65, v5, v1
	v_or_b32_sdwa v0, v6, v0 dst_sel:DWORD dst_unused:UNUSED_PAD src0_sel:WORD_0 src1_sel:DWORD
	v_dot4c_i32_i8_e32 v65, v0, v2
	v_bfe_u32 v0, v42, 21, 8
	v_bcnt_u32_b32 v1, v0, 0
	v_and_b32_e32 v1, 1, v1
	v_lshlrev_b32_e32 v1, 7, v1
	v_xor_b32_e32 v0, v1, v0
	v_mul_lo_u32 v0, v0, s30
	v_and_b32_e32 v1, 0x8000000, v0
	v_lshrrev_b32_e32 v5, 8, v0
	v_lshrrev_b16_e32 v6, 1, v5
	v_cmp_ne_u16_sdwa s[34:35], v1, v15 src0_sel:BYTE_3 src1_sel:DWORD
	v_bfe_i32 v6, v6, 0, 1
	v_lshrrev_b32_e32 v7, 18, v0
	v_cndmask_b32_e64 v1, 0, -1, s[34:35]
	v_bfe_i32 v2, v70, 5, 1
	v_bfe_i32 v7, v7, 0, 1
	v_lshlrev_b16_e32 v1, 8, v1
	v_lshlrev_b16_e32 v6, 8, v6
	v_or_b32_sdwa v56, v7, v1 dst_sel:WORD_1 dst_unused:UNUSED_PAD src0_sel:BYTE_0 src1_sel:DWORD
	v_or_b32_sdwa v57, v2, v6 dst_sel:DWORD dst_unused:UNUSED_PAD src0_sel:BYTE_0 src1_sel:DWORD
	v_or_b32_sdwa v56, v57, v56 dst_sel:DWORD dst_unused:UNUSED_PAD src0_sel:WORD_0 src1_sel:DWORD
	v_xor_b32_e32 v56, v69, v56
	v_and_b32_e32 v57, 0xffffff00, v56
	v_sub_i16 v6, v57, v6 clamp
	v_lshlrev_b16_e32 v57, 8, v56
	v_lshlrev_b16_e32 v2, 8, v2
	v_and_b32_e32 v6, 0xffffff00, v6
	v_sub_i16 v2, v57, v2 clamp
	v_or_b32_sdwa v2, v2, v6 dst_sel:DWORD dst_unused:UNUSED_PAD src0_sel:BYTE_1 src1_sel:DWORD
	v_and_b32_sdwa v6, v56, s31 dst_sel:DWORD dst_unused:UNUSED_PAD src0_sel:WORD_1 src1_sel:DWORD
	v_sub_i16 v1, v6, v1 clamp
	v_lshlrev_b16_sdwa v6, v41, v56 dst_sel:DWORD dst_unused:UNUSED_PAD src0_sel:DWORD src1_sel:WORD_1
	v_lshlrev_b16_e32 v7, 8, v7
	v_and_b32_e32 v1, 0xffffff00, v1
	v_sub_i16 v6, v6, v7 clamp
	v_or_b32_sdwa v1, v6, v1 dst_sel:WORD_1 dst_unused:UNUSED_PAD src0_sel:BYTE_1 src1_sel:DWORD
	v_lshrrev_b16_e32 v5, 5, v5
	v_or_b32_sdwa v1, v2, v1 dst_sel:DWORD dst_unused:UNUSED_PAD src0_sel:WORD_0 src1_sel:DWORD
	v_and_b32_e32 v2, 0x80000000, v0
	v_cmp_ne_u16_sdwa s[34:35], v2, v15 src0_sel:BYTE_3 src1_sel:DWORD
	v_bfe_i32 v5, v5, 0, 1
	v_lshrrev_b32_e32 v0, 22, v0
	v_cndmask_b32_e64 v2, 0, -1, s[34:35]
	v_bfe_i32 v6, v70, 9, 1
	v_bfe_i32 v0, v0, 0, 1
	v_lshlrev_b16_e32 v2, 8, v2
	v_lshlrev_b16_e32 v5, 8, v5
	v_or_b32_sdwa v7, v0, v2 dst_sel:WORD_1 dst_unused:UNUSED_PAD src0_sel:BYTE_0 src1_sel:DWORD
	v_or_b32_sdwa v56, v6, v5 dst_sel:DWORD dst_unused:UNUSED_PAD src0_sel:BYTE_0 src1_sel:DWORD
	v_or_b32_sdwa v7, v56, v7 dst_sel:DWORD dst_unused:UNUSED_PAD src0_sel:WORD_0 src1_sel:DWORD
	s_waitcnt vmcnt(1)
	v_xor_b32_e32 v7, v71, v7
	v_and_b32_e32 v56, 0xffffff00, v7
	v_sub_i16 v5, v56, v5 clamp
	v_lshlrev_b16_e32 v56, 8, v7
	v_lshlrev_b16_e32 v6, 8, v6
	v_and_b32_e32 v5, 0xffffff00, v5
	v_sub_i16 v6, v56, v6 clamp
	v_or_b32_sdwa v5, v6, v5 dst_sel:DWORD dst_unused:UNUSED_PAD src0_sel:BYTE_1 src1_sel:DWORD
	v_and_b32_sdwa v6, v7, s31 dst_sel:DWORD dst_unused:UNUSED_PAD src0_sel:WORD_1 src1_sel:DWORD
	v_sub_i16 v2, v6, v2 clamp
	v_lshlrev_b16_sdwa v6, v41, v7 dst_sel:DWORD dst_unused:UNUSED_PAD src0_sel:DWORD src1_sel:WORD_1
	v_lshlrev_b16_e32 v0, 8, v0
	v_and_b32_e32 v2, 0xffffff00, v2
	v_sub_i16 v0, v6, v0 clamp
	v_or_b32_sdwa v0, v0, v2 dst_sel:WORD_1 dst_unused:UNUSED_PAD src0_sel:BYTE_1 src1_sel:DWORD
	v_dot4c_i32_i8_e32 v65, v1, v3
	v_or_b32_sdwa v0, v5, v0 dst_sel:DWORD dst_unused:UNUSED_PAD src0_sel:WORD_0 src1_sel:DWORD
	v_dot4c_i32_i8_e32 v65, v0, v36
	v_lshrrev_b32_e32 v0, 31, v37
	v_add_u32_e32 v0, v37, v0
	v_lshrrev_b32_e32 v1, 28, v43
	v_lshrrev_b32_e32 v2, 31, v65
	v_ashrrev_i32_e32 v0, 1, v0
	v_add_u32_e32 v2, v65, v2
	v_lshrrev_b32_e32 v3, 28, v42
	v_ashrrev_i32_e32 v2, 1, v2
	v_mad_u64_u32 v[0:1], s[34:35], v37, v1, v[0:1]
	v_mad_u64_u32 v[2:3], s[34:35], v65, v3, v[2:3]
	v_lshrrev_b32_e32 v1, 31, v0
	v_add_u32_e32 v0, v0, v1
	v_lshrrev_b32_e32 v1, 31, v2
	v_add_u32_e32 v1, v2, v1
	v_ashrrev_i32_e32 v0, 1, v0
	v_ashrrev_i32_e32 v1, 1, v1
	v_cvt_f32_i32_e32 v7, v1
	v_cvt_f32_i32_e32 v6, v0
	scratch_load_dwordx4 v[0:3], off, off
	s_waitcnt vmcnt(1)
	v_cvt_f32_f16_e32 v37, v72
	v_cvt_f32_f16_e32 v36, v38
	v_mov_b32_e32 v69, 0
	v_pk_mul_f32 v[4:5], v[4:5], v[36:37] op_sel_hi:[0,1]
	s_waitcnt vmcnt(0)
	v_pk_fma_f32 v[0:1], v[4:5], v[6:7], v[0:1]
	v_add_u32_e32 v4, s9, v39
	v_mad_u64_u32 v[4:5], s[34:35], v4, 36, s[24:25]
	v_mad_u64_u32 v[60:61], s[34:35], v16, 36, v[4:5]
	global_load_dword v65, v[60:61], off offset:32
	global_load_dwordx4 v[4:7], v[60:61], off offset:16
	global_load_dwordx4 v[56:59], v[60:61], off
	s_waitcnt vmcnt(0)
	v_cvt_f32_f16_e32 v38, v56
	global_load_ushort v56, v[34:35], off offset:2
	global_load_ushort v60, v[34:35], off offset:4
	;; [unrolled: 1-line block ×4, first 2 shown]
	v_dot4c_i32_i8_e32 v69, v52, v57
	v_dot4c_i32_i8_e32 v69, v53, v58
	s_waitcnt vmcnt(3)
	v_and_b32_sdwa v52, s23, v56 dst_sel:DWORD dst_unused:UNUSED_PAD src0_sel:DWORD src1_sel:BYTE_0
	v_lshlrev_b32_sdwa v53, v40, v56 dst_sel:DWORD dst_unused:UNUSED_PAD src0_sel:DWORD src1_sel:BYTE_1
	s_waitcnt vmcnt(2)
	v_and_b32_sdwa v56, s23, v60 dst_sel:DWORD dst_unused:UNUSED_PAD src0_sel:DWORD src1_sel:BYTE_0
	s_waitcnt vmcnt(1)
	v_and_b32_sdwa v70, s23, v61 dst_sel:DWORD dst_unused:UNUSED_PAD src0_sel:DWORD src1_sel:BYTE_0
	v_lshlrev_b32_e32 v52, 2, v52
	v_lshlrev_b32_e32 v56, 2, v56
	v_lshlrev_b32_sdwa v60, v40, v60 dst_sel:DWORD dst_unused:UNUSED_PAD src0_sel:DWORD src1_sel:BYTE_1
	v_lshlrev_b32_e32 v70, 2, v70
	v_lshlrev_b32_sdwa v61, v40, v61 dst_sel:DWORD dst_unused:UNUSED_PAD src0_sel:DWORD src1_sel:BYTE_1
	global_load_dword v52, v52, s[20:21]
	s_waitcnt vmcnt(1)
	v_lshl_or_b32 v50, v68, 16, v50
	global_load_dword v53, v53, s[20:21]
	v_bfe_u32 v50, v50, 14, 8
	global_load_dword v56, v56, s[20:21]
	s_nop 0
	global_load_dword v60, v60, s[20:21]
	s_nop 0
	;; [unrolled: 2-line block ×3, first 2 shown]
	global_load_dword v71, v61, s[20:21]
	global_load_ushort v72, v[28:29], off offset:2
	global_load_ushort v92, v[28:29], off offset:4
	global_load_ushort v93, v[28:29], off offset:6
	global_load_ushort v94, v[30:31], off offset:66
	v_mov_b32_e32 v61, 0
	v_dot4c_i32_i8_e32 v61, v63, v57
	v_dot4c_i32_i8_e32 v61, v64, v58
	s_waitcnt vmcnt(9)
	v_xor_b32_e32 v52, v52, v79
	v_and_b32_e32 v79, 0xffffff00, v52
	v_sub_i16 v78, v79, v78 clamp
	v_lshlrev_b16_e32 v79, 8, v52
	v_and_b32_e32 v78, 0xffffff00, v78
	v_sub_i16 v62, v79, v62 clamp
	s_waitcnt vmcnt(3)
	v_and_b32_sdwa v57, s23, v72 dst_sel:DWORD dst_unused:UNUSED_PAD src0_sel:DWORD src1_sel:BYTE_0
	v_lshlrev_b32_e32 v57, 2, v57
	global_load_dword v57, v57, s[20:21]
	v_lshlrev_b32_sdwa v58, v40, v72 dst_sel:DWORD dst_unused:UNUSED_PAD src0_sel:DWORD src1_sel:BYTE_1
	global_load_dword v58, v58, s[20:21]
	v_or_b32_sdwa v62, v62, v78 dst_sel:DWORD dst_unused:UNUSED_PAD src0_sel:BYTE_1 src1_sel:DWORD
	v_and_b32_sdwa v78, v52, s31 dst_sel:DWORD dst_unused:UNUSED_PAD src0_sel:WORD_1 src1_sel:DWORD
	v_sub_i16 v76, v78, v76 clamp
	v_lshlrev_b16_sdwa v52, v41, v52 dst_sel:DWORD dst_unused:UNUSED_PAD src0_sel:DWORD src1_sel:WORD_1
	v_and_b32_e32 v76, 0xffffff00, v76
	v_sub_i16 v52, v52, v80 clamp
	v_or_b32_sdwa v52, v52, v76 dst_sel:WORD_1 dst_unused:UNUSED_PAD src0_sel:BYTE_1 src1_sel:DWORD
	v_xor_b32_e32 v53, v53, v83
	v_or_b32_sdwa v52, v62, v52 dst_sel:DWORD dst_unused:UNUSED_PAD src0_sel:WORD_0 src1_sel:DWORD
	v_and_b32_e32 v62, 0xffffff00, v53
	v_sub_i16 v62, v62, v77 clamp
	v_lshlrev_b16_e32 v76, 8, v53
	v_and_b32_e32 v62, 0xffffff00, v62
	v_sub_i16 v76, v76, v82 clamp
	v_or_b32_sdwa v62, v76, v62 dst_sel:DWORD dst_unused:UNUSED_PAD src0_sel:BYTE_1 src1_sel:DWORD
	v_and_b32_sdwa v76, v53, s31 dst_sel:DWORD dst_unused:UNUSED_PAD src0_sel:WORD_1 src1_sel:DWORD
	v_dot4c_i32_i8_e32 v69, v52, v59
	v_bcnt_u32_b32 v52, v50, 0
	v_sub_i16 v76, v76, v81 clamp
	v_lshlrev_b16_sdwa v53, v41, v53 dst_sel:DWORD dst_unused:UNUSED_PAD src0_sel:DWORD src1_sel:WORD_1
	v_and_b32_e32 v52, 1, v52
	v_and_b32_e32 v76, 0xffffff00, v76
	v_sub_i16 v53, v53, v75 clamp
	v_lshlrev_b32_e32 v52, 7, v52
	v_or_b32_sdwa v53, v53, v76 dst_sel:WORD_1 dst_unused:UNUSED_PAD src0_sel:BYTE_1 src1_sel:DWORD
	v_xor_b32_e32 v50, v52, v50
	v_or_b32_sdwa v53, v62, v53 dst_sel:DWORD dst_unused:UNUSED_PAD src0_sel:WORD_0 src1_sel:DWORD
	v_mul_lo_u32 v50, v50, s30
	v_dot4c_i32_i8_e32 v69, v53, v4
	v_and_b32_e32 v52, 0x8000000, v50
	v_lshrrev_b32_e32 v53, 8, v50
	v_lshrrev_b16_e32 v62, 1, v53
	v_cmp_ne_u16_sdwa s[34:35], v52, v15 src0_sel:BYTE_3 src1_sel:DWORD
	v_bfe_i32 v62, v62, 0, 1
	v_lshrrev_b32_e32 v75, 18, v50
	v_cndmask_b32_e64 v52, 0, -1, s[34:35]
	v_lshlrev_b16_e32 v62, 8, v62
	v_bfe_i32 v75, v75, 0, 1
	v_lshlrev_b16_e32 v52, 8, v52
	v_or_b32_sdwa v51, v51, v62 dst_sel:DWORD dst_unused:UNUSED_PAD src0_sel:BYTE_0 src1_sel:DWORD
	v_or_b32_sdwa v76, v75, v52 dst_sel:WORD_1 dst_unused:UNUSED_PAD src0_sel:BYTE_0 src1_sel:DWORD
	s_waitcnt vmcnt(4)
	v_and_b32_sdwa v63, s23, v92 dst_sel:DWORD dst_unused:UNUSED_PAD src0_sel:DWORD src1_sel:BYTE_0
	v_or_b32_sdwa v51, v51, v76 dst_sel:DWORD dst_unused:UNUSED_PAD src0_sel:WORD_0 src1_sel:DWORD
	v_xor_b32_e32 v51, v56, v51
	v_and_b32_e32 v56, 0xffffff00, v51
	v_lshlrev_b32_e32 v63, 2, v63
	global_load_dword v63, v63, s[20:21]
	v_sub_i16 v56, v56, v62 clamp
	v_lshlrev_b16_e32 v62, 8, v51
	v_and_b32_e32 v56, 0xffffff00, v56
	v_sub_i16 v62, v62, v87 clamp
	v_or_b32_sdwa v56, v62, v56 dst_sel:DWORD dst_unused:UNUSED_PAD src0_sel:BYTE_1 src1_sel:DWORD
	v_and_b32_sdwa v62, v51, s31 dst_sel:DWORD dst_unused:UNUSED_PAD src0_sel:WORD_1 src1_sel:DWORD
	v_sub_i16 v52, v62, v52 clamp
	v_lshlrev_b16_sdwa v51, v41, v51 dst_sel:DWORD dst_unused:UNUSED_PAD src0_sel:DWORD src1_sel:WORD_1
	v_lshlrev_b16_e32 v62, 8, v75
	v_and_b32_e32 v52, 0xffffff00, v52
	v_sub_i16 v51, v51, v62 clamp
	v_or_b32_sdwa v51, v51, v52 dst_sel:WORD_1 dst_unused:UNUSED_PAD src0_sel:BYTE_1 src1_sel:DWORD
	v_and_b32_e32 v52, 0x80000000, v50
	v_lshrrev_b16_e32 v53, 5, v53
	v_cmp_ne_u16_sdwa s[34:35], v52, v15 src0_sel:BYTE_3 src1_sel:DWORD
	v_bfe_i32 v53, v53, 0, 1
	v_lshrrev_b32_e32 v50, 22, v50
	v_cndmask_b32_e64 v52, 0, -1, s[34:35]
	v_or_b32_sdwa v51, v56, v51 dst_sel:DWORD dst_unused:UNUSED_PAD src0_sel:WORD_0 src1_sel:DWORD
	v_bfe_i32 v56, v68, 2, 1
	v_bfe_i32 v50, v50, 0, 1
	v_lshlrev_b16_e32 v52, 8, v52
	v_lshlrev_b16_e32 v53, 8, v53
	v_or_b32_sdwa v62, v50, v52 dst_sel:WORD_1 dst_unused:UNUSED_PAD src0_sel:BYTE_0 src1_sel:DWORD
	v_or_b32_sdwa v75, v56, v53 dst_sel:DWORD dst_unused:UNUSED_PAD src0_sel:BYTE_0 src1_sel:DWORD
	v_or_b32_sdwa v62, v75, v62 dst_sel:DWORD dst_unused:UNUSED_PAD src0_sel:WORD_0 src1_sel:DWORD
	v_xor_b32_e32 v60, v60, v62
	v_and_b32_e32 v62, 0xffffff00, v60
	v_sub_i16 v53, v62, v53 clamp
	v_lshlrev_b16_e32 v62, 8, v60
	v_lshlrev_b16_e32 v56, 8, v56
	v_lshlrev_b32_sdwa v64, v40, v92 dst_sel:DWORD dst_unused:UNUSED_PAD src0_sel:DWORD src1_sel:BYTE_1
	global_load_dword v64, v64, s[20:21]
	v_and_b32_e32 v53, 0xffffff00, v53
	v_sub_i16 v56, v62, v56 clamp
	v_or_b32_sdwa v53, v56, v53 dst_sel:DWORD dst_unused:UNUSED_PAD src0_sel:BYTE_1 src1_sel:DWORD
	v_and_b32_sdwa v56, v60, s31 dst_sel:DWORD dst_unused:UNUSED_PAD src0_sel:WORD_1 src1_sel:DWORD
	v_sub_i16 v52, v56, v52 clamp
	v_lshlrev_b16_sdwa v56, v41, v60 dst_sel:DWORD dst_unused:UNUSED_PAD src0_sel:DWORD src1_sel:WORD_1
	v_lshlrev_b16_e32 v50, 8, v50
	v_and_b32_e32 v52, 0xffffff00, v52
	v_sub_i16 v50, v56, v50 clamp
	v_or_b32_sdwa v50, v50, v52 dst_sel:WORD_1 dst_unused:UNUSED_PAD src0_sel:BYTE_1 src1_sel:DWORD
	v_dot4c_i32_i8_e32 v69, v51, v5
	v_or_b32_sdwa v50, v53, v50 dst_sel:DWORD dst_unused:UNUSED_PAD src0_sel:WORD_0 src1_sel:DWORD
	v_dot4c_i32_i8_e32 v69, v50, v6
	v_bfe_u32 v50, v68, 5, 8
	v_bcnt_u32_b32 v51, v50, 0
	v_and_b32_e32 v51, 1, v51
	v_lshlrev_b32_e32 v51, 7, v51
	v_xor_b32_e32 v50, v51, v50
	v_mul_lo_u32 v50, v50, s30
	v_and_b32_e32 v51, 0x8000000, v50
	v_lshrrev_b32_e32 v53, 8, v50
	v_lshrrev_b16_e32 v56, 1, v53
	v_cmp_ne_u16_sdwa s[34:35], v51, v15 src0_sel:BYTE_3 src1_sel:DWORD
	v_bfe_i32 v56, v56, 0, 1
	v_lshrrev_b32_e32 v60, 18, v50
	v_cndmask_b32_e64 v51, 0, -1, s[34:35]
	v_bfe_i32 v52, v68, 5, 1
	v_bfe_i32 v60, v60, 0, 1
	v_lshlrev_b16_e32 v51, 8, v51
	v_lshlrev_b16_e32 v56, 8, v56
	v_or_b32_sdwa v62, v60, v51 dst_sel:WORD_1 dst_unused:UNUSED_PAD src0_sel:BYTE_0 src1_sel:DWORD
	v_or_b32_sdwa v75, v52, v56 dst_sel:DWORD dst_unused:UNUSED_PAD src0_sel:BYTE_0 src1_sel:DWORD
	v_or_b32_sdwa v62, v75, v62 dst_sel:DWORD dst_unused:UNUSED_PAD src0_sel:WORD_0 src1_sel:DWORD
	v_xor_b32_e32 v62, v70, v62
	v_and_b32_e32 v70, 0xffffff00, v62
	s_waitcnt vmcnt(5)
	v_and_b32_sdwa v72, s23, v93 dst_sel:DWORD dst_unused:UNUSED_PAD src0_sel:DWORD src1_sel:BYTE_0
	v_sub_i16 v56, v70, v56 clamp
	v_lshlrev_b16_e32 v70, 8, v62
	v_lshlrev_b16_e32 v52, 8, v52
	v_lshlrev_b32_e32 v72, 2, v72
	global_load_dword v72, v72, s[20:21]
	v_and_b32_e32 v56, 0xffffff00, v56
	v_sub_i16 v52, v70, v52 clamp
	v_or_b32_sdwa v52, v52, v56 dst_sel:DWORD dst_unused:UNUSED_PAD src0_sel:BYTE_1 src1_sel:DWORD
	v_and_b32_sdwa v56, v62, s31 dst_sel:DWORD dst_unused:UNUSED_PAD src0_sel:WORD_1 src1_sel:DWORD
	v_sub_i16 v51, v56, v51 clamp
	v_lshlrev_b16_sdwa v56, v41, v62 dst_sel:DWORD dst_unused:UNUSED_PAD src0_sel:DWORD src1_sel:WORD_1
	v_lshlrev_b16_e32 v60, 8, v60
	v_and_b32_e32 v51, 0xffffff00, v51
	v_sub_i16 v56, v56, v60 clamp
	v_or_b32_sdwa v51, v56, v51 dst_sel:WORD_1 dst_unused:UNUSED_PAD src0_sel:BYTE_1 src1_sel:DWORD
	v_lshrrev_b16_e32 v53, 5, v53
	v_or_b32_sdwa v51, v52, v51 dst_sel:DWORD dst_unused:UNUSED_PAD src0_sel:WORD_0 src1_sel:DWORD
	v_and_b32_e32 v52, 0x80000000, v50
	v_cmp_ne_u16_sdwa s[34:35], v52, v15 src0_sel:BYTE_3 src1_sel:DWORD
	v_bfe_i32 v53, v53, 0, 1
	v_lshrrev_b32_e32 v50, 22, v50
	v_cndmask_b32_e64 v52, 0, -1, s[34:35]
	v_bfe_i32 v56, v68, 9, 1
	v_bfe_i32 v50, v50, 0, 1
	v_lshlrev_b16_e32 v52, 8, v52
	v_lshlrev_b16_e32 v53, 8, v53
	v_or_b32_sdwa v60, v50, v52 dst_sel:WORD_1 dst_unused:UNUSED_PAD src0_sel:BYTE_0 src1_sel:DWORD
	v_or_b32_sdwa v62, v56, v53 dst_sel:DWORD dst_unused:UNUSED_PAD src0_sel:BYTE_0 src1_sel:DWORD
	v_or_b32_sdwa v60, v62, v60 dst_sel:DWORD dst_unused:UNUSED_PAD src0_sel:WORD_0 src1_sel:DWORD
	v_xor_b32_e32 v60, v71, v60
	v_and_b32_e32 v62, 0xffffff00, v60
	v_sub_i16 v53, v62, v53 clamp
	v_lshlrev_b16_e32 v62, 8, v60
	v_lshlrev_b16_e32 v56, 8, v56
	v_lshlrev_b32_sdwa v92, v40, v93 dst_sel:DWORD dst_unused:UNUSED_PAD src0_sel:DWORD src1_sel:BYTE_1
	global_load_dword v92, v92, s[20:21]
	v_and_b32_e32 v53, 0xffffff00, v53
	v_sub_i16 v56, v62, v56 clamp
	v_or_b32_sdwa v53, v56, v53 dst_sel:DWORD dst_unused:UNUSED_PAD src0_sel:BYTE_1 src1_sel:DWORD
	v_and_b32_sdwa v56, v60, s31 dst_sel:DWORD dst_unused:UNUSED_PAD src0_sel:WORD_1 src1_sel:DWORD
	v_sub_i16 v52, v56, v52 clamp
	v_lshlrev_b16_sdwa v56, v41, v60 dst_sel:DWORD dst_unused:UNUSED_PAD src0_sel:DWORD src1_sel:WORD_1
	v_lshlrev_b16_e32 v50, 8, v50
	v_and_b32_e32 v52, 0xffffff00, v52
	v_sub_i16 v50, v56, v50 clamp
	v_dot4c_i32_i8_e32 v69, v51, v7
	s_waitcnt vmcnt(5)
	v_xor_b32_e32 v51, v57, v84
	v_or_b32_sdwa v50, v50, v52 dst_sel:WORD_1 dst_unused:UNUSED_PAD src0_sel:BYTE_1 src1_sel:DWORD
	v_and_b32_e32 v52, 0xffffff00, v51
	v_or_b32_sdwa v50, v53, v50 dst_sel:DWORD dst_unused:UNUSED_PAD src0_sel:WORD_0 src1_sel:DWORD
	v_sub_i16 v52, v52, v73 clamp
	v_lshlrev_b16_e32 v53, 8, v51
	v_and_b32_e32 v52, 0xffffff00, v52
	v_sub_i16 v53, v53, v66 clamp
	v_or_b32_sdwa v52, v53, v52 dst_sel:DWORD dst_unused:UNUSED_PAD src0_sel:BYTE_1 src1_sel:DWORD
	v_and_b32_sdwa v53, v51, s31 dst_sel:DWORD dst_unused:UNUSED_PAD src0_sel:WORD_1 src1_sel:DWORD
	v_sub_i16 v53, v53, v74 clamp
	v_lshlrev_b16_sdwa v51, v41, v51 dst_sel:DWORD dst_unused:UNUSED_PAD src0_sel:DWORD src1_sel:WORD_1
	v_and_b32_e32 v53, 0xffffff00, v53
	v_sub_i16 v51, v51, v85 clamp
	v_or_b32_sdwa v51, v51, v53 dst_sel:WORD_1 dst_unused:UNUSED_PAD src0_sel:BYTE_1 src1_sel:DWORD
	v_dot4c_i32_i8_e32 v69, v50, v65
	v_or_b32_sdwa v51, v52, v51 dst_sel:DWORD dst_unused:UNUSED_PAD src0_sel:WORD_0 src1_sel:DWORD
	s_waitcnt vmcnt(4)
	v_xor_b32_e32 v52, v58, v89
	v_and_b32_e32 v53, 0xffffff00, v52
	v_lshl_or_b32 v50, v94, 16, v54
	v_sub_i16 v53, v53, v88 clamp
	v_lshlrev_b16_e32 v54, 8, v52
	v_and_b32_e32 v53, 0xffffff00, v53
	v_sub_i16 v54, v54, v90 clamp
	v_or_b32_sdwa v53, v54, v53 dst_sel:DWORD dst_unused:UNUSED_PAD src0_sel:BYTE_1 src1_sel:DWORD
	v_and_b32_sdwa v54, v52, s31 dst_sel:DWORD dst_unused:UNUSED_PAD src0_sel:WORD_1 src1_sel:DWORD
	v_sub_i16 v54, v54, v86 clamp
	v_lshlrev_b16_sdwa v52, v41, v52 dst_sel:DWORD dst_unused:UNUSED_PAD src0_sel:DWORD src1_sel:WORD_1
	v_and_b32_e32 v54, 0xffffff00, v54
	v_sub_i16 v52, v52, v91 clamp
	v_or_b32_sdwa v52, v52, v54 dst_sel:WORD_1 dst_unused:UNUSED_PAD src0_sel:BYTE_1 src1_sel:DWORD
	v_dot4c_i32_i8_e32 v61, v51, v59
	v_or_b32_sdwa v52, v53, v52 dst_sel:DWORD dst_unused:UNUSED_PAD src0_sel:WORD_0 src1_sel:DWORD
	v_dot4c_i32_i8_e32 v61, v52, v4
	v_bfe_u32 v4, v50, 14, 8
	v_bcnt_u32_b32 v50, v4, 0
	v_and_b32_e32 v50, 1, v50
	v_lshlrev_b32_e32 v50, 7, v50
	v_xor_b32_e32 v4, v50, v4
	v_mul_lo_u32 v4, v4, s30
	v_and_b32_e32 v50, 0x8000000, v4
	v_lshrrev_b32_e32 v51, 8, v4
	v_lshrrev_b16_e32 v52, 1, v51
	v_cmp_ne_u16_sdwa s[34:35], v50, v15 src0_sel:BYTE_3 src1_sel:DWORD
	v_bfe_i32 v52, v52, 0, 1
	v_lshrrev_b32_e32 v54, 18, v4
	v_cndmask_b32_e64 v50, 0, -1, s[34:35]
	v_lshlrev_b16_e32 v52, 8, v52
	v_bfe_i32 v54, v54, 0, 1
	v_lshlrev_b16_e32 v50, 8, v50
	v_or_b32_sdwa v53, v55, v52 dst_sel:DWORD dst_unused:UNUSED_PAD src0_sel:BYTE_0 src1_sel:DWORD
	v_or_b32_sdwa v55, v54, v50 dst_sel:WORD_1 dst_unused:UNUSED_PAD src0_sel:BYTE_0 src1_sel:DWORD
	v_lshlrev_b16_e32 v54, 8, v54
	v_or_b32_sdwa v53, v53, v55 dst_sel:DWORD dst_unused:UNUSED_PAD src0_sel:WORD_0 src1_sel:DWORD
	s_waitcnt vmcnt(3)
	v_xor_b32_e32 v53, v63, v53
	v_and_b32_e32 v55, 0xffffff00, v53
	v_sub_i16 v52, v55, v52 clamp
	v_lshlrev_b16_e32 v55, 8, v53
	v_and_b32_e32 v52, 0xffffff00, v52
	v_sub_i16 v55, v55, v67 clamp
	v_or_b32_sdwa v52, v55, v52 dst_sel:DWORD dst_unused:UNUSED_PAD src0_sel:BYTE_1 src1_sel:DWORD
	v_and_b32_sdwa v55, v53, s31 dst_sel:DWORD dst_unused:UNUSED_PAD src0_sel:WORD_1 src1_sel:DWORD
	v_sub_i16 v50, v55, v50 clamp
	v_lshlrev_b16_sdwa v53, v41, v53 dst_sel:DWORD dst_unused:UNUSED_PAD src0_sel:DWORD src1_sel:WORD_1
	v_and_b32_e32 v50, 0xffffff00, v50
	v_sub_i16 v53, v53, v54 clamp
	v_or_b32_sdwa v50, v53, v50 dst_sel:WORD_1 dst_unused:UNUSED_PAD src0_sel:BYTE_1 src1_sel:DWORD
	v_lshrrev_b16_e32 v51, 5, v51
	v_or_b32_sdwa v50, v52, v50 dst_sel:DWORD dst_unused:UNUSED_PAD src0_sel:WORD_0 src1_sel:DWORD
	v_and_b32_e32 v52, 0x80000000, v4
	v_cmp_ne_u16_sdwa s[34:35], v52, v15 src0_sel:BYTE_3 src1_sel:DWORD
	v_bfe_i32 v51, v51, 0, 1
	v_lshrrev_b32_e32 v4, 22, v4
	v_cndmask_b32_e64 v52, 0, -1, s[34:35]
	v_bfe_i32 v53, v94, 2, 1
	v_bfe_i32 v4, v4, 0, 1
	v_lshlrev_b16_e32 v52, 8, v52
	v_lshlrev_b16_e32 v51, 8, v51
	v_or_b32_sdwa v54, v4, v52 dst_sel:WORD_1 dst_unused:UNUSED_PAD src0_sel:BYTE_0 src1_sel:DWORD
	v_or_b32_sdwa v55, v53, v51 dst_sel:DWORD dst_unused:UNUSED_PAD src0_sel:BYTE_0 src1_sel:DWORD
	v_or_b32_sdwa v54, v55, v54 dst_sel:DWORD dst_unused:UNUSED_PAD src0_sel:WORD_0 src1_sel:DWORD
	s_waitcnt vmcnt(2)
	v_xor_b32_e32 v54, v64, v54
	v_and_b32_e32 v55, 0xffffff00, v54
	v_sub_i16 v51, v55, v51 clamp
	v_lshlrev_b16_e32 v55, 8, v54
	v_lshlrev_b16_e32 v53, 8, v53
	v_and_b32_e32 v51, 0xffffff00, v51
	v_sub_i16 v53, v55, v53 clamp
	v_or_b32_sdwa v51, v53, v51 dst_sel:DWORD dst_unused:UNUSED_PAD src0_sel:BYTE_1 src1_sel:DWORD
	v_and_b32_sdwa v53, v54, s31 dst_sel:DWORD dst_unused:UNUSED_PAD src0_sel:WORD_1 src1_sel:DWORD
	v_sub_i16 v52, v53, v52 clamp
	v_lshlrev_b16_sdwa v53, v41, v54 dst_sel:DWORD dst_unused:UNUSED_PAD src0_sel:DWORD src1_sel:WORD_1
	v_lshlrev_b16_e32 v4, 8, v4
	v_and_b32_e32 v52, 0xffffff00, v52
	v_sub_i16 v4, v53, v4 clamp
	v_or_b32_sdwa v4, v4, v52 dst_sel:WORD_1 dst_unused:UNUSED_PAD src0_sel:BYTE_1 src1_sel:DWORD
	v_dot4c_i32_i8_e32 v61, v50, v5
	v_or_b32_sdwa v4, v51, v4 dst_sel:DWORD dst_unused:UNUSED_PAD src0_sel:WORD_0 src1_sel:DWORD
	v_dot4c_i32_i8_e32 v61, v4, v6
	v_bfe_u32 v4, v94, 5, 8
	v_bcnt_u32_b32 v5, v4, 0
	v_and_b32_e32 v5, 1, v5
	v_lshlrev_b32_e32 v5, 7, v5
	v_xor_b32_e32 v4, v5, v4
	v_mul_lo_u32 v4, v4, s30
	v_and_b32_e32 v5, 0x8000000, v4
	v_lshrrev_b32_e32 v50, 8, v4
	v_lshrrev_b16_e32 v51, 1, v50
	v_cmp_ne_u16_sdwa s[34:35], v5, v15 src0_sel:BYTE_3 src1_sel:DWORD
	v_bfe_i32 v51, v51, 0, 1
	v_lshrrev_b32_e32 v52, 18, v4
	v_cndmask_b32_e64 v5, 0, -1, s[34:35]
	v_bfe_i32 v6, v94, 5, 1
	v_bfe_i32 v52, v52, 0, 1
	v_lshlrev_b16_e32 v5, 8, v5
	v_lshlrev_b16_e32 v51, 8, v51
	v_or_b32_sdwa v53, v52, v5 dst_sel:WORD_1 dst_unused:UNUSED_PAD src0_sel:BYTE_0 src1_sel:DWORD
	v_or_b32_sdwa v54, v6, v51 dst_sel:DWORD dst_unused:UNUSED_PAD src0_sel:BYTE_0 src1_sel:DWORD
	v_or_b32_sdwa v53, v54, v53 dst_sel:DWORD dst_unused:UNUSED_PAD src0_sel:WORD_0 src1_sel:DWORD
	s_waitcnt vmcnt(1)
	v_xor_b32_e32 v53, v72, v53
	v_and_b32_e32 v54, 0xffffff00, v53
	v_sub_i16 v51, v54, v51 clamp
	v_lshlrev_b16_e32 v54, 8, v53
	v_lshlrev_b16_e32 v6, 8, v6
	v_and_b32_e32 v51, 0xffffff00, v51
	v_sub_i16 v6, v54, v6 clamp
	v_or_b32_sdwa v6, v6, v51 dst_sel:DWORD dst_unused:UNUSED_PAD src0_sel:BYTE_1 src1_sel:DWORD
	v_and_b32_sdwa v51, v53, s31 dst_sel:DWORD dst_unused:UNUSED_PAD src0_sel:WORD_1 src1_sel:DWORD
	v_sub_i16 v5, v51, v5 clamp
	v_lshlrev_b16_sdwa v51, v41, v53 dst_sel:DWORD dst_unused:UNUSED_PAD src0_sel:DWORD src1_sel:WORD_1
	v_lshlrev_b16_e32 v52, 8, v52
	v_and_b32_e32 v5, 0xffffff00, v5
	v_sub_i16 v51, v51, v52 clamp
	v_or_b32_sdwa v5, v51, v5 dst_sel:WORD_1 dst_unused:UNUSED_PAD src0_sel:BYTE_1 src1_sel:DWORD
	v_lshrrev_b16_e32 v50, 5, v50
	v_or_b32_sdwa v5, v6, v5 dst_sel:DWORD dst_unused:UNUSED_PAD src0_sel:WORD_0 src1_sel:DWORD
	v_and_b32_e32 v6, 0x80000000, v4
	v_cmp_ne_u16_sdwa s[34:35], v6, v15 src0_sel:BYTE_3 src1_sel:DWORD
	v_bfe_i32 v50, v50, 0, 1
	v_lshrrev_b32_e32 v4, 22, v4
	v_cndmask_b32_e64 v6, 0, -1, s[34:35]
	v_bfe_i32 v51, v94, 9, 1
	v_bfe_i32 v4, v4, 0, 1
	v_lshlrev_b16_e32 v6, 8, v6
	v_lshlrev_b16_e32 v50, 8, v50
	v_or_b32_sdwa v52, v4, v6 dst_sel:WORD_1 dst_unused:UNUSED_PAD src0_sel:BYTE_0 src1_sel:DWORD
	v_or_b32_sdwa v53, v51, v50 dst_sel:DWORD dst_unused:UNUSED_PAD src0_sel:BYTE_0 src1_sel:DWORD
	v_or_b32_sdwa v52, v53, v52 dst_sel:DWORD dst_unused:UNUSED_PAD src0_sel:WORD_0 src1_sel:DWORD
	s_waitcnt vmcnt(0)
	v_xor_b32_e32 v52, v92, v52
	v_and_b32_e32 v53, 0xffffff00, v52
	v_sub_i16 v50, v53, v50 clamp
	v_lshlrev_b16_e32 v53, 8, v52
	v_lshlrev_b16_e32 v51, 8, v51
	v_and_b32_e32 v50, 0xffffff00, v50
	v_sub_i16 v51, v53, v51 clamp
	v_or_b32_sdwa v50, v51, v50 dst_sel:DWORD dst_unused:UNUSED_PAD src0_sel:BYTE_1 src1_sel:DWORD
	v_and_b32_sdwa v51, v52, s31 dst_sel:DWORD dst_unused:UNUSED_PAD src0_sel:WORD_1 src1_sel:DWORD
	v_sub_i16 v6, v51, v6 clamp
	v_lshlrev_b16_sdwa v51, v41, v52 dst_sel:DWORD dst_unused:UNUSED_PAD src0_sel:DWORD src1_sel:WORD_1
	v_lshlrev_b16_e32 v4, 8, v4
	v_and_b32_e32 v6, 0xffffff00, v6
	v_sub_i16 v4, v51, v4 clamp
	v_or_b32_sdwa v4, v4, v6 dst_sel:WORD_1 dst_unused:UNUSED_PAD src0_sel:BYTE_1 src1_sel:DWORD
	v_dot4c_i32_i8_e32 v61, v5, v7
	v_or_b32_sdwa v4, v50, v4 dst_sel:DWORD dst_unused:UNUSED_PAD src0_sel:WORD_0 src1_sel:DWORD
	v_dot4c_i32_i8_e32 v61, v4, v65
	v_lshrrev_b32_e32 v4, 31, v69
	v_add_u32_e32 v4, v69, v4
	v_lshrrev_b32_e32 v5, 12, v68
	v_ashrrev_i32_e32 v4, 1, v4
	v_lshrrev_b32_e32 v6, 31, v61
	v_add_u32_e32 v6, v61, v6
	v_mad_u64_u32 v[4:5], s[34:35], v69, v5, v[4:5]
	v_lshrrev_b32_e32 v7, 12, v94
	v_ashrrev_i32_e32 v6, 1, v6
	v_lshrrev_b32_e32 v5, 31, v4
	v_mad_u64_u32 v[6:7], s[34:35], v61, v7, v[6:7]
	v_add_u32_e32 v4, v4, v5
	v_ashrrev_i32_e32 v50, 1, v4
	v_lshrrev_b32_e32 v4, 31, v6
	v_add_u32_e32 v4, v6, v4
	v_ashrrev_i32_e32 v6, 1, v4
	v_cvt_f32_i32_e32 v7, v6
	v_cvt_f32_i32_e32 v6, v50
	v_pk_mul_f32 v[4:5], v[38:39], v[36:37] op_sel_hi:[0,1]
	v_pk_fma_f32 v[2:3], v[4:5], v[6:7], v[2:3]
	scratch_store_dwordx4 off, v[0:3], off
	s_nop 1
	v_add_u32_e32 v0, s11, v39
	v_mad_u64_u32 v[0:1], s[34:35], v0, 36, s[24:25]
	v_mad_u64_u32 v[50:51], s[34:35], v16, 36, v[0:1]
	global_load_dword v36, v[50:51], off offset:32
	global_load_dwordx4 v[0:3], v[50:51], off offset:16
	global_load_dwordx4 v[4:7], v[50:51], off
	global_load_ushort v38, v[32:33], off offset:2
	global_load_ushort v52, v[34:35], off offset:2
	;; [unrolled: 1-line block ×4, first 2 shown]
	s_nop 0
	global_load_ushort v50, v[24:25], off offset:64
	global_load_ushort v37, v[24:25], off offset:66
	s_waitcnt vmcnt(5)
	v_and_b32_sdwa v51, s23, v38 dst_sel:DWORD dst_unused:UNUSED_PAD src0_sel:DWORD src1_sel:BYTE_0
	v_lshlrev_b32_e32 v51, 2, v51
	global_load_dword v51, v51, s[20:21]
	v_lshlrev_b32_sdwa v38, v40, v38 dst_sel:DWORD dst_unused:UNUSED_PAD src0_sel:DWORD src1_sel:BYTE_1
	global_load_dword v56, v38, s[20:21]
	s_waitcnt vmcnt(3)
	v_and_b32_e32 v55, 0xffff, v50
	v_and_b32_e32 v38, 0xff, v55
	v_bcnt_u32_b32 v57, v38, 0
	v_and_b32_e32 v57, 1, v57
	v_lshlrev_b32_e32 v57, 7, v57
	v_xor_b32_e32 v38, v57, v38
	v_mul_lo_u32 v57, v38, s30
	v_and_b32_e32 v38, 0x8000000, v57
	v_lshrrev_b32_e32 v58, 8, v57
	v_lshrrev_b16_e32 v59, 1, v58
	v_cmp_ne_u16_sdwa s[34:35], v38, v15 src0_sel:BYTE_3 src1_sel:DWORD
	v_and_b32_e32 v50, 1, v50
	v_bfe_i32 v59, v59, 0, 1
	v_lshrrev_b32_e32 v60, 18, v57
	v_cndmask_b32_e64 v38, 0, -1, s[34:35]
	v_sub_u16_e32 v50, 0, v50
	v_bfe_i32 v60, v60, 0, 1
	v_lshlrev_b16_e32 v38, 8, v38
	v_lshlrev_b16_e32 v59, 8, v59
	v_or_b32_sdwa v61, v60, v38 dst_sel:WORD_1 dst_unused:UNUSED_PAD src0_sel:BYTE_0 src1_sel:DWORD
	v_or_b32_sdwa v62, v50, v59 dst_sel:DWORD dst_unused:UNUSED_PAD src0_sel:BYTE_0 src1_sel:DWORD
	v_or_b32_sdwa v61, v62, v61 dst_sel:DWORD dst_unused:UNUSED_PAD src0_sel:WORD_0 src1_sel:DWORD
	v_lshlrev_b16_e32 v50, 8, v50
	v_lshrrev_b16_e32 v58, 5, v58
	v_bfe_i32 v58, v58, 0, 1
	v_lshlrev_b16_e32 v58, 8, v58
	v_cvt_f32_f16_e32 v4, v4
	s_waitcnt vmcnt(1)
	v_xor_b32_e32 v51, v51, v61
	v_and_b32_e32 v61, 0xffffff00, v51
	v_sub_i16 v59, v61, v59 clamp
	v_lshlrev_b16_e32 v61, 8, v51
	v_and_b32_e32 v59, 0xffffff00, v59
	v_sub_i16 v50, v61, v50 clamp
	v_or_b32_sdwa v50, v50, v59 dst_sel:DWORD dst_unused:UNUSED_PAD src0_sel:BYTE_1 src1_sel:DWORD
	v_and_b32_sdwa v59, v51, s31 dst_sel:DWORD dst_unused:UNUSED_PAD src0_sel:WORD_1 src1_sel:DWORD
	v_sub_i16 v38, v59, v38 clamp
	v_lshlrev_b16_sdwa v51, v41, v51 dst_sel:DWORD dst_unused:UNUSED_PAD src0_sel:DWORD src1_sel:WORD_1
	v_lshlrev_b16_e32 v59, 8, v60
	v_and_b32_e32 v38, 0xffffff00, v38
	v_sub_i16 v51, v51, v59 clamp
	v_or_b32_sdwa v38, v51, v38 dst_sel:WORD_1 dst_unused:UNUSED_PAD src0_sel:BYTE_1 src1_sel:DWORD
	v_bfe_i32 v51, v55, 4, 1
	v_or_b32_sdwa v38, v50, v38 dst_sel:DWORD dst_unused:UNUSED_PAD src0_sel:WORD_0 src1_sel:DWORD
	v_and_b32_e32 v50, 0x80000000, v57
	v_cmp_ne_u16_sdwa s[34:35], v50, v15 src0_sel:BYTE_3 src1_sel:DWORD
	v_lshrrev_b32_e32 v57, 22, v57
	v_bfe_i32 v57, v57, 0, 1
	v_cndmask_b32_e64 v50, 0, -1, s[34:35]
	v_lshlrev_b16_e32 v50, 8, v50
	v_or_b32_sdwa v59, v57, v50 dst_sel:WORD_1 dst_unused:UNUSED_PAD src0_sel:BYTE_0 src1_sel:DWORD
	v_or_b32_sdwa v60, v51, v58 dst_sel:DWORD dst_unused:UNUSED_PAD src0_sel:BYTE_0 src1_sel:DWORD
	v_or_b32_sdwa v59, v60, v59 dst_sel:DWORD dst_unused:UNUSED_PAD src0_sel:WORD_0 src1_sel:DWORD
	s_waitcnt vmcnt(0)
	v_xor_b32_e32 v56, v56, v59
	v_and_b32_e32 v59, 0xffffff00, v56
	v_sub_i16 v58, v59, v58 clamp
	v_lshlrev_b16_e32 v59, 8, v56
	v_lshlrev_b16_e32 v51, 8, v51
	v_and_b32_e32 v58, 0xffffff00, v58
	v_sub_i16 v51, v59, v51 clamp
	v_or_b32_sdwa v51, v51, v58 dst_sel:DWORD dst_unused:UNUSED_PAD src0_sel:BYTE_1 src1_sel:DWORD
	v_and_b32_sdwa v58, v56, s31 dst_sel:DWORD dst_unused:UNUSED_PAD src0_sel:WORD_1 src1_sel:DWORD
	v_sub_i16 v50, v58, v50 clamp
	v_lshlrev_b16_sdwa v56, v41, v56 dst_sel:DWORD dst_unused:UNUSED_PAD src0_sel:DWORD src1_sel:WORD_1
	v_lshlrev_b16_e32 v57, 8, v57
	v_and_b32_e32 v50, 0xffffff00, v50
	v_sub_i16 v56, v56, v57 clamp
	v_or_b32_sdwa v50, v56, v50 dst_sel:WORD_1 dst_unused:UNUSED_PAD src0_sel:BYTE_1 src1_sel:DWORD
	v_and_b32_sdwa v56, s23, v52 dst_sel:DWORD dst_unused:UNUSED_PAD src0_sel:DWORD src1_sel:BYTE_0
	v_lshlrev_b32_e32 v56, 2, v56
	v_lshlrev_b32_sdwa v52, v40, v52 dst_sel:DWORD dst_unused:UNUSED_PAD src0_sel:DWORD src1_sel:BYTE_1
	global_load_dword v56, v56, s[20:21]
	v_bfe_i32 v58, v55, 7, 1
	global_load_dword v57, v52, s[20:21]
	v_and_b32_sdwa v52, s23, v53 dst_sel:DWORD dst_unused:UNUSED_PAD src0_sel:DWORD src1_sel:BYTE_0
	v_lshlrev_b32_e32 v52, 2, v52
	global_load_dword v59, v52, s[20:21]
	v_lshlrev_b32_sdwa v52, v40, v53 dst_sel:DWORD dst_unused:UNUSED_PAD src0_sel:DWORD src1_sel:BYTE_1
	global_load_dword v53, v52, s[20:21]
	v_and_b32_sdwa v52, s23, v54 dst_sel:DWORD dst_unused:UNUSED_PAD src0_sel:DWORD src1_sel:BYTE_0
	v_lshlrev_b32_e32 v52, 2, v52
	v_lshlrev_b32_sdwa v54, v40, v54 dst_sel:DWORD dst_unused:UNUSED_PAD src0_sel:DWORD src1_sel:BYTE_1
	global_load_dword v61, v52, s[20:21]
	global_load_dword v62, v54, s[20:21]
	s_nop 0
	global_load_ushort v52, v[10:11], off
	global_load_ushort v63, v[26:27], off offset:2
	global_load_ushort v64, v[28:29], off offset:2
	;; [unrolled: 1-line block ×5, first 2 shown]
	v_or_b32_sdwa v50, v51, v50 dst_sel:DWORD dst_unused:UNUSED_PAD src0_sel:WORD_0 src1_sel:DWORD
	v_mov_b32_e32 v51, 0
	v_dot4c_i32_i8_e32 v51, v38, v5
	v_dot4c_i32_i8_e32 v51, v50, v6
	v_bfe_i32 v60, v55, 14, 1
	global_load_ushort v68, v[30:31], off offset:66
	s_waitcnt vmcnt(5)
	v_and_b32_sdwa v69, s23, v63 dst_sel:DWORD dst_unused:UNUSED_PAD src0_sel:DWORD src1_sel:BYTE_0
	v_lshlrev_b32_e32 v69, 2, v69
	global_load_dword v69, v69, s[20:21]
	v_lshlrev_b32_sdwa v63, v40, v63 dst_sel:DWORD dst_unused:UNUSED_PAD src0_sel:DWORD src1_sel:BYTE_1
	global_load_dword v63, v63, s[20:21]
	s_waitcnt vmcnt(3)
	v_and_b32_e32 v54, 0xffff, v67
	v_and_b32_e32 v70, 0xff, v54
	v_bcnt_u32_b32 v71, v70, 0
	v_and_b32_e32 v71, 1, v71
	v_lshlrev_b32_e32 v71, 7, v71
	v_xor_b32_e32 v70, v71, v70
	v_mul_lo_u32 v70, v70, s30
	v_and_b32_e32 v71, 0x8000000, v70
	v_lshrrev_b32_e32 v72, 8, v70
	v_lshrrev_b16_e32 v73, 1, v72
	v_cmp_ne_u16_sdwa s[34:35], v71, v15 src0_sel:BYTE_3 src1_sel:DWORD
	v_and_b32_e32 v67, 1, v67
	v_bfe_i32 v73, v73, 0, 1
	v_lshrrev_b32_e32 v74, 18, v70
	v_cndmask_b32_e64 v71, 0, -1, s[34:35]
	v_sub_u16_e32 v67, 0, v67
	v_bfe_i32 v74, v74, 0, 1
	v_lshlrev_b16_e32 v71, 8, v71
	v_lshlrev_b16_e32 v73, 8, v73
	v_or_b32_sdwa v75, v74, v71 dst_sel:WORD_1 dst_unused:UNUSED_PAD src0_sel:BYTE_0 src1_sel:DWORD
	v_or_b32_sdwa v76, v67, v73 dst_sel:DWORD dst_unused:UNUSED_PAD src0_sel:BYTE_0 src1_sel:DWORD
	v_or_b32_sdwa v75, v76, v75 dst_sel:DWORD dst_unused:UNUSED_PAD src0_sel:WORD_0 src1_sel:DWORD
	v_lshlrev_b16_e32 v67, 8, v67
	v_lshrrev_b16_e32 v72, 5, v72
	v_bfe_i32 v72, v72, 0, 1
	v_lshlrev_b16_e32 v72, 8, v72
	s_waitcnt vmcnt(1)
	v_xor_b32_e32 v69, v69, v75
	v_and_b32_e32 v75, 0xffffff00, v69
	v_sub_i16 v73, v75, v73 clamp
	v_lshlrev_b16_e32 v75, 8, v69
	v_and_b32_e32 v73, 0xffffff00, v73
	v_sub_i16 v67, v75, v67 clamp
	v_bfe_u32 v75, v55, 7, 8
	v_or_b32_sdwa v67, v67, v73 dst_sel:DWORD dst_unused:UNUSED_PAD src0_sel:BYTE_1 src1_sel:DWORD
	v_and_b32_sdwa v73, v69, s31 dst_sel:DWORD dst_unused:UNUSED_PAD src0_sel:WORD_1 src1_sel:DWORD
	v_bcnt_u32_b32 v76, v75, 0
	v_sub_i16 v71, v73, v71 clamp
	v_lshlrev_b16_sdwa v69, v41, v69 dst_sel:DWORD dst_unused:UNUSED_PAD src0_sel:DWORD src1_sel:WORD_1
	v_lshlrev_b16_e32 v73, 8, v74
	v_and_b32_e32 v76, 1, v76
	v_and_b32_e32 v71, 0xffffff00, v71
	v_sub_i16 v69, v69, v73 clamp
	v_lshlrev_b32_e32 v76, 7, v76
	v_or_b32_sdwa v69, v69, v71 dst_sel:WORD_1 dst_unused:UNUSED_PAD src0_sel:BYTE_1 src1_sel:DWORD
	v_xor_b32_e32 v75, v76, v75
	v_or_b32_sdwa v67, v67, v69 dst_sel:DWORD dst_unused:UNUSED_PAD src0_sel:WORD_0 src1_sel:DWORD
	v_and_b32_e32 v69, 0x80000000, v70
	v_mul_lo_u32 v75, v75, s30
	v_cmp_ne_u16_sdwa s[34:35], v69, v15 src0_sel:BYTE_3 src1_sel:DWORD
	v_and_b32_e32 v76, 0x8000000, v75
	v_lshrrev_b32_e32 v77, 8, v75
	v_cndmask_b32_e64 v69, 0, -1, s[34:35]
	v_lshrrev_b16_e32 v78, 1, v77
	v_cmp_ne_u16_sdwa s[34:35], v76, v15 src0_sel:BYTE_3 src1_sel:DWORD
	v_bfe_i32 v78, v78, 0, 1
	v_lshrrev_b32_e32 v79, 18, v75
	v_cndmask_b32_e64 v76, 0, -1, s[34:35]
	v_lshrrev_b32_e32 v70, 22, v70
	v_bfe_i32 v79, v79, 0, 1
	v_lshlrev_b16_e32 v76, 8, v76
	v_lshlrev_b16_e32 v78, 8, v78
	v_bfe_i32 v71, v54, 4, 1
	v_bfe_i32 v70, v70, 0, 1
	v_lshlrev_b16_e32 v69, 8, v69
	v_or_b32_sdwa v80, v79, v76 dst_sel:WORD_1 dst_unused:UNUSED_PAD src0_sel:BYTE_0 src1_sel:DWORD
	v_or_b32_sdwa v81, v58, v78 dst_sel:DWORD dst_unused:UNUSED_PAD src0_sel:BYTE_0 src1_sel:DWORD
	v_or_b32_sdwa v73, v70, v69 dst_sel:WORD_1 dst_unused:UNUSED_PAD src0_sel:BYTE_0 src1_sel:DWORD
	v_or_b32_sdwa v74, v71, v72 dst_sel:DWORD dst_unused:UNUSED_PAD src0_sel:BYTE_0 src1_sel:DWORD
	v_or_b32_sdwa v80, v81, v80 dst_sel:DWORD dst_unused:UNUSED_PAD src0_sel:WORD_0 src1_sel:DWORD
	v_or_b32_sdwa v73, v74, v73 dst_sel:DWORD dst_unused:UNUSED_PAD src0_sel:WORD_0 src1_sel:DWORD
	v_xor_b32_e32 v56, v56, v80
	s_waitcnt vmcnt(0)
	v_xor_b32_e32 v63, v63, v73
	v_and_b32_e32 v80, 0xffffff00, v56
	v_and_b32_e32 v73, 0xffffff00, v63
	v_sub_i16 v78, v80, v78 clamp
	v_lshlrev_b16_e32 v80, 8, v56
	v_lshlrev_b16_e32 v58, 8, v58
	v_sub_i16 v72, v73, v72 clamp
	v_lshlrev_b16_e32 v73, 8, v63
	v_lshlrev_b16_e32 v71, 8, v71
	v_and_b32_e32 v78, 0xffffff00, v78
	v_sub_i16 v58, v80, v58 clamp
	v_and_b32_e32 v72, 0xffffff00, v72
	v_sub_i16 v71, v73, v71 clamp
	v_or_b32_sdwa v58, v58, v78 dst_sel:DWORD dst_unused:UNUSED_PAD src0_sel:BYTE_1 src1_sel:DWORD
	v_and_b32_sdwa v78, v56, s31 dst_sel:DWORD dst_unused:UNUSED_PAD src0_sel:WORD_1 src1_sel:DWORD
	v_or_b32_sdwa v71, v71, v72 dst_sel:DWORD dst_unused:UNUSED_PAD src0_sel:BYTE_1 src1_sel:DWORD
	v_and_b32_sdwa v72, v63, s31 dst_sel:DWORD dst_unused:UNUSED_PAD src0_sel:WORD_1 src1_sel:DWORD
	v_sub_i16 v76, v78, v76 clamp
	v_lshlrev_b16_sdwa v56, v41, v56 dst_sel:DWORD dst_unused:UNUSED_PAD src0_sel:DWORD src1_sel:WORD_1
	v_lshlrev_b16_e32 v78, 8, v79
	v_sub_i16 v69, v72, v69 clamp
	v_lshlrev_b16_sdwa v63, v41, v63 dst_sel:DWORD dst_unused:UNUSED_PAD src0_sel:DWORD src1_sel:WORD_1
	v_lshlrev_b16_e32 v70, 8, v70
	v_and_b32_e32 v76, 0xffffff00, v76
	v_sub_i16 v56, v56, v78 clamp
	v_and_b32_e32 v69, 0xffffff00, v69
	v_sub_i16 v63, v63, v70 clamp
	v_or_b32_sdwa v56, v56, v76 dst_sel:WORD_1 dst_unused:UNUSED_PAD src0_sel:BYTE_1 src1_sel:DWORD
	v_or_b32_sdwa v63, v63, v69 dst_sel:WORD_1 dst_unused:UNUSED_PAD src0_sel:BYTE_1 src1_sel:DWORD
	v_mov_b32_e32 v69, 0
	v_or_b32_sdwa v58, v58, v56 dst_sel:DWORD dst_unused:UNUSED_PAD src0_sel:WORD_0 src1_sel:DWORD
	v_and_b32_e32 v56, 0x80000000, v75
	v_or_b32_sdwa v63, v71, v63 dst_sel:DWORD dst_unused:UNUSED_PAD src0_sel:WORD_0 src1_sel:DWORD
	v_dot4c_i32_i8_e32 v69, v67, v5
	v_and_b32_sdwa v5, s23, v64 dst_sel:DWORD dst_unused:UNUSED_PAD src0_sel:DWORD src1_sel:BYTE_0
	v_and_b32_sdwa v70, s23, v65 dst_sel:DWORD dst_unused:UNUSED_PAD src0_sel:DWORD src1_sel:BYTE_0
	;; [unrolled: 1-line block ×3, first 2 shown]
	v_lshrrev_b16_e32 v76, 5, v77
	v_cmp_ne_u16_sdwa s[34:35], v56, v15 src0_sel:BYTE_3 src1_sel:DWORD
	v_dot4c_i32_i8_e32 v69, v63, v6
	v_lshlrev_b32_e32 v5, 2, v5
	v_lshlrev_b32_sdwa v6, v40, v64 dst_sel:DWORD dst_unused:UNUSED_PAD src0_sel:DWORD src1_sel:BYTE_1
	v_lshlrev_b32_e32 v70, 2, v70
	v_lshlrev_b32_sdwa v65, v40, v65 dst_sel:DWORD dst_unused:UNUSED_PAD src0_sel:DWORD src1_sel:BYTE_1
	;; [unrolled: 2-line block ×3, first 2 shown]
	v_bfe_i32 v76, v76, 0, 1
	v_lshrrev_b32_e32 v75, 22, v75
	v_cndmask_b32_e64 v56, 0, -1, s[34:35]
	global_load_dword v5, v5, s[20:21]
	v_bfe_i32 v75, v75, 0, 1
	global_load_dword v6, v6, s[20:21]
	v_lshlrev_b16_e32 v56, 8, v56
	global_load_dword v70, v70, s[20:21]
	v_lshlrev_b16_e32 v76, 8, v76
	global_load_dword v72, v72, s[20:21]
	v_or_b32_sdwa v77, v75, v56 dst_sel:WORD_1 dst_unused:UNUSED_PAD src0_sel:BYTE_0 src1_sel:DWORD
	global_load_dword v65, v65, s[20:21]
	s_nop 0
	global_load_dword v73, v66, s[20:21]
	global_load_ushort v74, v[8:9], off
	v_lshl_or_b32 v66, v37, 16, v55
	v_bfe_i32 v55, v55, 11, 1
	v_or_b32_sdwa v78, v55, v76 dst_sel:DWORD dst_unused:UNUSED_PAD src0_sel:BYTE_0 src1_sel:DWORD
	v_or_b32_sdwa v77, v78, v77 dst_sel:DWORD dst_unused:UNUSED_PAD src0_sel:WORD_0 src1_sel:DWORD
	v_xor_b32_e32 v57, v57, v77
	v_and_b32_e32 v77, 0xffffff00, v57
	v_sub_i16 v76, v77, v76 clamp
	v_lshlrev_b16_e32 v77, 8, v57
	v_lshlrev_b16_e32 v55, 8, v55
	v_and_b32_e32 v76, 0xffffff00, v76
	v_sub_i16 v55, v77, v55 clamp
	v_or_b32_sdwa v55, v55, v76 dst_sel:DWORD dst_unused:UNUSED_PAD src0_sel:BYTE_1 src1_sel:DWORD
	v_and_b32_sdwa v76, v57, s31 dst_sel:DWORD dst_unused:UNUSED_PAD src0_sel:WORD_1 src1_sel:DWORD
	v_sub_i16 v56, v76, v56 clamp
	v_lshlrev_b16_sdwa v57, v41, v57 dst_sel:DWORD dst_unused:UNUSED_PAD src0_sel:DWORD src1_sel:WORD_1
	v_lshlrev_b16_e32 v75, 8, v75
	v_and_b32_e32 v56, 0xffffff00, v56
	v_sub_i16 v57, v57, v75 clamp
	v_or_b32_sdwa v56, v57, v56 dst_sel:WORD_1 dst_unused:UNUSED_PAD src0_sel:BYTE_1 src1_sel:DWORD
	v_bfe_i32 v64, v54, 7, 1
	v_or_b32_sdwa v75, v55, v56 dst_sel:DWORD dst_unused:UNUSED_PAD src0_sel:WORD_0 src1_sel:DWORD
	v_bfe_u32 v55, v66, 14, 8
	v_bcnt_u32_b32 v56, v55, 0
	v_and_b32_e32 v56, 1, v56
	v_lshlrev_b32_e32 v56, 7, v56
	v_xor_b32_e32 v55, v56, v55
	v_mul_lo_u32 v55, v55, s30
	v_and_b32_e32 v56, 0x8000000, v55
	v_lshrrev_b32_e32 v57, 8, v55
	v_lshrrev_b16_e32 v66, 1, v57
	v_cmp_ne_u16_sdwa s[34:35], v56, v15 src0_sel:BYTE_3 src1_sel:DWORD
	v_bfe_i32 v66, v66, 0, 1
	v_lshrrev_b32_e32 v76, 18, v55
	v_cndmask_b32_e64 v56, 0, -1, s[34:35]
	v_bfe_i32 v76, v76, 0, 1
	v_lshlrev_b16_e32 v56, 8, v56
	v_lshlrev_b16_e32 v66, 8, v66
	v_or_b32_sdwa v77, v76, v56 dst_sel:WORD_1 dst_unused:UNUSED_PAD src0_sel:BYTE_0 src1_sel:DWORD
	v_or_b32_sdwa v78, v60, v66 dst_sel:DWORD dst_unused:UNUSED_PAD src0_sel:BYTE_0 src1_sel:DWORD
	v_or_b32_sdwa v77, v78, v77 dst_sel:DWORD dst_unused:UNUSED_PAD src0_sel:WORD_0 src1_sel:DWORD
	v_xor_b32_e32 v59, v59, v77
	v_and_b32_e32 v77, 0xffffff00, v59
	v_sub_i16 v66, v77, v66 clamp
	v_lshlrev_b16_e32 v77, 8, v59
	v_lshlrev_b16_e32 v60, 8, v60
	v_and_b32_e32 v66, 0xffffff00, v66
	v_sub_i16 v60, v77, v60 clamp
	v_or_b32_sdwa v60, v60, v66 dst_sel:DWORD dst_unused:UNUSED_PAD src0_sel:BYTE_1 src1_sel:DWORD
	v_and_b32_sdwa v66, v59, s31 dst_sel:DWORD dst_unused:UNUSED_PAD src0_sel:WORD_1 src1_sel:DWORD
	v_sub_i16 v56, v66, v56 clamp
	v_lshlrev_b16_sdwa v59, v41, v59 dst_sel:DWORD dst_unused:UNUSED_PAD src0_sel:DWORD src1_sel:WORD_1
	v_lshlrev_b16_e32 v66, 8, v76
	v_and_b32_e32 v56, 0xffffff00, v56
	v_sub_i16 v59, v59, v66 clamp
	v_or_b32_sdwa v56, v59, v56 dst_sel:WORD_1 dst_unused:UNUSED_PAD src0_sel:BYTE_1 src1_sel:DWORD
	v_lshrrev_b16_e32 v57, 5, v57
	v_or_b32_sdwa v59, v60, v56 dst_sel:DWORD dst_unused:UNUSED_PAD src0_sel:WORD_0 src1_sel:DWORD
	v_and_b32_e32 v56, 0x80000000, v55
	v_cmp_ne_u16_sdwa s[34:35], v56, v15 src0_sel:BYTE_3 src1_sel:DWORD
	v_bfe_i32 v57, v57, 0, 1
	v_lshrrev_b32_e32 v55, 22, v55
	v_cndmask_b32_e64 v56, 0, -1, s[34:35]
	v_bfe_i32 v60, v37, 2, 1
	v_bfe_i32 v55, v55, 0, 1
	v_lshlrev_b16_e32 v56, 8, v56
	v_lshlrev_b16_e32 v57, 8, v57
	v_or_b32_sdwa v66, v55, v56 dst_sel:WORD_1 dst_unused:UNUSED_PAD src0_sel:BYTE_0 src1_sel:DWORD
	v_or_b32_sdwa v76, v60, v57 dst_sel:DWORD dst_unused:UNUSED_PAD src0_sel:BYTE_0 src1_sel:DWORD
	v_or_b32_sdwa v66, v76, v66 dst_sel:DWORD dst_unused:UNUSED_PAD src0_sel:WORD_0 src1_sel:DWORD
	v_xor_b32_e32 v53, v53, v66
	v_and_b32_e32 v66, 0xffffff00, v53
	v_sub_i16 v57, v66, v57 clamp
	v_lshlrev_b16_e32 v66, 8, v53
	v_lshlrev_b16_e32 v60, 8, v60
	v_and_b32_e32 v57, 0xffffff00, v57
	v_sub_i16 v60, v66, v60 clamp
	v_or_b32_sdwa v57, v60, v57 dst_sel:DWORD dst_unused:UNUSED_PAD src0_sel:BYTE_1 src1_sel:DWORD
	v_and_b32_sdwa v60, v53, s31 dst_sel:DWORD dst_unused:UNUSED_PAD src0_sel:WORD_1 src1_sel:DWORD
	v_sub_i16 v56, v60, v56 clamp
	v_lshlrev_b16_sdwa v53, v41, v53 dst_sel:DWORD dst_unused:UNUSED_PAD src0_sel:DWORD src1_sel:WORD_1
	v_lshlrev_b16_e32 v55, 8, v55
	v_and_b32_e32 v56, 0xffffff00, v56
	v_sub_i16 v53, v53, v55 clamp
	v_or_b32_sdwa v53, v53, v56 dst_sel:WORD_1 dst_unused:UNUSED_PAD src0_sel:BYTE_1 src1_sel:DWORD
	v_bfe_i32 v56, v37, 5, 1
	v_or_b32_sdwa v60, v57, v53 dst_sel:DWORD dst_unused:UNUSED_PAD src0_sel:WORD_0 src1_sel:DWORD
	v_bfe_u32 v53, v37, 5, 8
	v_bcnt_u32_b32 v55, v53, 0
	v_and_b32_e32 v55, 1, v55
	v_lshlrev_b32_e32 v55, 7, v55
	v_xor_b32_e32 v53, v55, v53
	v_mul_lo_u32 v53, v53, s30
	v_and_b32_e32 v55, 0x8000000, v53
	v_lshrrev_b32_e32 v57, 8, v53
	v_lshrrev_b16_e32 v66, 1, v57
	v_cmp_ne_u16_sdwa s[34:35], v55, v15 src0_sel:BYTE_3 src1_sel:DWORD
	v_bfe_i32 v66, v66, 0, 1
	v_lshrrev_b32_e32 v76, 18, v53
	v_cndmask_b32_e64 v55, 0, -1, s[34:35]
	v_bfe_i32 v76, v76, 0, 1
	v_lshlrev_b16_e32 v55, 8, v55
	v_lshlrev_b16_e32 v66, 8, v66
	v_or_b32_sdwa v77, v76, v55 dst_sel:WORD_1 dst_unused:UNUSED_PAD src0_sel:BYTE_0 src1_sel:DWORD
	v_or_b32_sdwa v78, v56, v66 dst_sel:DWORD dst_unused:UNUSED_PAD src0_sel:BYTE_0 src1_sel:DWORD
	v_or_b32_sdwa v77, v78, v77 dst_sel:DWORD dst_unused:UNUSED_PAD src0_sel:WORD_0 src1_sel:DWORD
	v_xor_b32_e32 v61, v61, v77
	v_and_b32_e32 v77, 0xffffff00, v61
	v_sub_i16 v66, v77, v66 clamp
	v_lshlrev_b16_e32 v77, 8, v61
	v_lshlrev_b16_e32 v56, 8, v56
	v_and_b32_e32 v66, 0xffffff00, v66
	v_sub_i16 v56, v77, v56 clamp
	v_or_b32_sdwa v56, v56, v66 dst_sel:DWORD dst_unused:UNUSED_PAD src0_sel:BYTE_1 src1_sel:DWORD
	v_and_b32_sdwa v66, v61, s31 dst_sel:DWORD dst_unused:UNUSED_PAD src0_sel:WORD_1 src1_sel:DWORD
	v_sub_i16 v55, v66, v55 clamp
	v_lshlrev_b16_sdwa v61, v41, v61 dst_sel:DWORD dst_unused:UNUSED_PAD src0_sel:DWORD src1_sel:WORD_1
	v_lshlrev_b16_e32 v66, 8, v76
	v_and_b32_e32 v55, 0xffffff00, v55
	v_sub_i16 v61, v61, v66 clamp
	v_or_b32_sdwa v55, v61, v55 dst_sel:WORD_1 dst_unused:UNUSED_PAD src0_sel:BYTE_1 src1_sel:DWORD
	v_lshrrev_b16_e32 v57, 5, v57
	v_or_b32_sdwa v61, v56, v55 dst_sel:DWORD dst_unused:UNUSED_PAD src0_sel:WORD_0 src1_sel:DWORD
	v_and_b32_e32 v55, 0x80000000, v53
	v_cmp_ne_u16_sdwa s[34:35], v55, v15 src0_sel:BYTE_3 src1_sel:DWORD
	v_bfe_i32 v57, v57, 0, 1
	v_lshrrev_b32_e32 v53, 22, v53
	v_cndmask_b32_e64 v55, 0, -1, s[34:35]
	v_bfe_i32 v56, v37, 9, 1
	v_bfe_i32 v53, v53, 0, 1
	v_lshlrev_b16_e32 v55, 8, v55
	v_lshlrev_b16_e32 v57, 8, v57
	v_or_b32_sdwa v66, v53, v55 dst_sel:WORD_1 dst_unused:UNUSED_PAD src0_sel:BYTE_0 src1_sel:DWORD
	v_or_b32_sdwa v76, v56, v57 dst_sel:DWORD dst_unused:UNUSED_PAD src0_sel:BYTE_0 src1_sel:DWORD
	v_or_b32_sdwa v66, v76, v66 dst_sel:DWORD dst_unused:UNUSED_PAD src0_sel:WORD_0 src1_sel:DWORD
	v_xor_b32_e32 v62, v62, v66
	v_and_b32_e32 v66, 0xffffff00, v62
	v_sub_i16 v57, v66, v57 clamp
	v_lshlrev_b16_e32 v66, 8, v62
	v_lshlrev_b16_e32 v56, 8, v56
	v_and_b32_e32 v57, 0xffffff00, v57
	v_sub_i16 v56, v66, v56 clamp
	v_or_b32_sdwa v56, v56, v57 dst_sel:DWORD dst_unused:UNUSED_PAD src0_sel:BYTE_1 src1_sel:DWORD
	v_and_b32_sdwa v57, v62, s31 dst_sel:DWORD dst_unused:UNUSED_PAD src0_sel:WORD_1 src1_sel:DWORD
	v_sub_i16 v55, v57, v55 clamp
	v_lshlrev_b16_sdwa v57, v41, v62 dst_sel:DWORD dst_unused:UNUSED_PAD src0_sel:DWORD src1_sel:WORD_1
	v_lshlrev_b16_e32 v53, 8, v53
	v_and_b32_e32 v55, 0xffffff00, v55
	v_sub_i16 v53, v57, v53 clamp
	v_or_b32_sdwa v53, v53, v55 dst_sel:WORD_1 dst_unused:UNUSED_PAD src0_sel:BYTE_1 src1_sel:DWORD
	v_bfe_u32 v55, v54, 7, 8
	v_or_b32_sdwa v62, v56, v53 dst_sel:DWORD dst_unused:UNUSED_PAD src0_sel:WORD_0 src1_sel:DWORD
	v_bcnt_u32_b32 v56, v55, 0
	v_and_b32_e32 v56, 1, v56
	v_lshlrev_b32_e32 v56, 7, v56
	v_xor_b32_e32 v55, v56, v55
	v_mul_lo_u32 v55, v55, s30
	v_and_b32_e32 v56, 0x8000000, v55
	v_lshrrev_b32_e32 v57, 8, v55
	v_lshrrev_b16_e32 v66, 1, v57
	v_cmp_ne_u16_sdwa s[34:35], v56, v15 src0_sel:BYTE_3 src1_sel:DWORD
	v_bfe_i32 v66, v66, 0, 1
	v_lshrrev_b32_e32 v76, 18, v55
	v_cndmask_b32_e64 v56, 0, -1, s[34:35]
	v_bfe_i32 v76, v76, 0, 1
	v_lshlrev_b16_e32 v56, 8, v56
	v_lshlrev_b16_e32 v66, 8, v66
	v_or_b32_sdwa v77, v76, v56 dst_sel:WORD_1 dst_unused:UNUSED_PAD src0_sel:BYTE_0 src1_sel:DWORD
	v_or_b32_sdwa v78, v64, v66 dst_sel:DWORD dst_unused:UNUSED_PAD src0_sel:BYTE_0 src1_sel:DWORD
	v_or_b32_sdwa v77, v78, v77 dst_sel:DWORD dst_unused:UNUSED_PAD src0_sel:WORD_0 src1_sel:DWORD
	s_waitcnt vmcnt(6)
	v_xor_b32_e32 v5, v5, v77
	v_and_b32_e32 v77, 0xffffff00, v5
	v_sub_i16 v66, v77, v66 clamp
	v_lshlrev_b16_e32 v77, 8, v5
	v_lshlrev_b16_e32 v64, 8, v64
	v_and_b32_e32 v66, 0xffffff00, v66
	v_sub_i16 v64, v77, v64 clamp
	v_or_b32_sdwa v64, v64, v66 dst_sel:DWORD dst_unused:UNUSED_PAD src0_sel:BYTE_1 src1_sel:DWORD
	v_and_b32_sdwa v66, v5, s31 dst_sel:DWORD dst_unused:UNUSED_PAD src0_sel:WORD_1 src1_sel:DWORD
	v_sub_i16 v56, v66, v56 clamp
	v_lshlrev_b16_sdwa v5, v41, v5 dst_sel:DWORD dst_unused:UNUSED_PAD src0_sel:DWORD src1_sel:WORD_1
	v_lshlrev_b16_e32 v66, 8, v76
	v_and_b32_e32 v56, 0xffffff00, v56
	v_sub_i16 v5, v5, v66 clamp
	v_or_b32_sdwa v5, v5, v56 dst_sel:WORD_1 dst_unused:UNUSED_PAD src0_sel:BYTE_1 src1_sel:DWORD
	v_lshrrev_b16_e32 v56, 5, v57
	v_or_b32_sdwa v64, v64, v5 dst_sel:DWORD dst_unused:UNUSED_PAD src0_sel:WORD_0 src1_sel:DWORD
	v_and_b32_e32 v5, 0x80000000, v55
	v_cmp_ne_u16_sdwa s[34:35], v5, v15 src0_sel:BYTE_3 src1_sel:DWORD
	v_bfe_i32 v56, v56, 0, 1
	v_lshrrev_b32_e32 v55, 22, v55
	v_cndmask_b32_e64 v5, 0, -1, s[34:35]
	v_bfe_i32 v71, v54, 14, 1
	v_lshl_or_b32 v53, v68, 16, v54
	v_bfe_i32 v54, v54, 11, 1
	v_bfe_i32 v55, v55, 0, 1
	v_lshlrev_b16_e32 v5, 8, v5
	v_lshlrev_b16_e32 v56, 8, v56
	v_or_b32_sdwa v57, v55, v5 dst_sel:WORD_1 dst_unused:UNUSED_PAD src0_sel:BYTE_0 src1_sel:DWORD
	v_or_b32_sdwa v66, v54, v56 dst_sel:DWORD dst_unused:UNUSED_PAD src0_sel:BYTE_0 src1_sel:DWORD
	v_or_b32_sdwa v57, v66, v57 dst_sel:DWORD dst_unused:UNUSED_PAD src0_sel:WORD_0 src1_sel:DWORD
	s_waitcnt vmcnt(5)
	v_xor_b32_e32 v6, v6, v57
	v_and_b32_e32 v57, 0xffffff00, v6
	v_sub_i16 v56, v57, v56 clamp
	v_lshlrev_b16_e32 v57, 8, v6
	v_lshlrev_b16_e32 v54, 8, v54
	v_and_b32_e32 v56, 0xffffff00, v56
	v_sub_i16 v54, v57, v54 clamp
	v_or_b32_sdwa v54, v54, v56 dst_sel:DWORD dst_unused:UNUSED_PAD src0_sel:BYTE_1 src1_sel:DWORD
	v_and_b32_sdwa v56, v6, s31 dst_sel:DWORD dst_unused:UNUSED_PAD src0_sel:WORD_1 src1_sel:DWORD
	v_sub_i16 v5, v56, v5 clamp
	v_lshlrev_b16_sdwa v6, v41, v6 dst_sel:DWORD dst_unused:UNUSED_PAD src0_sel:DWORD src1_sel:WORD_1
	v_lshlrev_b16_e32 v55, 8, v55
	v_and_b32_e32 v5, 0xffffff00, v5
	v_sub_i16 v6, v6, v55 clamp
	v_or_b32_sdwa v5, v6, v5 dst_sel:WORD_1 dst_unused:UNUSED_PAD src0_sel:BYTE_1 src1_sel:DWORD
	v_dot4c_i32_i8_e32 v51, v58, v7
	v_or_b32_sdwa v66, v54, v5 dst_sel:DWORD dst_unused:UNUSED_PAD src0_sel:WORD_0 src1_sel:DWORD
	v_dot4c_i32_i8_e32 v69, v64, v7
	v_dot4c_i32_i8_e32 v51, v75, v0
	;; [unrolled: 1-line block ×3, first 2 shown]
	v_bfe_u32 v0, v53, 14, 8
	v_bcnt_u32_b32 v5, v0, 0
	v_and_b32_e32 v5, 1, v5
	v_lshlrev_b32_e32 v5, 7, v5
	v_xor_b32_e32 v0, v5, v0
	v_mul_lo_u32 v0, v0, s30
	v_and_b32_e32 v5, 0x8000000, v0
	v_lshrrev_b32_e32 v6, 8, v0
	v_lshrrev_b16_e32 v7, 1, v6
	v_cmp_ne_u16_sdwa s[34:35], v5, v15 src0_sel:BYTE_3 src1_sel:DWORD
	v_bfe_i32 v7, v7, 0, 1
	v_lshrrev_b32_e32 v53, 18, v0
	v_cndmask_b32_e64 v5, 0, -1, s[34:35]
	v_bfe_i32 v53, v53, 0, 1
	v_lshlrev_b16_e32 v5, 8, v5
	v_lshlrev_b16_e32 v7, 8, v7
	v_or_b32_sdwa v54, v53, v5 dst_sel:WORD_1 dst_unused:UNUSED_PAD src0_sel:BYTE_0 src1_sel:DWORD
	v_or_b32_sdwa v55, v71, v7 dst_sel:DWORD dst_unused:UNUSED_PAD src0_sel:BYTE_0 src1_sel:DWORD
	v_or_b32_sdwa v54, v55, v54 dst_sel:DWORD dst_unused:UNUSED_PAD src0_sel:WORD_0 src1_sel:DWORD
	s_waitcnt vmcnt(4)
	v_xor_b32_e32 v54, v70, v54
	v_and_b32_e32 v55, 0xffffff00, v54
	v_sub_i16 v7, v55, v7 clamp
	v_lshlrev_b16_e32 v55, 8, v54
	v_lshlrev_b16_e32 v56, 8, v71
	v_and_b32_e32 v7, 0xffffff00, v7
	v_sub_i16 v55, v55, v56 clamp
	v_or_b32_sdwa v7, v55, v7 dst_sel:DWORD dst_unused:UNUSED_PAD src0_sel:BYTE_1 src1_sel:DWORD
	v_and_b32_sdwa v55, v54, s31 dst_sel:DWORD dst_unused:UNUSED_PAD src0_sel:WORD_1 src1_sel:DWORD
	v_sub_i16 v5, v55, v5 clamp
	v_lshlrev_b16_sdwa v54, v41, v54 dst_sel:DWORD dst_unused:UNUSED_PAD src0_sel:DWORD src1_sel:WORD_1
	v_lshlrev_b16_e32 v53, 8, v53
	v_and_b32_e32 v5, 0xffffff00, v5
	v_sub_i16 v53, v54, v53 clamp
	v_or_b32_sdwa v5, v53, v5 dst_sel:WORD_1 dst_unused:UNUSED_PAD src0_sel:BYTE_1 src1_sel:DWORD
	v_lshrrev_b16_e32 v6, 5, v6
	v_or_b32_sdwa v70, v7, v5 dst_sel:DWORD dst_unused:UNUSED_PAD src0_sel:WORD_0 src1_sel:DWORD
	v_and_b32_e32 v5, 0x80000000, v0
	v_cmp_ne_u16_sdwa s[34:35], v5, v15 src0_sel:BYTE_3 src1_sel:DWORD
	v_bfe_i32 v6, v6, 0, 1
	v_lshrrev_b32_e32 v0, 22, v0
	v_cndmask_b32_e64 v5, 0, -1, s[34:35]
	v_bfe_i32 v7, v68, 2, 1
	v_bfe_i32 v0, v0, 0, 1
	v_lshlrev_b16_e32 v5, 8, v5
	v_lshlrev_b16_e32 v6, 8, v6
	v_or_b32_sdwa v53, v0, v5 dst_sel:WORD_1 dst_unused:UNUSED_PAD src0_sel:BYTE_0 src1_sel:DWORD
	v_or_b32_sdwa v54, v7, v6 dst_sel:DWORD dst_unused:UNUSED_PAD src0_sel:BYTE_0 src1_sel:DWORD
	v_or_b32_sdwa v53, v54, v53 dst_sel:DWORD dst_unused:UNUSED_PAD src0_sel:WORD_0 src1_sel:DWORD
	s_waitcnt vmcnt(2)
	v_xor_b32_e32 v53, v65, v53
	v_and_b32_e32 v54, 0xffffff00, v53
	v_sub_i16 v6, v54, v6 clamp
	v_lshlrev_b16_e32 v54, 8, v53
	v_lshlrev_b16_e32 v7, 8, v7
	v_and_b32_e32 v6, 0xffffff00, v6
	v_sub_i16 v7, v54, v7 clamp
	v_or_b32_sdwa v6, v7, v6 dst_sel:DWORD dst_unused:UNUSED_PAD src0_sel:BYTE_1 src1_sel:DWORD
	v_and_b32_sdwa v7, v53, s31 dst_sel:DWORD dst_unused:UNUSED_PAD src0_sel:WORD_1 src1_sel:DWORD
	v_sub_i16 v5, v7, v5 clamp
	v_lshlrev_b16_sdwa v7, v41, v53 dst_sel:DWORD dst_unused:UNUSED_PAD src0_sel:DWORD src1_sel:WORD_1
	v_lshlrev_b16_e32 v0, 8, v0
	v_and_b32_e32 v5, 0xffffff00, v5
	v_sub_i16 v0, v7, v0 clamp
	v_or_b32_sdwa v0, v0, v5 dst_sel:WORD_1 dst_unused:UNUSED_PAD src0_sel:BYTE_1 src1_sel:DWORD
	v_dot4c_i32_i8_e32 v51, v59, v1
	v_or_b32_sdwa v65, v6, v0 dst_sel:DWORD dst_unused:UNUSED_PAD src0_sel:WORD_0 src1_sel:DWORD
	v_bfe_u32 v0, v68, 5, 8
	v_dot4c_i32_i8_e32 v69, v70, v1
	v_bcnt_u32_b32 v1, v0, 0
	v_and_b32_e32 v1, 1, v1
	v_lshlrev_b32_e32 v1, 7, v1
	v_xor_b32_e32 v0, v1, v0
	v_mul_lo_u32 v0, v0, s30
	v_and_b32_e32 v1, 0x8000000, v0
	v_lshrrev_b32_e32 v5, 8, v0
	v_lshrrev_b16_e32 v6, 1, v5
	v_cmp_ne_u16_sdwa s[34:35], v1, v15 src0_sel:BYTE_3 src1_sel:DWORD
	v_bfe_i32 v6, v6, 0, 1
	v_lshrrev_b32_e32 v7, 18, v0
	v_cndmask_b32_e64 v1, 0, -1, s[34:35]
	v_dot4c_i32_i8_e32 v51, v60, v2
	v_dot4c_i32_i8_e32 v69, v65, v2
	v_bfe_i32 v2, v68, 5, 1
	v_bfe_i32 v7, v7, 0, 1
	v_lshlrev_b16_e32 v1, 8, v1
	v_lshlrev_b16_e32 v6, 8, v6
	v_or_b32_sdwa v53, v7, v1 dst_sel:WORD_1 dst_unused:UNUSED_PAD src0_sel:BYTE_0 src1_sel:DWORD
	v_or_b32_sdwa v54, v2, v6 dst_sel:DWORD dst_unused:UNUSED_PAD src0_sel:BYTE_0 src1_sel:DWORD
	v_or_b32_sdwa v53, v54, v53 dst_sel:DWORD dst_unused:UNUSED_PAD src0_sel:WORD_0 src1_sel:DWORD
	v_xor_b32_e32 v53, v72, v53
	v_and_b32_e32 v54, 0xffffff00, v53
	v_sub_i16 v6, v54, v6 clamp
	v_lshlrev_b16_e32 v54, 8, v53
	v_lshlrev_b16_e32 v2, 8, v2
	v_and_b32_e32 v6, 0xffffff00, v6
	v_sub_i16 v2, v54, v2 clamp
	v_or_b32_sdwa v2, v2, v6 dst_sel:DWORD dst_unused:UNUSED_PAD src0_sel:BYTE_1 src1_sel:DWORD
	v_and_b32_sdwa v6, v53, s31 dst_sel:DWORD dst_unused:UNUSED_PAD src0_sel:WORD_1 src1_sel:DWORD
	v_sub_i16 v1, v6, v1 clamp
	v_lshlrev_b16_sdwa v6, v41, v53 dst_sel:DWORD dst_unused:UNUSED_PAD src0_sel:DWORD src1_sel:WORD_1
	v_lshlrev_b16_e32 v7, 8, v7
	v_and_b32_e32 v1, 0xffffff00, v1
	v_sub_i16 v6, v6, v7 clamp
	v_or_b32_sdwa v1, v6, v1 dst_sel:WORD_1 dst_unused:UNUSED_PAD src0_sel:BYTE_1 src1_sel:DWORD
	v_lshrrev_b16_e32 v5, 5, v5
	v_or_b32_sdwa v71, v2, v1 dst_sel:DWORD dst_unused:UNUSED_PAD src0_sel:WORD_0 src1_sel:DWORD
	v_and_b32_e32 v1, 0x80000000, v0
	v_cmp_ne_u16_sdwa s[34:35], v1, v15 src0_sel:BYTE_3 src1_sel:DWORD
	v_bfe_i32 v5, v5, 0, 1
	v_lshrrev_b32_e32 v0, 22, v0
	v_cndmask_b32_e64 v1, 0, -1, s[34:35]
	v_bfe_i32 v2, v68, 9, 1
	v_bfe_i32 v0, v0, 0, 1
	v_lshlrev_b16_e32 v1, 8, v1
	v_lshlrev_b16_e32 v5, 8, v5
	v_or_b32_sdwa v6, v0, v1 dst_sel:WORD_1 dst_unused:UNUSED_PAD src0_sel:BYTE_0 src1_sel:DWORD
	v_or_b32_sdwa v7, v2, v5 dst_sel:DWORD dst_unused:UNUSED_PAD src0_sel:BYTE_0 src1_sel:DWORD
	v_or_b32_sdwa v6, v7, v6 dst_sel:DWORD dst_unused:UNUSED_PAD src0_sel:WORD_0 src1_sel:DWORD
	s_waitcnt vmcnt(1)
	v_xor_b32_e32 v6, v73, v6
	v_and_b32_e32 v7, 0xffffff00, v6
	v_sub_i16 v5, v7, v5 clamp
	v_lshlrev_b16_e32 v7, 8, v6
	v_lshlrev_b16_e32 v2, 8, v2
	v_and_b32_e32 v5, 0xffffff00, v5
	v_sub_i16 v2, v7, v2 clamp
	v_or_b32_sdwa v2, v2, v5 dst_sel:DWORD dst_unused:UNUSED_PAD src0_sel:BYTE_1 src1_sel:DWORD
	v_and_b32_sdwa v5, v6, s31 dst_sel:DWORD dst_unused:UNUSED_PAD src0_sel:WORD_1 src1_sel:DWORD
	v_sub_i16 v1, v5, v1 clamp
	v_lshlrev_b16_sdwa v5, v41, v6 dst_sel:DWORD dst_unused:UNUSED_PAD src0_sel:DWORD src1_sel:WORD_1
	v_lshlrev_b16_e32 v0, 8, v0
	v_and_b32_e32 v1, 0xffffff00, v1
	v_sub_i16 v0, v5, v0 clamp
	v_dot4c_i32_i8_e32 v51, v61, v3
	v_or_b32_sdwa v0, v0, v1 dst_sel:WORD_1 dst_unused:UNUSED_PAD src0_sel:BYTE_1 src1_sel:DWORD
	v_dot4c_i32_i8_e32 v51, v62, v36
	v_or_b32_sdwa v72, v2, v0 dst_sel:DWORD dst_unused:UNUSED_PAD src0_sel:WORD_0 src1_sel:DWORD
	v_dot4c_i32_i8_e32 v69, v71, v3
	v_dot4c_i32_i8_e32 v69, v72, v36
	v_lshrrev_b32_e32 v0, 31, v51
	v_add_u32_e32 v0, v51, v0
	v_lshrrev_b32_e32 v73, 12, v37
	v_lshrrev_b32_e32 v1, 31, v69
	v_ashrrev_i32_e32 v0, 1, v0
	v_add_u32_e32 v1, v69, v1
	v_lshrrev_b32_e32 v68, 12, v68
	v_ashrrev_i32_e32 v2, 1, v1
	v_mad_u64_u32 v[0:1], s[34:35], v51, v73, v[0:1]
	v_mad_u64_u32 v[2:3], s[34:35], v69, v68, v[2:3]
	v_lshrrev_b32_e32 v1, 31, v0
	v_add_u32_e32 v0, v0, v1
	v_lshrrev_b32_e32 v1, 31, v2
	v_add_u32_e32 v1, v2, v1
	v_ashrrev_i32_e32 v0, 1, v0
	v_ashrrev_i32_e32 v1, 1, v1
	v_cvt_f32_i32_e32 v7, v1
	v_cvt_f32_i32_e32 v6, v0
	scratch_load_dwordx4 v[0:3], off, off offset:16
	s_waitcnt vmcnt(1)
	v_cvt_f32_f16_e32 v37, v74
	v_cvt_f32_f16_e32 v36, v52
	v_pk_mul_f32 v[4:5], v[4:5], v[36:37] op_sel_hi:[0,1]
	s_waitcnt vmcnt(0)
	v_pk_fma_f32 v[0:1], v[4:5], v[6:7], v[0:1]
	v_add_u32_e32 v4, s15, v39
	v_mad_u64_u32 v[4:5], s[34:35], v4, 36, s[24:25]
	v_mad_u64_u32 v[56:57], s[34:35], v16, 36, v[4:5]
	global_load_dword v51, v[56:57], off offset:32
	global_load_dwordx4 v[4:7], v[56:57], off offset:16
	global_load_dwordx4 v[52:55], v[56:57], off
	v_mov_b32_e32 v56, 0
	s_waitcnt vmcnt(0)
	v_dot4c_i32_i8_e32 v56, v38, v53
	v_mov_b32_e32 v38, 0
	v_dot4c_i32_i8_e32 v56, v50, v54
	v_dot4c_i32_i8_e32 v38, v67, v53
	;; [unrolled: 1-line block ×15, first 2 shown]
	v_cvt_f32_f16_e32 v52, v52
	v_lshrrev_b32_e32 v4, 31, v56
	v_add_u32_e32 v4, v56, v4
	v_lshrrev_b32_e32 v5, 31, v38
	v_ashrrev_i32_e32 v4, 1, v4
	v_add_u32_e32 v5, v38, v5
	v_ashrrev_i32_e32 v6, 1, v5
	v_mad_u64_u32 v[4:5], s[34:35], v56, v73, v[4:5]
	v_lshrrev_b32_e32 v5, 31, v4
	v_mad_u64_u32 v[6:7], s[34:35], v38, v68, v[6:7]
	v_add_u32_e32 v4, v4, v5
	v_ashrrev_i32_e32 v38, 1, v4
	v_lshrrev_b32_e32 v4, 31, v6
	v_add_u32_e32 v4, v6, v4
	v_ashrrev_i32_e32 v6, 1, v4
	v_cvt_f32_i32_e32 v7, v6
	v_cvt_f32_i32_e32 v6, v38
	v_pk_mul_f32 v[4:5], v[52:53], v[36:37] op_sel_hi:[0,1]
	v_pk_fma_f32 v[2:3], v[4:5], v[6:7], v[2:3]
	scratch_store_dwordx4 off, v[0:3], off offset:16
	s_nop 1
	v_add_u32_e32 v0, s19, v39
	v_mad_u64_u32 v[0:1], s[34:35], v0, 36, s[24:25]
	v_mad_u64_u32 v[50:51], s[34:35], v16, 36, v[0:1]
	global_load_dword v36, v[50:51], off offset:32
	global_load_dwordx4 v[0:3], v[50:51], off offset:16
	global_load_dwordx4 v[4:7], v[50:51], off
	global_load_ushort v38, v[32:33], off offset:2
	global_load_ushort v52, v[34:35], off offset:2
	;; [unrolled: 1-line block ×4, first 2 shown]
	s_nop 0
	global_load_ushort v50, v[24:25], off offset:64
	global_load_ushort v37, v[24:25], off offset:66
	s_waitcnt vmcnt(5)
	v_and_b32_sdwa v51, s23, v38 dst_sel:DWORD dst_unused:UNUSED_PAD src0_sel:DWORD src1_sel:BYTE_0
	v_lshlrev_b32_e32 v51, 2, v51
	global_load_dword v51, v51, s[20:21]
	v_lshlrev_b32_sdwa v38, v40, v38 dst_sel:DWORD dst_unused:UNUSED_PAD src0_sel:DWORD src1_sel:BYTE_1
	global_load_dword v54, v38, s[20:21]
	s_waitcnt vmcnt(3)
	v_and_b32_e32 v55, 0xffff, v50
	v_and_b32_e32 v38, 0xff, v55
	v_bcnt_u32_b32 v56, v38, 0
	v_and_b32_e32 v56, 1, v56
	v_lshlrev_b32_e32 v56, 7, v56
	v_xor_b32_e32 v38, v56, v38
	v_mul_lo_u32 v56, v38, s30
	v_and_b32_e32 v38, 0x8000000, v56
	v_lshrrev_b32_e32 v57, 8, v56
	v_lshrrev_b16_e32 v58, 1, v57
	v_cmp_ne_u16_sdwa s[34:35], v38, v15 src0_sel:BYTE_3 src1_sel:DWORD
	v_and_b32_e32 v50, 1, v50
	v_bfe_i32 v58, v58, 0, 1
	v_lshrrev_b32_e32 v59, 18, v56
	v_cndmask_b32_e64 v38, 0, -1, s[34:35]
	v_sub_u16_e32 v50, 0, v50
	v_bfe_i32 v59, v59, 0, 1
	v_lshlrev_b16_e32 v38, 8, v38
	v_lshlrev_b16_e32 v58, 8, v58
	v_or_b32_sdwa v60, v59, v38 dst_sel:WORD_1 dst_unused:UNUSED_PAD src0_sel:BYTE_0 src1_sel:DWORD
	v_or_b32_sdwa v61, v50, v58 dst_sel:DWORD dst_unused:UNUSED_PAD src0_sel:BYTE_0 src1_sel:DWORD
	v_or_b32_sdwa v60, v61, v60 dst_sel:DWORD dst_unused:UNUSED_PAD src0_sel:WORD_0 src1_sel:DWORD
	v_lshlrev_b16_e32 v50, 8, v50
	v_lshrrev_b16_e32 v57, 5, v57
	v_bfe_i32 v57, v57, 0, 1
	v_lshlrev_b16_e32 v57, 8, v57
	v_cvt_f32_f16_e32 v4, v4
	s_waitcnt vmcnt(1)
	v_xor_b32_e32 v51, v51, v60
	v_and_b32_e32 v60, 0xffffff00, v51
	v_sub_i16 v58, v60, v58 clamp
	v_lshlrev_b16_e32 v60, 8, v51
	v_and_b32_e32 v58, 0xffffff00, v58
	v_sub_i16 v50, v60, v50 clamp
	v_or_b32_sdwa v50, v50, v58 dst_sel:DWORD dst_unused:UNUSED_PAD src0_sel:BYTE_1 src1_sel:DWORD
	v_and_b32_sdwa v58, v51, s31 dst_sel:DWORD dst_unused:UNUSED_PAD src0_sel:WORD_1 src1_sel:DWORD
	v_sub_i16 v38, v58, v38 clamp
	v_lshlrev_b16_sdwa v51, v41, v51 dst_sel:DWORD dst_unused:UNUSED_PAD src0_sel:DWORD src1_sel:WORD_1
	v_lshlrev_b16_e32 v58, 8, v59
	v_and_b32_e32 v38, 0xffffff00, v38
	v_sub_i16 v51, v51, v58 clamp
	v_or_b32_sdwa v38, v51, v38 dst_sel:WORD_1 dst_unused:UNUSED_PAD src0_sel:BYTE_1 src1_sel:DWORD
	v_bfe_i32 v51, v55, 4, 1
	v_or_b32_sdwa v38, v50, v38 dst_sel:DWORD dst_unused:UNUSED_PAD src0_sel:WORD_0 src1_sel:DWORD
	v_and_b32_e32 v50, 0x80000000, v56
	v_cmp_ne_u16_sdwa s[34:35], v50, v15 src0_sel:BYTE_3 src1_sel:DWORD
	v_lshrrev_b32_e32 v56, 22, v56
	v_bfe_i32 v56, v56, 0, 1
	v_cndmask_b32_e64 v50, 0, -1, s[34:35]
	v_lshlrev_b16_e32 v50, 8, v50
	v_or_b32_sdwa v58, v56, v50 dst_sel:WORD_1 dst_unused:UNUSED_PAD src0_sel:BYTE_0 src1_sel:DWORD
	v_or_b32_sdwa v59, v51, v57 dst_sel:DWORD dst_unused:UNUSED_PAD src0_sel:BYTE_0 src1_sel:DWORD
	v_or_b32_sdwa v58, v59, v58 dst_sel:DWORD dst_unused:UNUSED_PAD src0_sel:WORD_0 src1_sel:DWORD
	s_waitcnt vmcnt(0)
	v_xor_b32_e32 v54, v54, v58
	v_and_b32_e32 v58, 0xffffff00, v54
	v_sub_i16 v57, v58, v57 clamp
	v_lshlrev_b16_e32 v58, 8, v54
	v_lshlrev_b16_e32 v51, 8, v51
	v_and_b32_e32 v57, 0xffffff00, v57
	v_sub_i16 v51, v58, v51 clamp
	v_or_b32_sdwa v51, v51, v57 dst_sel:DWORD dst_unused:UNUSED_PAD src0_sel:BYTE_1 src1_sel:DWORD
	v_and_b32_sdwa v57, v54, s31 dst_sel:DWORD dst_unused:UNUSED_PAD src0_sel:WORD_1 src1_sel:DWORD
	v_sub_i16 v50, v57, v50 clamp
	v_lshlrev_b16_sdwa v54, v41, v54 dst_sel:DWORD dst_unused:UNUSED_PAD src0_sel:DWORD src1_sel:WORD_1
	v_lshlrev_b16_e32 v56, 8, v56
	v_and_b32_e32 v50, 0xffffff00, v50
	v_sub_i16 v54, v54, v56 clamp
	v_or_b32_sdwa v50, v54, v50 dst_sel:WORD_1 dst_unused:UNUSED_PAD src0_sel:BYTE_1 src1_sel:DWORD
	v_and_b32_sdwa v54, s23, v52 dst_sel:DWORD dst_unused:UNUSED_PAD src0_sel:DWORD src1_sel:BYTE_0
	v_lshlrev_b32_e32 v54, 2, v54
	v_lshlrev_b32_sdwa v52, v40, v52 dst_sel:DWORD dst_unused:UNUSED_PAD src0_sel:DWORD src1_sel:BYTE_1
	global_load_dword v61, v54, s[20:21]
	global_load_dword v59, v52, s[20:21]
	v_and_b32_sdwa v52, s23, v53 dst_sel:DWORD dst_unused:UNUSED_PAD src0_sel:DWORD src1_sel:BYTE_0
	v_lshlrev_b32_e32 v52, 2, v52
	global_load_dword v58, v52, s[20:21]
	v_lshlrev_b32_sdwa v52, v40, v53 dst_sel:DWORD dst_unused:UNUSED_PAD src0_sel:DWORD src1_sel:BYTE_1
	global_load_dword v56, v52, s[20:21]
	v_and_b32_sdwa v52, s23, v62 dst_sel:DWORD dst_unused:UNUSED_PAD src0_sel:DWORD src1_sel:BYTE_0
	v_lshlrev_b32_e32 v52, 2, v52
	v_lshlrev_b32_sdwa v62, v40, v62 dst_sel:DWORD dst_unused:UNUSED_PAD src0_sel:DWORD src1_sel:BYTE_1
	global_load_dword v54, v52, s[20:21]
	global_load_dword v53, v62, s[20:21]
	s_nop 0
	global_load_ushort v52, v[10:11], off
	global_load_ushort v63, v[26:27], off offset:2
	global_load_ushort v64, v[28:29], off offset:2
	global_load_ushort v65, v[28:29], off offset:4
	global_load_ushort v66, v[28:29], off offset:6
	global_load_ushort v67, v[30:31], off offset:64
	v_bfe_i32 v60, v55, 7, 1
	v_or_b32_sdwa v50, v51, v50 dst_sel:DWORD dst_unused:UNUSED_PAD src0_sel:WORD_0 src1_sel:DWORD
	v_mov_b32_e32 v51, 0
	v_dot4c_i32_i8_e32 v51, v38, v5
	v_dot4c_i32_i8_e32 v51, v50, v6
	v_bfe_i32 v57, v55, 14, 1
	global_load_ushort v68, v[30:31], off offset:66
	s_waitcnt vmcnt(5)
	v_and_b32_sdwa v69, s23, v63 dst_sel:DWORD dst_unused:UNUSED_PAD src0_sel:DWORD src1_sel:BYTE_0
	v_lshlrev_b32_e32 v69, 2, v69
	global_load_dword v69, v69, s[20:21]
	v_lshlrev_b32_sdwa v63, v40, v63 dst_sel:DWORD dst_unused:UNUSED_PAD src0_sel:DWORD src1_sel:BYTE_1
	global_load_dword v63, v63, s[20:21]
	s_waitcnt vmcnt(3)
	v_and_b32_e32 v62, 0xffff, v67
	v_and_b32_e32 v70, 0xff, v62
	v_bcnt_u32_b32 v71, v70, 0
	v_and_b32_e32 v71, 1, v71
	v_lshlrev_b32_e32 v71, 7, v71
	v_xor_b32_e32 v70, v71, v70
	v_mul_lo_u32 v70, v70, s30
	v_and_b32_e32 v71, 0x8000000, v70
	v_lshrrev_b32_e32 v72, 8, v70
	v_lshrrev_b16_e32 v73, 1, v72
	v_cmp_ne_u16_sdwa s[34:35], v71, v15 src0_sel:BYTE_3 src1_sel:DWORD
	v_and_b32_e32 v67, 1, v67
	v_bfe_i32 v73, v73, 0, 1
	v_lshrrev_b32_e32 v74, 18, v70
	v_cndmask_b32_e64 v71, 0, -1, s[34:35]
	v_sub_u16_e32 v67, 0, v67
	v_bfe_i32 v74, v74, 0, 1
	v_lshlrev_b16_e32 v71, 8, v71
	v_lshlrev_b16_e32 v73, 8, v73
	v_or_b32_sdwa v75, v74, v71 dst_sel:WORD_1 dst_unused:UNUSED_PAD src0_sel:BYTE_0 src1_sel:DWORD
	v_or_b32_sdwa v76, v67, v73 dst_sel:DWORD dst_unused:UNUSED_PAD src0_sel:BYTE_0 src1_sel:DWORD
	v_or_b32_sdwa v75, v76, v75 dst_sel:DWORD dst_unused:UNUSED_PAD src0_sel:WORD_0 src1_sel:DWORD
	v_lshlrev_b16_e32 v67, 8, v67
	v_lshrrev_b16_e32 v72, 5, v72
	v_bfe_i32 v72, v72, 0, 1
	v_lshlrev_b16_e32 v72, 8, v72
	s_waitcnt vmcnt(1)
	v_xor_b32_e32 v69, v69, v75
	v_and_b32_e32 v75, 0xffffff00, v69
	v_sub_i16 v73, v75, v73 clamp
	v_lshlrev_b16_e32 v75, 8, v69
	v_and_b32_e32 v73, 0xffffff00, v73
	v_sub_i16 v67, v75, v67 clamp
	v_bfe_u32 v75, v55, 7, 8
	v_or_b32_sdwa v67, v67, v73 dst_sel:DWORD dst_unused:UNUSED_PAD src0_sel:BYTE_1 src1_sel:DWORD
	v_and_b32_sdwa v73, v69, s31 dst_sel:DWORD dst_unused:UNUSED_PAD src0_sel:WORD_1 src1_sel:DWORD
	v_bcnt_u32_b32 v76, v75, 0
	v_sub_i16 v71, v73, v71 clamp
	v_lshlrev_b16_sdwa v69, v41, v69 dst_sel:DWORD dst_unused:UNUSED_PAD src0_sel:DWORD src1_sel:WORD_1
	v_lshlrev_b16_e32 v73, 8, v74
	v_and_b32_e32 v76, 1, v76
	v_and_b32_e32 v71, 0xffffff00, v71
	v_sub_i16 v69, v69, v73 clamp
	v_lshlrev_b32_e32 v76, 7, v76
	v_or_b32_sdwa v69, v69, v71 dst_sel:WORD_1 dst_unused:UNUSED_PAD src0_sel:BYTE_1 src1_sel:DWORD
	v_xor_b32_e32 v75, v76, v75
	v_or_b32_sdwa v67, v67, v69 dst_sel:DWORD dst_unused:UNUSED_PAD src0_sel:WORD_0 src1_sel:DWORD
	v_and_b32_e32 v69, 0x80000000, v70
	v_mul_lo_u32 v75, v75, s30
	v_cmp_ne_u16_sdwa s[34:35], v69, v15 src0_sel:BYTE_3 src1_sel:DWORD
	v_and_b32_e32 v76, 0x8000000, v75
	v_lshrrev_b32_e32 v77, 8, v75
	v_cndmask_b32_e64 v69, 0, -1, s[34:35]
	v_lshrrev_b16_e32 v78, 1, v77
	v_cmp_ne_u16_sdwa s[34:35], v76, v15 src0_sel:BYTE_3 src1_sel:DWORD
	v_bfe_i32 v78, v78, 0, 1
	v_lshrrev_b32_e32 v79, 18, v75
	v_cndmask_b32_e64 v76, 0, -1, s[34:35]
	v_lshrrev_b32_e32 v70, 22, v70
	v_bfe_i32 v79, v79, 0, 1
	v_lshlrev_b16_e32 v76, 8, v76
	v_lshlrev_b16_e32 v78, 8, v78
	v_bfe_i32 v71, v62, 4, 1
	v_bfe_i32 v70, v70, 0, 1
	v_lshlrev_b16_e32 v69, 8, v69
	v_or_b32_sdwa v80, v79, v76 dst_sel:WORD_1 dst_unused:UNUSED_PAD src0_sel:BYTE_0 src1_sel:DWORD
	v_or_b32_sdwa v81, v60, v78 dst_sel:DWORD dst_unused:UNUSED_PAD src0_sel:BYTE_0 src1_sel:DWORD
	v_or_b32_sdwa v73, v70, v69 dst_sel:WORD_1 dst_unused:UNUSED_PAD src0_sel:BYTE_0 src1_sel:DWORD
	v_or_b32_sdwa v74, v71, v72 dst_sel:DWORD dst_unused:UNUSED_PAD src0_sel:BYTE_0 src1_sel:DWORD
	v_or_b32_sdwa v80, v81, v80 dst_sel:DWORD dst_unused:UNUSED_PAD src0_sel:WORD_0 src1_sel:DWORD
	v_or_b32_sdwa v73, v74, v73 dst_sel:DWORD dst_unused:UNUSED_PAD src0_sel:WORD_0 src1_sel:DWORD
	v_xor_b32_e32 v61, v61, v80
	s_waitcnt vmcnt(0)
	v_xor_b32_e32 v63, v63, v73
	v_and_b32_e32 v80, 0xffffff00, v61
	v_and_b32_e32 v73, 0xffffff00, v63
	v_sub_i16 v78, v80, v78 clamp
	v_lshlrev_b16_e32 v80, 8, v61
	v_lshlrev_b16_e32 v60, 8, v60
	v_sub_i16 v72, v73, v72 clamp
	v_lshlrev_b16_e32 v73, 8, v63
	v_lshlrev_b16_e32 v71, 8, v71
	v_and_b32_e32 v78, 0xffffff00, v78
	v_sub_i16 v60, v80, v60 clamp
	v_and_b32_e32 v72, 0xffffff00, v72
	v_sub_i16 v71, v73, v71 clamp
	v_or_b32_sdwa v60, v60, v78 dst_sel:DWORD dst_unused:UNUSED_PAD src0_sel:BYTE_1 src1_sel:DWORD
	v_and_b32_sdwa v78, v61, s31 dst_sel:DWORD dst_unused:UNUSED_PAD src0_sel:WORD_1 src1_sel:DWORD
	v_or_b32_sdwa v71, v71, v72 dst_sel:DWORD dst_unused:UNUSED_PAD src0_sel:BYTE_1 src1_sel:DWORD
	v_and_b32_sdwa v72, v63, s31 dst_sel:DWORD dst_unused:UNUSED_PAD src0_sel:WORD_1 src1_sel:DWORD
	v_sub_i16 v76, v78, v76 clamp
	v_lshlrev_b16_sdwa v61, v41, v61 dst_sel:DWORD dst_unused:UNUSED_PAD src0_sel:DWORD src1_sel:WORD_1
	v_lshlrev_b16_e32 v78, 8, v79
	v_sub_i16 v69, v72, v69 clamp
	v_lshlrev_b16_sdwa v63, v41, v63 dst_sel:DWORD dst_unused:UNUSED_PAD src0_sel:DWORD src1_sel:WORD_1
	v_lshlrev_b16_e32 v70, 8, v70
	v_and_b32_e32 v76, 0xffffff00, v76
	v_sub_i16 v61, v61, v78 clamp
	v_and_b32_e32 v69, 0xffffff00, v69
	v_sub_i16 v63, v63, v70 clamp
	v_or_b32_sdwa v61, v61, v76 dst_sel:WORD_1 dst_unused:UNUSED_PAD src0_sel:BYTE_1 src1_sel:DWORD
	v_or_b32_sdwa v63, v63, v69 dst_sel:WORD_1 dst_unused:UNUSED_PAD src0_sel:BYTE_1 src1_sel:DWORD
	v_mov_b32_e32 v69, 0
	v_or_b32_sdwa v60, v60, v61 dst_sel:DWORD dst_unused:UNUSED_PAD src0_sel:WORD_0 src1_sel:DWORD
	v_and_b32_e32 v61, 0x80000000, v75
	v_or_b32_sdwa v63, v71, v63 dst_sel:DWORD dst_unused:UNUSED_PAD src0_sel:WORD_0 src1_sel:DWORD
	v_dot4c_i32_i8_e32 v69, v67, v5
	v_and_b32_sdwa v5, s23, v64 dst_sel:DWORD dst_unused:UNUSED_PAD src0_sel:DWORD src1_sel:BYTE_0
	v_and_b32_sdwa v70, s23, v65 dst_sel:DWORD dst_unused:UNUSED_PAD src0_sel:DWORD src1_sel:BYTE_0
	;; [unrolled: 1-line block ×3, first 2 shown]
	v_lshrrev_b16_e32 v76, 5, v77
	v_cmp_ne_u16_sdwa s[34:35], v61, v15 src0_sel:BYTE_3 src1_sel:DWORD
	v_dot4c_i32_i8_e32 v69, v63, v6
	v_lshlrev_b32_e32 v5, 2, v5
	v_lshlrev_b32_sdwa v6, v40, v64 dst_sel:DWORD dst_unused:UNUSED_PAD src0_sel:DWORD src1_sel:BYTE_1
	v_lshlrev_b32_e32 v70, 2, v70
	v_lshlrev_b32_sdwa v65, v40, v65 dst_sel:DWORD dst_unused:UNUSED_PAD src0_sel:DWORD src1_sel:BYTE_1
	;; [unrolled: 2-line block ×3, first 2 shown]
	v_bfe_i32 v76, v76, 0, 1
	v_lshrrev_b32_e32 v75, 22, v75
	v_cndmask_b32_e64 v61, 0, -1, s[34:35]
	global_load_dword v5, v5, s[20:21]
	v_bfe_i32 v75, v75, 0, 1
	global_load_dword v6, v6, s[20:21]
	v_lshlrev_b16_e32 v61, 8, v61
	global_load_dword v70, v70, s[20:21]
	v_lshlrev_b16_e32 v76, 8, v76
	global_load_dword v72, v72, s[20:21]
	v_or_b32_sdwa v77, v75, v61 dst_sel:WORD_1 dst_unused:UNUSED_PAD src0_sel:BYTE_0 src1_sel:DWORD
	global_load_dword v65, v65, s[20:21]
	s_nop 0
	global_load_dword v73, v66, s[20:21]
	global_load_ushort v74, v[8:9], off
	v_lshl_or_b32 v66, v37, 16, v55
	v_bfe_i32 v55, v55, 11, 1
	v_or_b32_sdwa v78, v55, v76 dst_sel:DWORD dst_unused:UNUSED_PAD src0_sel:BYTE_0 src1_sel:DWORD
	v_or_b32_sdwa v77, v78, v77 dst_sel:DWORD dst_unused:UNUSED_PAD src0_sel:WORD_0 src1_sel:DWORD
	v_xor_b32_e32 v59, v59, v77
	v_and_b32_e32 v77, 0xffffff00, v59
	v_sub_i16 v76, v77, v76 clamp
	v_lshlrev_b16_e32 v77, 8, v59
	v_lshlrev_b16_e32 v55, 8, v55
	v_and_b32_e32 v76, 0xffffff00, v76
	v_sub_i16 v55, v77, v55 clamp
	v_or_b32_sdwa v55, v55, v76 dst_sel:DWORD dst_unused:UNUSED_PAD src0_sel:BYTE_1 src1_sel:DWORD
	v_and_b32_sdwa v76, v59, s31 dst_sel:DWORD dst_unused:UNUSED_PAD src0_sel:WORD_1 src1_sel:DWORD
	v_sub_i16 v61, v76, v61 clamp
	v_lshlrev_b16_sdwa v59, v41, v59 dst_sel:DWORD dst_unused:UNUSED_PAD src0_sel:DWORD src1_sel:WORD_1
	v_lshlrev_b16_e32 v75, 8, v75
	v_and_b32_e32 v61, 0xffffff00, v61
	v_sub_i16 v59, v59, v75 clamp
	v_or_b32_sdwa v59, v59, v61 dst_sel:WORD_1 dst_unused:UNUSED_PAD src0_sel:BYTE_1 src1_sel:DWORD
	v_bfe_i32 v64, v62, 7, 1
	v_or_b32_sdwa v59, v55, v59 dst_sel:DWORD dst_unused:UNUSED_PAD src0_sel:WORD_0 src1_sel:DWORD
	v_bfe_u32 v55, v66, 14, 8
	v_bcnt_u32_b32 v61, v55, 0
	v_and_b32_e32 v61, 1, v61
	v_lshlrev_b32_e32 v61, 7, v61
	v_xor_b32_e32 v55, v61, v55
	v_mul_lo_u32 v55, v55, s30
	v_and_b32_e32 v61, 0x8000000, v55
	v_lshrrev_b32_e32 v66, 8, v55
	v_lshrrev_b16_e32 v75, 1, v66
	v_cmp_ne_u16_sdwa s[34:35], v61, v15 src0_sel:BYTE_3 src1_sel:DWORD
	v_bfe_i32 v75, v75, 0, 1
	v_lshrrev_b32_e32 v76, 18, v55
	v_cndmask_b32_e64 v61, 0, -1, s[34:35]
	v_bfe_i32 v76, v76, 0, 1
	v_lshlrev_b16_e32 v61, 8, v61
	v_lshlrev_b16_e32 v75, 8, v75
	v_or_b32_sdwa v77, v76, v61 dst_sel:WORD_1 dst_unused:UNUSED_PAD src0_sel:BYTE_0 src1_sel:DWORD
	v_or_b32_sdwa v78, v57, v75 dst_sel:DWORD dst_unused:UNUSED_PAD src0_sel:BYTE_0 src1_sel:DWORD
	v_or_b32_sdwa v77, v78, v77 dst_sel:DWORD dst_unused:UNUSED_PAD src0_sel:WORD_0 src1_sel:DWORD
	v_xor_b32_e32 v58, v58, v77
	v_and_b32_e32 v77, 0xffffff00, v58
	v_sub_i16 v75, v77, v75 clamp
	v_lshlrev_b16_e32 v77, 8, v58
	v_lshlrev_b16_e32 v57, 8, v57
	v_and_b32_e32 v75, 0xffffff00, v75
	v_sub_i16 v57, v77, v57 clamp
	v_or_b32_sdwa v57, v57, v75 dst_sel:DWORD dst_unused:UNUSED_PAD src0_sel:BYTE_1 src1_sel:DWORD
	v_and_b32_sdwa v75, v58, s31 dst_sel:DWORD dst_unused:UNUSED_PAD src0_sel:WORD_1 src1_sel:DWORD
	v_sub_i16 v61, v75, v61 clamp
	v_lshlrev_b16_sdwa v58, v41, v58 dst_sel:DWORD dst_unused:UNUSED_PAD src0_sel:DWORD src1_sel:WORD_1
	v_lshlrev_b16_e32 v75, 8, v76
	v_and_b32_e32 v61, 0xffffff00, v61
	v_sub_i16 v58, v58, v75 clamp
	v_or_b32_sdwa v58, v58, v61 dst_sel:WORD_1 dst_unused:UNUSED_PAD src0_sel:BYTE_1 src1_sel:DWORD
	v_lshrrev_b16_e32 v66, 5, v66
	v_or_b32_sdwa v58, v57, v58 dst_sel:DWORD dst_unused:UNUSED_PAD src0_sel:WORD_0 src1_sel:DWORD
	v_and_b32_e32 v57, 0x80000000, v55
	v_cmp_ne_u16_sdwa s[34:35], v57, v15 src0_sel:BYTE_3 src1_sel:DWORD
	v_bfe_i32 v66, v66, 0, 1
	v_lshrrev_b32_e32 v55, 22, v55
	v_cndmask_b32_e64 v57, 0, -1, s[34:35]
	v_bfe_i32 v61, v37, 2, 1
	v_bfe_i32 v55, v55, 0, 1
	v_lshlrev_b16_e32 v57, 8, v57
	v_lshlrev_b16_e32 v66, 8, v66
	v_or_b32_sdwa v75, v55, v57 dst_sel:WORD_1 dst_unused:UNUSED_PAD src0_sel:BYTE_0 src1_sel:DWORD
	v_or_b32_sdwa v76, v61, v66 dst_sel:DWORD dst_unused:UNUSED_PAD src0_sel:BYTE_0 src1_sel:DWORD
	v_or_b32_sdwa v75, v76, v75 dst_sel:DWORD dst_unused:UNUSED_PAD src0_sel:WORD_0 src1_sel:DWORD
	v_xor_b32_e32 v56, v56, v75
	v_and_b32_e32 v75, 0xffffff00, v56
	v_sub_i16 v66, v75, v66 clamp
	v_lshlrev_b16_e32 v75, 8, v56
	v_lshlrev_b16_e32 v61, 8, v61
	v_and_b32_e32 v66, 0xffffff00, v66
	v_sub_i16 v61, v75, v61 clamp
	v_or_b32_sdwa v61, v61, v66 dst_sel:DWORD dst_unused:UNUSED_PAD src0_sel:BYTE_1 src1_sel:DWORD
	v_and_b32_sdwa v66, v56, s31 dst_sel:DWORD dst_unused:UNUSED_PAD src0_sel:WORD_1 src1_sel:DWORD
	v_sub_i16 v57, v66, v57 clamp
	v_lshlrev_b16_sdwa v56, v41, v56 dst_sel:DWORD dst_unused:UNUSED_PAD src0_sel:DWORD src1_sel:WORD_1
	v_lshlrev_b16_e32 v55, 8, v55
	v_and_b32_e32 v57, 0xffffff00, v57
	v_sub_i16 v55, v56, v55 clamp
	v_or_b32_sdwa v55, v55, v57 dst_sel:WORD_1 dst_unused:UNUSED_PAD src0_sel:BYTE_1 src1_sel:DWORD
	v_bfe_i32 v57, v37, 5, 1
	v_or_b32_sdwa v61, v61, v55 dst_sel:DWORD dst_unused:UNUSED_PAD src0_sel:WORD_0 src1_sel:DWORD
	v_bfe_u32 v55, v37, 5, 8
	v_bcnt_u32_b32 v56, v55, 0
	v_and_b32_e32 v56, 1, v56
	v_lshlrev_b32_e32 v56, 7, v56
	v_xor_b32_e32 v55, v56, v55
	v_mul_lo_u32 v55, v55, s30
	v_and_b32_e32 v56, 0x8000000, v55
	v_lshrrev_b32_e32 v66, 8, v55
	v_lshrrev_b16_e32 v75, 1, v66
	v_cmp_ne_u16_sdwa s[34:35], v56, v15 src0_sel:BYTE_3 src1_sel:DWORD
	v_bfe_i32 v75, v75, 0, 1
	v_lshrrev_b32_e32 v76, 18, v55
	v_cndmask_b32_e64 v56, 0, -1, s[34:35]
	v_bfe_i32 v76, v76, 0, 1
	v_lshlrev_b16_e32 v56, 8, v56
	v_lshlrev_b16_e32 v75, 8, v75
	v_or_b32_sdwa v77, v76, v56 dst_sel:WORD_1 dst_unused:UNUSED_PAD src0_sel:BYTE_0 src1_sel:DWORD
	v_or_b32_sdwa v78, v57, v75 dst_sel:DWORD dst_unused:UNUSED_PAD src0_sel:BYTE_0 src1_sel:DWORD
	v_or_b32_sdwa v77, v78, v77 dst_sel:DWORD dst_unused:UNUSED_PAD src0_sel:WORD_0 src1_sel:DWORD
	v_xor_b32_e32 v54, v54, v77
	v_and_b32_e32 v77, 0xffffff00, v54
	v_sub_i16 v75, v77, v75 clamp
	v_lshlrev_b16_e32 v77, 8, v54
	v_lshlrev_b16_e32 v57, 8, v57
	v_and_b32_e32 v75, 0xffffff00, v75
	v_sub_i16 v57, v77, v57 clamp
	v_or_b32_sdwa v57, v57, v75 dst_sel:DWORD dst_unused:UNUSED_PAD src0_sel:BYTE_1 src1_sel:DWORD
	v_and_b32_sdwa v75, v54, s31 dst_sel:DWORD dst_unused:UNUSED_PAD src0_sel:WORD_1 src1_sel:DWORD
	v_sub_i16 v56, v75, v56 clamp
	v_lshlrev_b16_sdwa v54, v41, v54 dst_sel:DWORD dst_unused:UNUSED_PAD src0_sel:DWORD src1_sel:WORD_1
	v_lshlrev_b16_e32 v75, 8, v76
	v_and_b32_e32 v56, 0xffffff00, v56
	v_sub_i16 v54, v54, v75 clamp
	v_or_b32_sdwa v54, v54, v56 dst_sel:WORD_1 dst_unused:UNUSED_PAD src0_sel:BYTE_1 src1_sel:DWORD
	v_bfe_i32 v56, v37, 9, 1
	v_or_b32_sdwa v75, v57, v54 dst_sel:DWORD dst_unused:UNUSED_PAD src0_sel:WORD_0 src1_sel:DWORD
	v_and_b32_e32 v54, 0x80000000, v55
	v_lshrrev_b16_e32 v57, 5, v66
	v_cmp_ne_u16_sdwa s[34:35], v54, v15 src0_sel:BYTE_3 src1_sel:DWORD
	v_bfe_i32 v57, v57, 0, 1
	v_lshrrev_b32_e32 v55, 22, v55
	v_cndmask_b32_e64 v54, 0, -1, s[34:35]
	v_bfe_i32 v55, v55, 0, 1
	v_lshlrev_b16_e32 v54, 8, v54
	v_lshlrev_b16_e32 v57, 8, v57
	v_or_b32_sdwa v66, v55, v54 dst_sel:WORD_1 dst_unused:UNUSED_PAD src0_sel:BYTE_0 src1_sel:DWORD
	v_or_b32_sdwa v76, v56, v57 dst_sel:DWORD dst_unused:UNUSED_PAD src0_sel:BYTE_0 src1_sel:DWORD
	v_or_b32_sdwa v66, v76, v66 dst_sel:DWORD dst_unused:UNUSED_PAD src0_sel:WORD_0 src1_sel:DWORD
	v_xor_b32_e32 v53, v53, v66
	v_and_b32_e32 v66, 0xffffff00, v53
	v_sub_i16 v57, v66, v57 clamp
	v_lshlrev_b16_e32 v66, 8, v53
	v_lshlrev_b16_e32 v56, 8, v56
	v_and_b32_e32 v57, 0xffffff00, v57
	v_sub_i16 v56, v66, v56 clamp
	v_or_b32_sdwa v56, v56, v57 dst_sel:DWORD dst_unused:UNUSED_PAD src0_sel:BYTE_1 src1_sel:DWORD
	v_and_b32_sdwa v57, v53, s31 dst_sel:DWORD dst_unused:UNUSED_PAD src0_sel:WORD_1 src1_sel:DWORD
	v_sub_i16 v54, v57, v54 clamp
	v_lshlrev_b16_sdwa v53, v41, v53 dst_sel:DWORD dst_unused:UNUSED_PAD src0_sel:DWORD src1_sel:WORD_1
	v_lshlrev_b16_e32 v55, 8, v55
	v_and_b32_e32 v54, 0xffffff00, v54
	v_sub_i16 v53, v53, v55 clamp
	v_or_b32_sdwa v53, v53, v54 dst_sel:WORD_1 dst_unused:UNUSED_PAD src0_sel:BYTE_1 src1_sel:DWORD
	v_bfe_u32 v54, v62, 7, 8
	v_bcnt_u32_b32 v55, v54, 0
	v_and_b32_e32 v55, 1, v55
	v_lshlrev_b32_e32 v55, 7, v55
	v_xor_b32_e32 v54, v55, v54
	v_mul_lo_u32 v54, v54, s30
	v_or_b32_sdwa v66, v56, v53 dst_sel:DWORD dst_unused:UNUSED_PAD src0_sel:WORD_0 src1_sel:DWORD
	v_and_b32_e32 v55, 0x8000000, v54
	v_lshrrev_b32_e32 v56, 8, v54
	v_lshrrev_b16_e32 v57, 1, v56
	v_cmp_ne_u16_sdwa s[34:35], v55, v15 src0_sel:BYTE_3 src1_sel:DWORD
	v_bfe_i32 v57, v57, 0, 1
	v_lshrrev_b32_e32 v76, 18, v54
	v_cndmask_b32_e64 v55, 0, -1, s[34:35]
	v_bfe_i32 v76, v76, 0, 1
	v_lshlrev_b16_e32 v55, 8, v55
	v_lshlrev_b16_e32 v57, 8, v57
	v_or_b32_sdwa v77, v76, v55 dst_sel:WORD_1 dst_unused:UNUSED_PAD src0_sel:BYTE_0 src1_sel:DWORD
	v_or_b32_sdwa v78, v64, v57 dst_sel:DWORD dst_unused:UNUSED_PAD src0_sel:BYTE_0 src1_sel:DWORD
	v_or_b32_sdwa v77, v78, v77 dst_sel:DWORD dst_unused:UNUSED_PAD src0_sel:WORD_0 src1_sel:DWORD
	s_waitcnt vmcnt(6)
	v_xor_b32_e32 v5, v5, v77
	v_and_b32_e32 v77, 0xffffff00, v5
	v_sub_i16 v57, v77, v57 clamp
	v_lshlrev_b16_e32 v77, 8, v5
	v_lshlrev_b16_e32 v64, 8, v64
	v_and_b32_e32 v57, 0xffffff00, v57
	v_sub_i16 v64, v77, v64 clamp
	v_or_b32_sdwa v57, v64, v57 dst_sel:DWORD dst_unused:UNUSED_PAD src0_sel:BYTE_1 src1_sel:DWORD
	v_and_b32_sdwa v64, v5, s31 dst_sel:DWORD dst_unused:UNUSED_PAD src0_sel:WORD_1 src1_sel:DWORD
	v_sub_i16 v55, v64, v55 clamp
	v_lshlrev_b16_sdwa v5, v41, v5 dst_sel:DWORD dst_unused:UNUSED_PAD src0_sel:DWORD src1_sel:WORD_1
	v_lshlrev_b16_e32 v64, 8, v76
	v_and_b32_e32 v55, 0xffffff00, v55
	v_sub_i16 v5, v5, v64 clamp
	v_or_b32_sdwa v5, v5, v55 dst_sel:WORD_1 dst_unused:UNUSED_PAD src0_sel:BYTE_1 src1_sel:DWORD
	v_lshrrev_b16_e32 v56, 5, v56
	v_or_b32_sdwa v64, v57, v5 dst_sel:DWORD dst_unused:UNUSED_PAD src0_sel:WORD_0 src1_sel:DWORD
	v_and_b32_e32 v5, 0x80000000, v54
	v_cmp_ne_u16_sdwa s[34:35], v5, v15 src0_sel:BYTE_3 src1_sel:DWORD
	v_bfe_i32 v56, v56, 0, 1
	v_lshrrev_b32_e32 v54, 22, v54
	v_cndmask_b32_e64 v5, 0, -1, s[34:35]
	v_bfe_i32 v55, v62, 11, 1
	v_bfe_i32 v54, v54, 0, 1
	v_lshlrev_b16_e32 v5, 8, v5
	v_lshlrev_b16_e32 v56, 8, v56
	v_bfe_i32 v71, v62, 14, 1
	v_lshl_or_b32 v53, v68, 16, v62
	v_or_b32_sdwa v57, v54, v5 dst_sel:WORD_1 dst_unused:UNUSED_PAD src0_sel:BYTE_0 src1_sel:DWORD
	v_or_b32_sdwa v62, v55, v56 dst_sel:DWORD dst_unused:UNUSED_PAD src0_sel:BYTE_0 src1_sel:DWORD
	v_or_b32_sdwa v57, v62, v57 dst_sel:DWORD dst_unused:UNUSED_PAD src0_sel:WORD_0 src1_sel:DWORD
	s_waitcnt vmcnt(5)
	v_xor_b32_e32 v6, v6, v57
	v_and_b32_e32 v57, 0xffffff00, v6
	v_sub_i16 v56, v57, v56 clamp
	v_lshlrev_b16_e32 v57, 8, v6
	v_lshlrev_b16_e32 v55, 8, v55
	v_and_b32_e32 v56, 0xffffff00, v56
	v_sub_i16 v55, v57, v55 clamp
	v_or_b32_sdwa v55, v55, v56 dst_sel:DWORD dst_unused:UNUSED_PAD src0_sel:BYTE_1 src1_sel:DWORD
	v_and_b32_sdwa v56, v6, s31 dst_sel:DWORD dst_unused:UNUSED_PAD src0_sel:WORD_1 src1_sel:DWORD
	v_sub_i16 v5, v56, v5 clamp
	v_lshlrev_b16_sdwa v6, v41, v6 dst_sel:DWORD dst_unused:UNUSED_PAD src0_sel:DWORD src1_sel:WORD_1
	v_lshlrev_b16_e32 v54, 8, v54
	v_and_b32_e32 v5, 0xffffff00, v5
	v_sub_i16 v6, v6, v54 clamp
	v_or_b32_sdwa v5, v6, v5 dst_sel:WORD_1 dst_unused:UNUSED_PAD src0_sel:BYTE_1 src1_sel:DWORD
	v_dot4c_i32_i8_e32 v51, v60, v7
	v_or_b32_sdwa v62, v55, v5 dst_sel:DWORD dst_unused:UNUSED_PAD src0_sel:WORD_0 src1_sel:DWORD
	v_dot4c_i32_i8_e32 v69, v64, v7
	v_dot4c_i32_i8_e32 v51, v59, v0
	v_dot4c_i32_i8_e32 v69, v62, v0
	v_bfe_u32 v0, v53, 14, 8
	v_bcnt_u32_b32 v5, v0, 0
	v_and_b32_e32 v5, 1, v5
	v_lshlrev_b32_e32 v5, 7, v5
	v_xor_b32_e32 v0, v5, v0
	v_mul_lo_u32 v0, v0, s30
	v_and_b32_e32 v5, 0x8000000, v0
	v_lshrrev_b32_e32 v6, 8, v0
	v_lshrrev_b16_e32 v7, 1, v6
	v_cmp_ne_u16_sdwa s[34:35], v5, v15 src0_sel:BYTE_3 src1_sel:DWORD
	v_bfe_i32 v7, v7, 0, 1
	v_lshrrev_b32_e32 v53, 18, v0
	v_cndmask_b32_e64 v5, 0, -1, s[34:35]
	v_bfe_i32 v53, v53, 0, 1
	v_lshlrev_b16_e32 v5, 8, v5
	v_lshlrev_b16_e32 v7, 8, v7
	v_or_b32_sdwa v54, v53, v5 dst_sel:WORD_1 dst_unused:UNUSED_PAD src0_sel:BYTE_0 src1_sel:DWORD
	v_or_b32_sdwa v55, v71, v7 dst_sel:DWORD dst_unused:UNUSED_PAD src0_sel:BYTE_0 src1_sel:DWORD
	v_or_b32_sdwa v54, v55, v54 dst_sel:DWORD dst_unused:UNUSED_PAD src0_sel:WORD_0 src1_sel:DWORD
	s_waitcnt vmcnt(4)
	v_xor_b32_e32 v54, v70, v54
	v_and_b32_e32 v55, 0xffffff00, v54
	v_sub_i16 v7, v55, v7 clamp
	v_lshlrev_b16_e32 v55, 8, v54
	v_lshlrev_b16_e32 v56, 8, v71
	v_and_b32_e32 v7, 0xffffff00, v7
	v_sub_i16 v55, v55, v56 clamp
	v_or_b32_sdwa v7, v55, v7 dst_sel:DWORD dst_unused:UNUSED_PAD src0_sel:BYTE_1 src1_sel:DWORD
	v_and_b32_sdwa v55, v54, s31 dst_sel:DWORD dst_unused:UNUSED_PAD src0_sel:WORD_1 src1_sel:DWORD
	v_sub_i16 v5, v55, v5 clamp
	v_lshlrev_b16_sdwa v54, v41, v54 dst_sel:DWORD dst_unused:UNUSED_PAD src0_sel:DWORD src1_sel:WORD_1
	v_lshlrev_b16_e32 v53, 8, v53
	v_and_b32_e32 v5, 0xffffff00, v5
	v_sub_i16 v53, v54, v53 clamp
	v_or_b32_sdwa v5, v53, v5 dst_sel:WORD_1 dst_unused:UNUSED_PAD src0_sel:BYTE_1 src1_sel:DWORD
	v_lshrrev_b16_e32 v6, 5, v6
	v_or_b32_sdwa v70, v7, v5 dst_sel:DWORD dst_unused:UNUSED_PAD src0_sel:WORD_0 src1_sel:DWORD
	v_and_b32_e32 v5, 0x80000000, v0
	v_cmp_ne_u16_sdwa s[34:35], v5, v15 src0_sel:BYTE_3 src1_sel:DWORD
	v_bfe_i32 v6, v6, 0, 1
	v_lshrrev_b32_e32 v0, 22, v0
	v_cndmask_b32_e64 v5, 0, -1, s[34:35]
	v_bfe_i32 v7, v68, 2, 1
	v_bfe_i32 v0, v0, 0, 1
	v_lshlrev_b16_e32 v5, 8, v5
	v_lshlrev_b16_e32 v6, 8, v6
	v_or_b32_sdwa v53, v0, v5 dst_sel:WORD_1 dst_unused:UNUSED_PAD src0_sel:BYTE_0 src1_sel:DWORD
	v_or_b32_sdwa v54, v7, v6 dst_sel:DWORD dst_unused:UNUSED_PAD src0_sel:BYTE_0 src1_sel:DWORD
	v_or_b32_sdwa v53, v54, v53 dst_sel:DWORD dst_unused:UNUSED_PAD src0_sel:WORD_0 src1_sel:DWORD
	s_waitcnt vmcnt(2)
	v_xor_b32_e32 v53, v65, v53
	v_and_b32_e32 v54, 0xffffff00, v53
	v_sub_i16 v6, v54, v6 clamp
	v_lshlrev_b16_e32 v54, 8, v53
	v_lshlrev_b16_e32 v7, 8, v7
	v_and_b32_e32 v6, 0xffffff00, v6
	v_sub_i16 v7, v54, v7 clamp
	v_or_b32_sdwa v6, v7, v6 dst_sel:DWORD dst_unused:UNUSED_PAD src0_sel:BYTE_1 src1_sel:DWORD
	v_and_b32_sdwa v7, v53, s31 dst_sel:DWORD dst_unused:UNUSED_PAD src0_sel:WORD_1 src1_sel:DWORD
	v_sub_i16 v5, v7, v5 clamp
	v_lshlrev_b16_sdwa v7, v41, v53 dst_sel:DWORD dst_unused:UNUSED_PAD src0_sel:DWORD src1_sel:WORD_1
	v_lshlrev_b16_e32 v0, 8, v0
	v_and_b32_e32 v5, 0xffffff00, v5
	v_sub_i16 v0, v7, v0 clamp
	v_or_b32_sdwa v0, v0, v5 dst_sel:WORD_1 dst_unused:UNUSED_PAD src0_sel:BYTE_1 src1_sel:DWORD
	v_dot4c_i32_i8_e32 v51, v58, v1
	v_or_b32_sdwa v65, v6, v0 dst_sel:DWORD dst_unused:UNUSED_PAD src0_sel:WORD_0 src1_sel:DWORD
	v_bfe_u32 v0, v68, 5, 8
	v_dot4c_i32_i8_e32 v69, v70, v1
	v_bcnt_u32_b32 v1, v0, 0
	v_and_b32_e32 v1, 1, v1
	v_lshlrev_b32_e32 v1, 7, v1
	v_xor_b32_e32 v0, v1, v0
	v_mul_lo_u32 v0, v0, s30
	v_and_b32_e32 v1, 0x8000000, v0
	v_lshrrev_b32_e32 v5, 8, v0
	v_lshrrev_b16_e32 v6, 1, v5
	v_cmp_ne_u16_sdwa s[34:35], v1, v15 src0_sel:BYTE_3 src1_sel:DWORD
	v_bfe_i32 v6, v6, 0, 1
	v_lshrrev_b32_e32 v7, 18, v0
	v_cndmask_b32_e64 v1, 0, -1, s[34:35]
	v_dot4c_i32_i8_e32 v51, v61, v2
	v_dot4c_i32_i8_e32 v69, v65, v2
	v_bfe_i32 v2, v68, 5, 1
	v_bfe_i32 v7, v7, 0, 1
	v_lshlrev_b16_e32 v1, 8, v1
	v_lshlrev_b16_e32 v6, 8, v6
	v_or_b32_sdwa v53, v7, v1 dst_sel:WORD_1 dst_unused:UNUSED_PAD src0_sel:BYTE_0 src1_sel:DWORD
	v_or_b32_sdwa v54, v2, v6 dst_sel:DWORD dst_unused:UNUSED_PAD src0_sel:BYTE_0 src1_sel:DWORD
	v_or_b32_sdwa v53, v54, v53 dst_sel:DWORD dst_unused:UNUSED_PAD src0_sel:WORD_0 src1_sel:DWORD
	v_xor_b32_e32 v53, v72, v53
	v_and_b32_e32 v54, 0xffffff00, v53
	v_sub_i16 v6, v54, v6 clamp
	v_lshlrev_b16_e32 v54, 8, v53
	v_lshlrev_b16_e32 v2, 8, v2
	v_and_b32_e32 v6, 0xffffff00, v6
	v_sub_i16 v2, v54, v2 clamp
	v_or_b32_sdwa v2, v2, v6 dst_sel:DWORD dst_unused:UNUSED_PAD src0_sel:BYTE_1 src1_sel:DWORD
	v_and_b32_sdwa v6, v53, s31 dst_sel:DWORD dst_unused:UNUSED_PAD src0_sel:WORD_1 src1_sel:DWORD
	v_sub_i16 v1, v6, v1 clamp
	v_lshlrev_b16_sdwa v6, v41, v53 dst_sel:DWORD dst_unused:UNUSED_PAD src0_sel:DWORD src1_sel:WORD_1
	v_lshlrev_b16_e32 v7, 8, v7
	v_and_b32_e32 v1, 0xffffff00, v1
	v_sub_i16 v6, v6, v7 clamp
	v_or_b32_sdwa v1, v6, v1 dst_sel:WORD_1 dst_unused:UNUSED_PAD src0_sel:BYTE_1 src1_sel:DWORD
	v_lshrrev_b16_e32 v5, 5, v5
	v_or_b32_sdwa v71, v2, v1 dst_sel:DWORD dst_unused:UNUSED_PAD src0_sel:WORD_0 src1_sel:DWORD
	v_and_b32_e32 v1, 0x80000000, v0
	v_cmp_ne_u16_sdwa s[34:35], v1, v15 src0_sel:BYTE_3 src1_sel:DWORD
	v_bfe_i32 v5, v5, 0, 1
	v_lshrrev_b32_e32 v0, 22, v0
	v_cndmask_b32_e64 v1, 0, -1, s[34:35]
	v_bfe_i32 v2, v68, 9, 1
	v_bfe_i32 v0, v0, 0, 1
	v_lshlrev_b16_e32 v1, 8, v1
	v_lshlrev_b16_e32 v5, 8, v5
	v_or_b32_sdwa v6, v0, v1 dst_sel:WORD_1 dst_unused:UNUSED_PAD src0_sel:BYTE_0 src1_sel:DWORD
	v_or_b32_sdwa v7, v2, v5 dst_sel:DWORD dst_unused:UNUSED_PAD src0_sel:BYTE_0 src1_sel:DWORD
	v_or_b32_sdwa v6, v7, v6 dst_sel:DWORD dst_unused:UNUSED_PAD src0_sel:WORD_0 src1_sel:DWORD
	s_waitcnt vmcnt(1)
	v_xor_b32_e32 v6, v73, v6
	v_and_b32_e32 v7, 0xffffff00, v6
	v_sub_i16 v5, v7, v5 clamp
	v_lshlrev_b16_e32 v7, 8, v6
	v_lshlrev_b16_e32 v2, 8, v2
	v_and_b32_e32 v5, 0xffffff00, v5
	v_sub_i16 v2, v7, v2 clamp
	v_or_b32_sdwa v2, v2, v5 dst_sel:DWORD dst_unused:UNUSED_PAD src0_sel:BYTE_1 src1_sel:DWORD
	v_and_b32_sdwa v5, v6, s31 dst_sel:DWORD dst_unused:UNUSED_PAD src0_sel:WORD_1 src1_sel:DWORD
	v_sub_i16 v1, v5, v1 clamp
	v_lshlrev_b16_sdwa v5, v41, v6 dst_sel:DWORD dst_unused:UNUSED_PAD src0_sel:DWORD src1_sel:WORD_1
	v_lshlrev_b16_e32 v0, 8, v0
	v_and_b32_e32 v1, 0xffffff00, v1
	v_sub_i16 v0, v5, v0 clamp
	v_dot4c_i32_i8_e32 v51, v75, v3
	v_or_b32_sdwa v0, v0, v1 dst_sel:WORD_1 dst_unused:UNUSED_PAD src0_sel:BYTE_1 src1_sel:DWORD
	v_dot4c_i32_i8_e32 v51, v66, v36
	v_or_b32_sdwa v72, v2, v0 dst_sel:DWORD dst_unused:UNUSED_PAD src0_sel:WORD_0 src1_sel:DWORD
	v_dot4c_i32_i8_e32 v69, v71, v3
	v_dot4c_i32_i8_e32 v69, v72, v36
	v_lshrrev_b32_e32 v0, 31, v51
	v_add_u32_e32 v0, v51, v0
	v_lshrrev_b32_e32 v73, 12, v37
	v_lshrrev_b32_e32 v1, 31, v69
	v_ashrrev_i32_e32 v0, 1, v0
	v_add_u32_e32 v1, v69, v1
	v_lshrrev_b32_e32 v68, 12, v68
	v_ashrrev_i32_e32 v2, 1, v1
	v_mad_u64_u32 v[0:1], s[34:35], v51, v73, v[0:1]
	v_mad_u64_u32 v[2:3], s[34:35], v69, v68, v[2:3]
	v_lshrrev_b32_e32 v1, 31, v0
	v_add_u32_e32 v0, v0, v1
	v_lshrrev_b32_e32 v1, 31, v2
	v_add_u32_e32 v1, v2, v1
	v_ashrrev_i32_e32 v0, 1, v0
	v_ashrrev_i32_e32 v1, 1, v1
	v_cvt_f32_i32_e32 v7, v1
	v_cvt_f32_i32_e32 v6, v0
	scratch_load_dwordx4 v[0:3], off, off offset:32
	s_waitcnt vmcnt(1)
	v_cvt_f32_f16_e32 v37, v74
	v_cvt_f32_f16_e32 v36, v52
	v_pk_mul_f32 v[4:5], v[4:5], v[36:37] op_sel_hi:[0,1]
	s_waitcnt vmcnt(0)
	v_pk_fma_f32 v[0:1], v[4:5], v[6:7], v[0:1]
	v_add_u32_e32 v4, s26, v39
	v_mad_u64_u32 v[4:5], s[34:35], v4, 36, s[24:25]
	v_mad_u64_u32 v[56:57], s[34:35], v16, 36, v[4:5]
	global_load_dword v51, v[56:57], off offset:32
	global_load_dwordx4 v[4:7], v[56:57], off offset:16
	global_load_dwordx4 v[52:55], v[56:57], off
	v_mov_b32_e32 v56, 0
	s_waitcnt vmcnt(0)
	v_dot4c_i32_i8_e32 v56, v38, v53
	v_mov_b32_e32 v38, 0
	v_dot4c_i32_i8_e32 v56, v50, v54
	v_dot4c_i32_i8_e32 v38, v67, v53
	;; [unrolled: 1-line block ×15, first 2 shown]
	v_cvt_f32_f16_e32 v52, v52
	v_lshrrev_b32_e32 v4, 31, v56
	v_add_u32_e32 v4, v56, v4
	v_lshrrev_b32_e32 v5, 31, v38
	v_ashrrev_i32_e32 v4, 1, v4
	v_add_u32_e32 v5, v38, v5
	v_ashrrev_i32_e32 v6, 1, v5
	v_mad_u64_u32 v[4:5], s[34:35], v56, v73, v[4:5]
	v_lshrrev_b32_e32 v5, 31, v4
	v_mad_u64_u32 v[6:7], s[34:35], v38, v68, v[6:7]
	v_add_u32_e32 v4, v4, v5
	v_ashrrev_i32_e32 v38, 1, v4
	v_lshrrev_b32_e32 v4, 31, v6
	v_add_u32_e32 v4, v6, v4
	v_ashrrev_i32_e32 v6, 1, v4
	v_cvt_f32_i32_e32 v7, v6
	v_cvt_f32_i32_e32 v6, v38
	v_pk_mul_f32 v[4:5], v[52:53], v[36:37] op_sel_hi:[0,1]
	v_pk_fma_f32 v[2:3], v[4:5], v[6:7], v[2:3]
	scratch_store_dwordx4 off, v[0:3], off offset:32
	s_nop 1
	v_add_u32_e32 v0, s27, v39
	v_mad_u64_u32 v[0:1], s[34:35], v0, 36, s[24:25]
	v_mad_u64_u32 v[50:51], s[34:35], v16, 36, v[0:1]
	global_load_dword v36, v[50:51], off offset:32
	global_load_dwordx4 v[0:3], v[50:51], off offset:16
	global_load_dwordx4 v[4:7], v[50:51], off
	global_load_ushort v38, v[32:33], off offset:2
	global_load_ushort v52, v[34:35], off offset:2
	s_nop 0
	global_load_ushort v50, v[34:35], off offset:4
	global_load_ushort v51, v[34:35], off offset:6
	;; [unrolled: 1-line block ×3, first 2 shown]
	s_waitcnt vmcnt(4)
	v_lshlrev_b32_sdwa v32, v40, v38 dst_sel:DWORD dst_unused:UNUSED_PAD src0_sel:DWORD src1_sel:BYTE_1
	global_load_ushort v24, v[24:25], off offset:66
	v_and_b32_sdwa v25, s23, v38 dst_sel:DWORD dst_unused:UNUSED_PAD src0_sel:DWORD src1_sel:BYTE_0
	v_lshlrev_b32_e32 v25, 2, v25
	global_load_dword v25, v25, s[20:21]
	s_waitcnt vmcnt(2)
	v_and_b32_e32 v37, 0xffff, v53
	global_load_dword v32, v32, s[20:21]
	v_and_b32_e32 v33, 0xff, v37
	v_bcnt_u32_b32 v34, v33, 0
	v_and_b32_e32 v34, 1, v34
	v_lshlrev_b32_e32 v34, 7, v34
	v_xor_b32_e32 v33, v34, v33
	v_mul_lo_u32 v33, v33, s30
	v_and_b32_e32 v34, 0x8000000, v33
	v_lshrrev_b32_e32 v38, 8, v33
	v_and_b32_e32 v35, 1, v53
	v_lshrrev_b16_e32 v53, 1, v38
	v_cmp_ne_u16_sdwa s[34:35], v34, v15 src0_sel:BYTE_3 src1_sel:DWORD
	v_bfe_i32 v53, v53, 0, 1
	v_lshrrev_b32_e32 v54, 18, v33
	v_cndmask_b32_e64 v34, 0, -1, s[34:35]
	v_sub_u16_e32 v35, 0, v35
	v_bfe_i32 v54, v54, 0, 1
	v_lshlrev_b16_e32 v34, 8, v34
	v_lshlrev_b16_e32 v53, 8, v53
	v_or_b32_sdwa v55, v54, v34 dst_sel:WORD_1 dst_unused:UNUSED_PAD src0_sel:BYTE_0 src1_sel:DWORD
	v_or_b32_sdwa v56, v35, v53 dst_sel:DWORD dst_unused:UNUSED_PAD src0_sel:BYTE_0 src1_sel:DWORD
	v_or_b32_sdwa v55, v56, v55 dst_sel:DWORD dst_unused:UNUSED_PAD src0_sel:WORD_0 src1_sel:DWORD
	v_lshlrev_b16_e32 v35, 8, v35
	v_lshrrev_b16_e32 v38, 5, v38
	v_bfe_i32 v38, v38, 0, 1
	v_lshlrev_b16_e32 v38, 8, v38
	v_cvt_f32_f16_e32 v4, v4
	s_waitcnt vmcnt(1)
	v_xor_b32_e32 v25, v25, v55
	v_and_b32_e32 v55, 0xffffff00, v25
	v_sub_i16 v53, v55, v53 clamp
	v_lshlrev_b16_e32 v55, 8, v25
	v_and_b32_e32 v53, 0xffffff00, v53
	v_sub_i16 v35, v55, v35 clamp
	v_or_b32_sdwa v35, v35, v53 dst_sel:DWORD dst_unused:UNUSED_PAD src0_sel:BYTE_1 src1_sel:DWORD
	v_and_b32_sdwa v53, v25, s31 dst_sel:DWORD dst_unused:UNUSED_PAD src0_sel:WORD_1 src1_sel:DWORD
	v_sub_i16 v34, v53, v34 clamp
	v_lshlrev_b16_sdwa v25, v41, v25 dst_sel:DWORD dst_unused:UNUSED_PAD src0_sel:DWORD src1_sel:WORD_1
	v_lshlrev_b16_e32 v53, 8, v54
	v_and_b32_e32 v34, 0xffffff00, v34
	v_sub_i16 v25, v25, v53 clamp
	v_or_b32_sdwa v25, v25, v34 dst_sel:WORD_1 dst_unused:UNUSED_PAD src0_sel:BYTE_1 src1_sel:DWORD
	v_bfe_i32 v55, v37, 7, 1
	v_or_b32_sdwa v34, v35, v25 dst_sel:DWORD dst_unused:UNUSED_PAD src0_sel:WORD_0 src1_sel:DWORD
	v_and_b32_e32 v25, 0x80000000, v33
	v_cmp_ne_u16_sdwa s[34:35], v25, v15 src0_sel:BYTE_3 src1_sel:DWORD
	v_lshrrev_b32_e32 v33, 22, v33
	v_bfe_i32 v35, v37, 4, 1
	v_cndmask_b32_e64 v25, 0, -1, s[34:35]
	v_bfe_i32 v33, v33, 0, 1
	v_lshlrev_b16_e32 v25, 8, v25
	v_or_b32_sdwa v53, v33, v25 dst_sel:WORD_1 dst_unused:UNUSED_PAD src0_sel:BYTE_0 src1_sel:DWORD
	v_or_b32_sdwa v54, v35, v38 dst_sel:DWORD dst_unused:UNUSED_PAD src0_sel:BYTE_0 src1_sel:DWORD
	v_or_b32_sdwa v53, v54, v53 dst_sel:DWORD dst_unused:UNUSED_PAD src0_sel:WORD_0 src1_sel:DWORD
	s_waitcnt vmcnt(0)
	v_xor_b32_e32 v32, v32, v53
	v_and_b32_e32 v53, 0xffffff00, v32
	v_sub_i16 v38, v53, v38 clamp
	v_lshlrev_b16_e32 v53, 8, v32
	v_lshlrev_b16_e32 v35, 8, v35
	v_and_b32_e32 v38, 0xffffff00, v38
	v_sub_i16 v35, v53, v35 clamp
	v_or_b32_sdwa v35, v35, v38 dst_sel:DWORD dst_unused:UNUSED_PAD src0_sel:BYTE_1 src1_sel:DWORD
	v_and_b32_sdwa v38, v32, s31 dst_sel:DWORD dst_unused:UNUSED_PAD src0_sel:WORD_1 src1_sel:DWORD
	v_sub_i16 v25, v38, v25 clamp
	v_lshlrev_b16_sdwa v32, v41, v32 dst_sel:DWORD dst_unused:UNUSED_PAD src0_sel:DWORD src1_sel:WORD_1
	v_lshlrev_b16_e32 v33, 8, v33
	v_and_b32_e32 v25, 0xffffff00, v25
	v_sub_i16 v32, v32, v33 clamp
	v_or_b32_sdwa v25, v32, v25 dst_sel:WORD_1 dst_unused:UNUSED_PAD src0_sel:BYTE_1 src1_sel:DWORD
	v_lshlrev_b32_sdwa v33, v40, v51 dst_sel:DWORD dst_unused:UNUSED_PAD src0_sel:DWORD src1_sel:BYTE_1
	v_or_b32_sdwa v32, v35, v25 dst_sel:DWORD dst_unused:UNUSED_PAD src0_sel:WORD_0 src1_sel:DWORD
	v_mov_b32_e32 v25, 0
	v_dot4c_i32_i8_e32 v25, v34, v5
	v_dot4c_i32_i8_e32 v25, v32, v6
	v_and_b32_sdwa v32, s23, v52 dst_sel:DWORD dst_unused:UNUSED_PAD src0_sel:DWORD src1_sel:BYTE_0
	v_lshlrev_b32_e32 v32, 2, v32
	global_load_dword v56, v32, s[20:21]
	v_lshlrev_b32_sdwa v32, v40, v52 dst_sel:DWORD dst_unused:UNUSED_PAD src0_sel:DWORD src1_sel:BYTE_1
	global_load_dword v54, v32, s[20:21]
	v_and_b32_sdwa v32, s23, v50 dst_sel:DWORD dst_unused:UNUSED_PAD src0_sel:DWORD src1_sel:BYTE_0
	v_lshlrev_b32_e32 v32, 2, v32
	global_load_dword v53, v32, s[20:21]
	v_lshlrev_b32_sdwa v32, v40, v50 dst_sel:DWORD dst_unused:UNUSED_PAD src0_sel:DWORD src1_sel:BYTE_1
	global_load_dword v38, v32, s[20:21]
	v_and_b32_sdwa v32, s23, v51 dst_sel:DWORD dst_unused:UNUSED_PAD src0_sel:DWORD src1_sel:BYTE_0
	v_lshlrev_b32_e32 v32, 2, v32
	global_load_dword v50, v32, s[20:21]
	global_load_dword v51, v33, s[20:21]
	s_nop 0
	global_load_ushort v32, v[10:11], off
	global_load_ushort v34, v[26:27], off offset:2
	global_load_ushort v35, v[28:29], off offset:2
	;; [unrolled: 1-line block ×6, first 2 shown]
	v_bfe_i32 v52, v37, 14, 1
	s_waitcnt vmcnt(5)
	v_and_b32_sdwa v11, s23, v34 dst_sel:DWORD dst_unused:UNUSED_PAD src0_sel:DWORD src1_sel:BYTE_0
	v_lshlrev_b32_e32 v11, 2, v11
	global_load_dword v11, v11, s[20:21]
	v_lshlrev_b32_sdwa v26, v40, v34 dst_sel:DWORD dst_unused:UNUSED_PAD src0_sel:DWORD src1_sel:BYTE_1
	global_load_dword v26, v26, s[20:21]
	s_waitcnt vmcnt(3)
	v_and_b32_e32 v33, 0xffff, v59
	v_and_b32_e32 v27, 0xff, v33
	v_bcnt_u32_b32 v28, v27, 0
	v_and_b32_e32 v28, 1, v28
	v_lshlrev_b32_e32 v28, 7, v28
	v_xor_b32_e32 v27, v28, v27
	v_mul_lo_u32 v27, v27, s30
	v_and_b32_e32 v28, 0x8000000, v27
	v_lshrrev_b32_e32 v30, 8, v27
	v_lshrrev_b16_e32 v31, 1, v30
	v_cmp_ne_u16_sdwa s[34:35], v28, v15 src0_sel:BYTE_3 src1_sel:DWORD
	v_and_b32_e32 v29, 1, v59
	v_bfe_i32 v31, v31, 0, 1
	v_lshrrev_b32_e32 v34, 18, v27
	v_cndmask_b32_e64 v28, 0, -1, s[34:35]
	v_sub_u16_e32 v29, 0, v29
	v_bfe_i32 v34, v34, 0, 1
	v_lshlrev_b16_e32 v28, 8, v28
	v_lshlrev_b16_e32 v31, 8, v31
	v_or_b32_sdwa v59, v34, v28 dst_sel:WORD_1 dst_unused:UNUSED_PAD src0_sel:BYTE_0 src1_sel:DWORD
	v_or_b32_sdwa v60, v29, v31 dst_sel:DWORD dst_unused:UNUSED_PAD src0_sel:BYTE_0 src1_sel:DWORD
	v_or_b32_sdwa v59, v60, v59 dst_sel:DWORD dst_unused:UNUSED_PAD src0_sel:WORD_0 src1_sel:DWORD
	v_lshlrev_b16_e32 v29, 8, v29
	v_lshrrev_b16_e32 v30, 5, v30
	v_bfe_i32 v30, v30, 0, 1
	v_lshlrev_b16_e32 v30, 8, v30
	s_waitcnt vmcnt(1)
	v_xor_b32_e32 v11, v11, v59
	v_and_b32_e32 v59, 0xffffff00, v11
	v_sub_i16 v31, v59, v31 clamp
	v_lshlrev_b16_e32 v59, 8, v11
	v_and_b32_e32 v31, 0xffffff00, v31
	v_sub_i16 v29, v59, v29 clamp
	v_or_b32_sdwa v29, v29, v31 dst_sel:DWORD dst_unused:UNUSED_PAD src0_sel:BYTE_1 src1_sel:DWORD
	v_and_b32_sdwa v31, v11, s31 dst_sel:DWORD dst_unused:UNUSED_PAD src0_sel:WORD_1 src1_sel:DWORD
	v_sub_i16 v28, v31, v28 clamp
	v_lshlrev_b16_sdwa v11, v41, v11 dst_sel:DWORD dst_unused:UNUSED_PAD src0_sel:DWORD src1_sel:WORD_1
	v_lshlrev_b16_e32 v31, 8, v34
	v_and_b32_e32 v28, 0xffffff00, v28
	v_sub_i16 v11, v11, v31 clamp
	v_or_b32_sdwa v11, v11, v28 dst_sel:WORD_1 dst_unused:UNUSED_PAD src0_sel:BYTE_1 src1_sel:DWORD
	s_nop 0
	v_or_b32_sdwa v28, v29, v11 dst_sel:DWORD dst_unused:UNUSED_PAD src0_sel:WORD_0 src1_sel:DWORD
	v_and_b32_e32 v11, 0x80000000, v27
	v_cmp_ne_u16_sdwa s[34:35], v11, v15 src0_sel:BYTE_3 src1_sel:DWORD
	v_lshrrev_b32_e32 v27, 22, v27
	v_bfe_i32 v29, v33, 4, 1
	v_cndmask_b32_e64 v11, 0, -1, s[34:35]
	v_bfe_i32 v27, v27, 0, 1
	v_lshlrev_b16_e32 v11, 8, v11
	v_or_b32_sdwa v31, v27, v11 dst_sel:WORD_1 dst_unused:UNUSED_PAD src0_sel:BYTE_0 src1_sel:DWORD
	v_or_b32_sdwa v34, v29, v30 dst_sel:DWORD dst_unused:UNUSED_PAD src0_sel:BYTE_0 src1_sel:DWORD
	v_or_b32_sdwa v31, v34, v31 dst_sel:DWORD dst_unused:UNUSED_PAD src0_sel:WORD_0 src1_sel:DWORD
	s_waitcnt vmcnt(0)
	v_xor_b32_e32 v26, v26, v31
	v_and_b32_e32 v31, 0xffffff00, v26
	v_sub_i16 v30, v31, v30 clamp
	v_lshlrev_b16_e32 v31, 8, v26
	v_lshlrev_b16_e32 v29, 8, v29
	v_and_b32_e32 v30, 0xffffff00, v30
	v_sub_i16 v29, v31, v29 clamp
	v_or_b32_sdwa v29, v29, v30 dst_sel:DWORD dst_unused:UNUSED_PAD src0_sel:BYTE_1 src1_sel:DWORD
	v_and_b32_sdwa v30, v26, s31 dst_sel:DWORD dst_unused:UNUSED_PAD src0_sel:WORD_1 src1_sel:DWORD
	v_sub_i16 v11, v30, v11 clamp
	v_lshlrev_b16_sdwa v26, v41, v26 dst_sel:DWORD dst_unused:UNUSED_PAD src0_sel:DWORD src1_sel:WORD_1
	v_lshlrev_b16_e32 v27, 8, v27
	v_and_b32_e32 v11, 0xffffff00, v11
	v_sub_i16 v26, v26, v27 clamp
	v_or_b32_sdwa v11, v26, v11 dst_sel:WORD_1 dst_unused:UNUSED_PAD src0_sel:BYTE_1 src1_sel:DWORD
	v_bfe_i32 v31, v33, 7, 1
	v_or_b32_sdwa v26, v29, v11 dst_sel:DWORD dst_unused:UNUSED_PAD src0_sel:WORD_0 src1_sel:DWORD
	v_mov_b32_e32 v11, 0
	v_dot4c_i32_i8_e32 v11, v28, v5
	v_and_b32_sdwa v5, s23, v35 dst_sel:DWORD dst_unused:UNUSED_PAD src0_sel:DWORD src1_sel:BYTE_0
	v_lshlrev_b32_e32 v5, 2, v5
	global_load_dword v34, v5, s[20:21]
	v_lshlrev_b32_sdwa v5, v40, v35 dst_sel:DWORD dst_unused:UNUSED_PAD src0_sel:DWORD src1_sel:BYTE_1
	global_load_dword v30, v5, s[20:21]
	v_and_b32_sdwa v5, s23, v57 dst_sel:DWORD dst_unused:UNUSED_PAD src0_sel:DWORD src1_sel:BYTE_0
	v_lshlrev_b32_e32 v5, 2, v5
	global_load_dword v29, v5, s[20:21]
	v_lshlrev_b32_sdwa v5, v40, v57 dst_sel:DWORD dst_unused:UNUSED_PAD src0_sel:DWORD src1_sel:BYTE_1
	global_load_dword v27, v5, s[20:21]
	v_and_b32_sdwa v5, s23, v58 dst_sel:DWORD dst_unused:UNUSED_PAD src0_sel:DWORD src1_sel:BYTE_0
	v_dot4c_i32_i8_e32 v11, v26, v6
	v_lshlrev_b32_e32 v5, 2, v5
	v_lshlrev_b32_sdwa v26, v40, v58 dst_sel:DWORD dst_unused:UNUSED_PAD src0_sel:DWORD src1_sel:BYTE_1
	global_load_dword v6, v5, s[20:21]
	s_nop 0
	global_load_dword v5, v26, s[20:21]
	global_load_ushort v35, v[8:9], off
	v_bfe_u32 v9, v37, 7, 8
	v_bcnt_u32_b32 v57, v9, 0
	v_and_b32_e32 v57, 1, v57
	v_lshlrev_b32_e32 v57, 7, v57
	v_xor_b32_e32 v9, v57, v9
	v_mul_lo_u32 v9, v9, s30
	v_and_b32_e32 v57, 0x8000000, v9
	v_lshrrev_b32_e32 v58, 8, v9
	v_lshrrev_b16_e32 v59, 1, v58
	v_cmp_ne_u16_sdwa s[34:35], v57, v15 src0_sel:BYTE_3 src1_sel:DWORD
	v_bfe_i32 v59, v59, 0, 1
	v_lshrrev_b32_e32 v60, 18, v9
	v_cndmask_b32_e64 v57, 0, -1, s[34:35]
	v_bfe_i32 v60, v60, 0, 1
	v_lshlrev_b16_e32 v57, 8, v57
	v_lshlrev_b16_e32 v59, 8, v59
	v_or_b32_sdwa v61, v60, v57 dst_sel:WORD_1 dst_unused:UNUSED_PAD src0_sel:BYTE_0 src1_sel:DWORD
	v_or_b32_sdwa v62, v55, v59 dst_sel:DWORD dst_unused:UNUSED_PAD src0_sel:BYTE_0 src1_sel:DWORD
	v_or_b32_sdwa v61, v62, v61 dst_sel:DWORD dst_unused:UNUSED_PAD src0_sel:WORD_0 src1_sel:DWORD
	v_xor_b32_e32 v56, v56, v61
	v_and_b32_e32 v61, 0xffffff00, v56
	v_sub_i16 v59, v61, v59 clamp
	v_lshlrev_b16_e32 v61, 8, v56
	v_lshlrev_b16_e32 v55, 8, v55
	v_and_b32_e32 v59, 0xffffff00, v59
	v_sub_i16 v55, v61, v55 clamp
	v_or_b32_sdwa v55, v55, v59 dst_sel:DWORD dst_unused:UNUSED_PAD src0_sel:BYTE_1 src1_sel:DWORD
	v_and_b32_sdwa v59, v56, s31 dst_sel:DWORD dst_unused:UNUSED_PAD src0_sel:WORD_1 src1_sel:DWORD
	v_sub_i16 v57, v59, v57 clamp
	v_lshlrev_b16_sdwa v56, v41, v56 dst_sel:DWORD dst_unused:UNUSED_PAD src0_sel:DWORD src1_sel:WORD_1
	v_lshlrev_b16_e32 v59, 8, v60
	v_and_b32_e32 v57, 0xffffff00, v57
	v_sub_i16 v56, v56, v59 clamp
	v_or_b32_sdwa v56, v56, v57 dst_sel:WORD_1 dst_unused:UNUSED_PAD src0_sel:BYTE_1 src1_sel:DWORD
	v_lshrrev_b16_e32 v57, 5, v58
	v_or_b32_sdwa v55, v55, v56 dst_sel:DWORD dst_unused:UNUSED_PAD src0_sel:WORD_0 src1_sel:DWORD
	v_and_b32_e32 v56, 0x80000000, v9
	v_cmp_ne_u16_sdwa s[34:35], v56, v15 src0_sel:BYTE_3 src1_sel:DWORD
	v_lshlrev_b32_e32 v26, 16, v24
	v_bfe_i32 v57, v57, 0, 1
	v_lshrrev_b32_e32 v9, 22, v9
	v_cndmask_b32_e64 v56, 0, -1, s[34:35]
	v_or_b32_e32 v8, v26, v37
	v_bfe_i32 v37, v37, 11, 1
	v_bfe_i32 v9, v9, 0, 1
	v_lshlrev_b16_e32 v56, 8, v56
	v_lshlrev_b16_e32 v57, 8, v57
	v_or_b32_sdwa v58, v9, v56 dst_sel:WORD_1 dst_unused:UNUSED_PAD src0_sel:BYTE_0 src1_sel:DWORD
	v_or_b32_sdwa v59, v37, v57 dst_sel:DWORD dst_unused:UNUSED_PAD src0_sel:BYTE_0 src1_sel:DWORD
	v_or_b32_sdwa v58, v59, v58 dst_sel:DWORD dst_unused:UNUSED_PAD src0_sel:WORD_0 src1_sel:DWORD
	v_xor_b32_e32 v54, v54, v58
	v_and_b32_e32 v58, 0xffffff00, v54
	v_sub_i16 v57, v58, v57 clamp
	v_lshlrev_b16_e32 v58, 8, v54
	v_lshlrev_b16_e32 v37, 8, v37
	v_and_b32_e32 v57, 0xffffff00, v57
	v_sub_i16 v37, v58, v37 clamp
	v_or_b32_sdwa v37, v37, v57 dst_sel:DWORD dst_unused:UNUSED_PAD src0_sel:BYTE_1 src1_sel:DWORD
	v_and_b32_sdwa v57, v54, s31 dst_sel:DWORD dst_unused:UNUSED_PAD src0_sel:WORD_1 src1_sel:DWORD
	v_sub_i16 v56, v57, v56 clamp
	v_lshlrev_b16_sdwa v54, v41, v54 dst_sel:DWORD dst_unused:UNUSED_PAD src0_sel:DWORD src1_sel:WORD_1
	v_lshlrev_b16_e32 v9, 8, v9
	v_and_b32_e32 v56, 0xffffff00, v56
	v_sub_i16 v9, v54, v9 clamp
	v_or_b32_sdwa v9, v9, v56 dst_sel:WORD_1 dst_unused:UNUSED_PAD src0_sel:BYTE_1 src1_sel:DWORD
	v_dot4c_i32_i8_e32 v25, v55, v7
	v_or_b32_sdwa v9, v37, v9 dst_sel:DWORD dst_unused:UNUSED_PAD src0_sel:WORD_0 src1_sel:DWORD
	v_bfe_u32 v8, v8, 14, 8
	v_dot4c_i32_i8_e32 v25, v9, v0
	v_bcnt_u32_b32 v9, v8, 0
	v_and_b32_e32 v9, 1, v9
	v_lshlrev_b32_e32 v9, 7, v9
	v_xor_b32_e32 v8, v9, v8
	v_mul_lo_u32 v8, v8, s30
	v_and_b32_e32 v9, 0x8000000, v8
	v_lshrrev_b32_e32 v37, 8, v8
	v_lshrrev_b16_e32 v54, 1, v37
	v_cmp_ne_u16_sdwa s[34:35], v9, v15 src0_sel:BYTE_3 src1_sel:DWORD
	v_bfe_i32 v54, v54, 0, 1
	v_lshrrev_b32_e32 v55, 18, v8
	v_cndmask_b32_e64 v9, 0, -1, s[34:35]
	v_bfe_i32 v55, v55, 0, 1
	v_lshlrev_b16_e32 v9, 8, v9
	v_lshlrev_b16_e32 v54, 8, v54
	v_or_b32_sdwa v56, v55, v9 dst_sel:WORD_1 dst_unused:UNUSED_PAD src0_sel:BYTE_0 src1_sel:DWORD
	v_or_b32_sdwa v57, v52, v54 dst_sel:DWORD dst_unused:UNUSED_PAD src0_sel:BYTE_0 src1_sel:DWORD
	v_or_b32_sdwa v56, v57, v56 dst_sel:DWORD dst_unused:UNUSED_PAD src0_sel:WORD_0 src1_sel:DWORD
	v_xor_b32_e32 v53, v53, v56
	v_and_b32_e32 v56, 0xffffff00, v53
	v_sub_i16 v54, v56, v54 clamp
	v_lshlrev_b16_e32 v56, 8, v53
	v_lshlrev_b16_e32 v52, 8, v52
	v_and_b32_e32 v54, 0xffffff00, v54
	v_sub_i16 v52, v56, v52 clamp
	v_or_b32_sdwa v52, v52, v54 dst_sel:DWORD dst_unused:UNUSED_PAD src0_sel:BYTE_1 src1_sel:DWORD
	v_and_b32_sdwa v54, v53, s31 dst_sel:DWORD dst_unused:UNUSED_PAD src0_sel:WORD_1 src1_sel:DWORD
	v_sub_i16 v9, v54, v9 clamp
	v_lshlrev_b16_sdwa v53, v41, v53 dst_sel:DWORD dst_unused:UNUSED_PAD src0_sel:DWORD src1_sel:WORD_1
	v_lshlrev_b16_e32 v54, 8, v55
	v_and_b32_e32 v9, 0xffffff00, v9
	v_sub_i16 v53, v53, v54 clamp
	v_or_b32_sdwa v9, v53, v9 dst_sel:WORD_1 dst_unused:UNUSED_PAD src0_sel:BYTE_1 src1_sel:DWORD
	v_lshrrev_b16_e32 v37, 5, v37
	v_or_b32_sdwa v9, v52, v9 dst_sel:DWORD dst_unused:UNUSED_PAD src0_sel:WORD_0 src1_sel:DWORD
	v_and_b32_e32 v52, 0x80000000, v8
	v_cmp_ne_u16_sdwa s[34:35], v52, v15 src0_sel:BYTE_3 src1_sel:DWORD
	v_bfe_i32 v37, v37, 0, 1
	v_lshrrev_b32_e32 v8, 22, v8
	v_cndmask_b32_e64 v52, 0, -1, s[34:35]
	v_bfe_i32 v8, v8, 0, 1
	v_lshlrev_b16_e32 v52, 8, v52
	v_lshlrev_b16_e32 v54, 8, v37
	v_bfe_i32 v37, v24, 2, 1
	v_or_b32_sdwa v53, v8, v52 dst_sel:WORD_1 dst_unused:UNUSED_PAD src0_sel:BYTE_0 src1_sel:DWORD
	v_or_b32_sdwa v55, v37, v54 dst_sel:DWORD dst_unused:UNUSED_PAD src0_sel:BYTE_0 src1_sel:DWORD
	v_or_b32_sdwa v53, v55, v53 dst_sel:DWORD dst_unused:UNUSED_PAD src0_sel:WORD_0 src1_sel:DWORD
	v_xor_b32_e32 v53, v38, v53
	v_and_b32_e32 v38, 0xffffff00, v53
	v_sub_i16 v38, v38, v54 clamp
	v_and_b32_e32 v54, 0xffffff00, v38
	v_lshlrev_b16_e32 v55, 8, v53
	v_lshlrev_b16_e32 v38, 8, v37
	v_sub_i16 v55, v55, v38 clamp
	v_or_b32_sdwa v54, v55, v54 dst_sel:DWORD dst_unused:UNUSED_PAD src0_sel:BYTE_1 src1_sel:DWORD
	v_and_b32_sdwa v55, v53, s31 dst_sel:DWORD dst_unused:UNUSED_PAD src0_sel:WORD_1 src1_sel:DWORD
	v_sub_i16 v52, v55, v52 clamp
	v_lshlrev_b16_sdwa v53, v41, v53 dst_sel:DWORD dst_unused:UNUSED_PAD src0_sel:DWORD src1_sel:WORD_1
	v_lshlrev_b16_e32 v8, 8, v8
	v_and_b32_e32 v52, 0xffffff00, v52
	v_sub_i16 v8, v53, v8 clamp
	v_or_b32_sdwa v8, v8, v52 dst_sel:WORD_1 dst_unused:UNUSED_PAD src0_sel:BYTE_1 src1_sel:DWORD
	v_dot4c_i32_i8_e32 v25, v9, v1
	v_or_b32_sdwa v8, v54, v8 dst_sel:DWORD dst_unused:UNUSED_PAD src0_sel:WORD_0 src1_sel:DWORD
	v_dot4c_i32_i8_e32 v25, v8, v2
	v_bfe_u32 v8, v24, 5, 8
	v_bcnt_u32_b32 v9, v8, 0
	v_and_b32_e32 v9, 1, v9
	v_lshlrev_b32_e32 v9, 7, v9
	v_xor_b32_e32 v8, v9, v8
	v_mul_lo_u32 v8, v8, s30
	v_and_b32_e32 v9, 0x8000000, v8
	v_lshrrev_b32_e32 v53, 8, v8
	v_lshrrev_b16_e32 v54, 1, v53
	v_cmp_ne_u16_sdwa s[34:35], v9, v15 src0_sel:BYTE_3 src1_sel:DWORD
	v_bfe_i32 v54, v54, 0, 1
	v_lshrrev_b32_e32 v55, 18, v8
	v_cndmask_b32_e64 v9, 0, -1, s[34:35]
	v_bfe_i32 v52, v24, 5, 1
	v_bfe_i32 v55, v55, 0, 1
	v_lshlrev_b16_e32 v9, 8, v9
	v_lshlrev_b16_e32 v54, 8, v54
	v_or_b32_sdwa v56, v55, v9 dst_sel:WORD_1 dst_unused:UNUSED_PAD src0_sel:BYTE_0 src1_sel:DWORD
	v_or_b32_sdwa v57, v52, v54 dst_sel:DWORD dst_unused:UNUSED_PAD src0_sel:BYTE_0 src1_sel:DWORD
	v_or_b32_sdwa v56, v57, v56 dst_sel:DWORD dst_unused:UNUSED_PAD src0_sel:WORD_0 src1_sel:DWORD
	v_xor_b32_e32 v50, v50, v56
	v_and_b32_e32 v56, 0xffffff00, v50
	v_sub_i16 v54, v56, v54 clamp
	v_lshlrev_b16_e32 v56, 8, v50
	v_lshlrev_b16_e32 v52, 8, v52
	v_and_b32_e32 v54, 0xffffff00, v54
	v_sub_i16 v52, v56, v52 clamp
	v_or_b32_sdwa v52, v52, v54 dst_sel:DWORD dst_unused:UNUSED_PAD src0_sel:BYTE_1 src1_sel:DWORD
	v_and_b32_sdwa v54, v50, s31 dst_sel:DWORD dst_unused:UNUSED_PAD src0_sel:WORD_1 src1_sel:DWORD
	v_sub_i16 v9, v54, v9 clamp
	v_lshlrev_b16_sdwa v50, v41, v50 dst_sel:DWORD dst_unused:UNUSED_PAD src0_sel:DWORD src1_sel:WORD_1
	v_lshlrev_b16_e32 v54, 8, v55
	v_and_b32_e32 v9, 0xffffff00, v9
	v_sub_i16 v50, v50, v54 clamp
	v_or_b32_sdwa v9, v50, v9 dst_sel:WORD_1 dst_unused:UNUSED_PAD src0_sel:BYTE_1 src1_sel:DWORD
	v_lshrrev_b16_e32 v53, 5, v53
	v_or_b32_sdwa v50, v52, v9 dst_sel:DWORD dst_unused:UNUSED_PAD src0_sel:WORD_0 src1_sel:DWORD
	v_and_b32_e32 v9, 0x80000000, v8
	v_cmp_ne_u16_sdwa s[34:35], v9, v15 src0_sel:BYTE_3 src1_sel:DWORD
	v_bfe_i32 v53, v53, 0, 1
	v_lshrrev_b32_e32 v8, 22, v8
	v_cndmask_b32_e64 v9, 0, -1, s[34:35]
	v_bfe_i32 v52, v24, 9, 1
	v_bfe_i32 v8, v8, 0, 1
	v_lshlrev_b16_e32 v9, 8, v9
	v_lshlrev_b16_e32 v53, 8, v53
	v_or_b32_sdwa v54, v8, v9 dst_sel:WORD_1 dst_unused:UNUSED_PAD src0_sel:BYTE_0 src1_sel:DWORD
	v_or_b32_sdwa v55, v52, v53 dst_sel:DWORD dst_unused:UNUSED_PAD src0_sel:BYTE_0 src1_sel:DWORD
	v_or_b32_sdwa v54, v55, v54 dst_sel:DWORD dst_unused:UNUSED_PAD src0_sel:WORD_0 src1_sel:DWORD
	v_xor_b32_e32 v51, v51, v54
	v_and_b32_e32 v54, 0xffffff00, v51
	v_sub_i16 v53, v54, v53 clamp
	v_lshlrev_b16_e32 v54, 8, v51
	v_lshlrev_b16_e32 v52, 8, v52
	v_and_b32_e32 v53, 0xffffff00, v53
	v_sub_i16 v52, v54, v52 clamp
	v_or_b32_sdwa v52, v52, v53 dst_sel:DWORD dst_unused:UNUSED_PAD src0_sel:BYTE_1 src1_sel:DWORD
	v_and_b32_sdwa v53, v51, s31 dst_sel:DWORD dst_unused:UNUSED_PAD src0_sel:WORD_1 src1_sel:DWORD
	v_sub_i16 v9, v53, v9 clamp
	v_lshlrev_b16_sdwa v51, v41, v51 dst_sel:DWORD dst_unused:UNUSED_PAD src0_sel:DWORD src1_sel:WORD_1
	v_lshlrev_b16_e32 v8, 8, v8
	v_and_b32_e32 v9, 0xffffff00, v9
	v_sub_i16 v8, v51, v8 clamp
	v_or_b32_sdwa v8, v8, v9 dst_sel:WORD_1 dst_unused:UNUSED_PAD src0_sel:BYTE_1 src1_sel:DWORD
	v_bfe_u32 v9, v33, 7, 8
	v_bcnt_u32_b32 v53, v9, 0
	v_and_b32_e32 v53, 1, v53
	v_lshlrev_b32_e32 v53, 7, v53
	v_xor_b32_e32 v9, v53, v9
	v_mul_lo_u32 v9, v9, s30
	v_and_b32_e32 v53, 0x8000000, v9
	v_lshrrev_b32_e32 v54, 8, v9
	v_lshrrev_b16_e32 v55, 1, v54
	v_cmp_ne_u16_sdwa s[34:35], v53, v15 src0_sel:BYTE_3 src1_sel:DWORD
	v_bfe_i32 v55, v55, 0, 1
	v_lshrrev_b32_e32 v56, 18, v9
	v_cndmask_b32_e64 v53, 0, -1, s[34:35]
	v_bfe_i32 v56, v56, 0, 1
	v_lshlrev_b16_e32 v53, 8, v53
	v_lshlrev_b16_e32 v55, 8, v55
	v_or_b32_sdwa v57, v56, v53 dst_sel:WORD_1 dst_unused:UNUSED_PAD src0_sel:BYTE_0 src1_sel:DWORD
	v_or_b32_sdwa v58, v31, v55 dst_sel:DWORD dst_unused:UNUSED_PAD src0_sel:BYTE_0 src1_sel:DWORD
	v_or_b32_sdwa v57, v58, v57 dst_sel:DWORD dst_unused:UNUSED_PAD src0_sel:WORD_0 src1_sel:DWORD
	s_waitcnt vmcnt(6)
	v_xor_b32_e32 v34, v34, v57
	v_and_b32_e32 v57, 0xffffff00, v34
	v_sub_i16 v55, v57, v55 clamp
	v_lshlrev_b16_e32 v57, 8, v34
	v_lshlrev_b16_e32 v31, 8, v31
	v_and_b32_e32 v55, 0xffffff00, v55
	v_sub_i16 v31, v57, v31 clamp
	v_or_b32_sdwa v31, v31, v55 dst_sel:DWORD dst_unused:UNUSED_PAD src0_sel:BYTE_1 src1_sel:DWORD
	v_and_b32_sdwa v55, v34, s31 dst_sel:DWORD dst_unused:UNUSED_PAD src0_sel:WORD_1 src1_sel:DWORD
	v_sub_i16 v53, v55, v53 clamp
	v_lshlrev_b16_sdwa v34, v41, v34 dst_sel:DWORD dst_unused:UNUSED_PAD src0_sel:DWORD src1_sel:WORD_1
	v_lshlrev_b16_e32 v55, 8, v56
	v_and_b32_e32 v53, 0xffffff00, v53
	v_sub_i16 v34, v34, v55 clamp
	v_or_b32_sdwa v34, v34, v53 dst_sel:WORD_1 dst_unused:UNUSED_PAD src0_sel:BYTE_1 src1_sel:DWORD
	v_lshrrev_b16_e32 v53, 5, v54
	v_or_b32_sdwa v31, v31, v34 dst_sel:DWORD dst_unused:UNUSED_PAD src0_sel:WORD_0 src1_sel:DWORD
	v_and_b32_e32 v34, 0x80000000, v9
	v_cmp_ne_u16_sdwa s[34:35], v34, v15 src0_sel:BYTE_3 src1_sel:DWORD
	v_or_b32_sdwa v51, v52, v8 dst_sel:DWORD dst_unused:UNUSED_PAD src0_sel:WORD_0 src1_sel:DWORD
	v_lshlrev_b32_e32 v52, 16, v10
	v_bfe_i32 v53, v53, 0, 1
	v_lshrrev_b32_e32 v9, 22, v9
	v_cndmask_b32_e64 v34, 0, -1, s[34:35]
	v_bfe_i32 v28, v33, 14, 1
	v_or_b32_e32 v8, v52, v33
	v_bfe_i32 v33, v33, 11, 1
	v_bfe_i32 v9, v9, 0, 1
	v_lshlrev_b16_e32 v34, 8, v34
	v_lshlrev_b16_e32 v53, 8, v53
	v_or_b32_sdwa v54, v9, v34 dst_sel:WORD_1 dst_unused:UNUSED_PAD src0_sel:BYTE_0 src1_sel:DWORD
	v_or_b32_sdwa v55, v33, v53 dst_sel:DWORD dst_unused:UNUSED_PAD src0_sel:BYTE_0 src1_sel:DWORD
	v_or_b32_sdwa v54, v55, v54 dst_sel:DWORD dst_unused:UNUSED_PAD src0_sel:WORD_0 src1_sel:DWORD
	s_waitcnt vmcnt(5)
	v_xor_b32_e32 v30, v30, v54
	v_and_b32_e32 v54, 0xffffff00, v30
	v_sub_i16 v53, v54, v53 clamp
	v_lshlrev_b16_e32 v54, 8, v30
	v_lshlrev_b16_e32 v33, 8, v33
	v_and_b32_e32 v53, 0xffffff00, v53
	v_sub_i16 v33, v54, v33 clamp
	v_or_b32_sdwa v33, v33, v53 dst_sel:DWORD dst_unused:UNUSED_PAD src0_sel:BYTE_1 src1_sel:DWORD
	v_and_b32_sdwa v53, v30, s31 dst_sel:DWORD dst_unused:UNUSED_PAD src0_sel:WORD_1 src1_sel:DWORD
	v_sub_i16 v34, v53, v34 clamp
	v_lshlrev_b16_sdwa v30, v41, v30 dst_sel:DWORD dst_unused:UNUSED_PAD src0_sel:DWORD src1_sel:WORD_1
	v_lshlrev_b16_e32 v9, 8, v9
	v_and_b32_e32 v34, 0xffffff00, v34
	v_sub_i16 v9, v30, v9 clamp
	v_or_b32_sdwa v9, v9, v34 dst_sel:WORD_1 dst_unused:UNUSED_PAD src0_sel:BYTE_1 src1_sel:DWORD
	v_dot4c_i32_i8_e32 v11, v31, v7
	v_or_b32_sdwa v9, v33, v9 dst_sel:DWORD dst_unused:UNUSED_PAD src0_sel:WORD_0 src1_sel:DWORD
	v_dot4c_i32_i8_e32 v11, v9, v0
	v_bfe_u32 v0, v8, 14, 8
	v_bcnt_u32_b32 v7, v0, 0
	v_and_b32_e32 v7, 1, v7
	v_lshlrev_b32_e32 v7, 7, v7
	v_xor_b32_e32 v0, v7, v0
	v_mul_lo_u32 v0, v0, s30
	v_and_b32_e32 v7, 0x8000000, v0
	v_lshrrev_b32_e32 v8, 8, v0
	v_lshrrev_b16_e32 v9, 1, v8
	v_cmp_ne_u16_sdwa s[34:35], v7, v15 src0_sel:BYTE_3 src1_sel:DWORD
	v_bfe_i32 v9, v9, 0, 1
	v_lshrrev_b32_e32 v30, 18, v0
	v_cndmask_b32_e64 v7, 0, -1, s[34:35]
	v_bfe_i32 v30, v30, 0, 1
	v_lshlrev_b16_e32 v7, 8, v7
	v_lshlrev_b16_e32 v9, 8, v9
	v_or_b32_sdwa v31, v30, v7 dst_sel:WORD_1 dst_unused:UNUSED_PAD src0_sel:BYTE_0 src1_sel:DWORD
	v_or_b32_sdwa v33, v28, v9 dst_sel:DWORD dst_unused:UNUSED_PAD src0_sel:BYTE_0 src1_sel:DWORD
	v_or_b32_sdwa v31, v33, v31 dst_sel:DWORD dst_unused:UNUSED_PAD src0_sel:WORD_0 src1_sel:DWORD
	s_waitcnt vmcnt(4)
	v_xor_b32_e32 v29, v29, v31
	v_and_b32_e32 v31, 0xffffff00, v29
	v_sub_i16 v9, v31, v9 clamp
	v_lshlrev_b16_e32 v31, 8, v29
	v_lshlrev_b16_e32 v28, 8, v28
	v_and_b32_e32 v9, 0xffffff00, v9
	v_sub_i16 v28, v31, v28 clamp
	v_or_b32_sdwa v9, v28, v9 dst_sel:DWORD dst_unused:UNUSED_PAD src0_sel:BYTE_1 src1_sel:DWORD
	v_and_b32_sdwa v28, v29, s31 dst_sel:DWORD dst_unused:UNUSED_PAD src0_sel:WORD_1 src1_sel:DWORD
	v_sub_i16 v7, v28, v7 clamp
	v_lshlrev_b16_sdwa v28, v41, v29 dst_sel:DWORD dst_unused:UNUSED_PAD src0_sel:DWORD src1_sel:WORD_1
	v_lshlrev_b16_e32 v29, 8, v30
	v_and_b32_e32 v7, 0xffffff00, v7
	v_sub_i16 v28, v28, v29 clamp
	v_or_b32_sdwa v7, v28, v7 dst_sel:WORD_1 dst_unused:UNUSED_PAD src0_sel:BYTE_1 src1_sel:DWORD
	v_lshrrev_b16_e32 v8, 5, v8
	v_or_b32_sdwa v7, v9, v7 dst_sel:DWORD dst_unused:UNUSED_PAD src0_sel:WORD_0 src1_sel:DWORD
	v_and_b32_e32 v9, 0x80000000, v0
	v_cmp_ne_u16_sdwa s[34:35], v9, v15 src0_sel:BYTE_3 src1_sel:DWORD
	v_bfe_i32 v8, v8, 0, 1
	v_lshrrev_b32_e32 v0, 22, v0
	v_cndmask_b32_e64 v9, 0, -1, s[34:35]
	v_bfe_i32 v0, v0, 0, 1
	v_lshlrev_b16_e32 v9, 8, v9
	v_lshlrev_b16_e32 v8, 8, v8
	v_bfe_i32 v28, v10, 2, 1
	v_or_b32_sdwa v29, v0, v9 dst_sel:WORD_1 dst_unused:UNUSED_PAD src0_sel:BYTE_0 src1_sel:DWORD
	v_or_b32_sdwa v30, v28, v8 dst_sel:DWORD dst_unused:UNUSED_PAD src0_sel:BYTE_0 src1_sel:DWORD
	v_or_b32_sdwa v29, v30, v29 dst_sel:DWORD dst_unused:UNUSED_PAD src0_sel:WORD_0 src1_sel:DWORD
	s_waitcnt vmcnt(3)
	v_xor_b32_e32 v29, v27, v29
	v_and_b32_e32 v27, 0xffffff00, v29
	v_sub_i16 v8, v27, v8 clamp
	v_lshlrev_b16_e32 v30, 8, v29
	v_lshlrev_b16_e32 v27, 8, v28
	v_and_b32_e32 v8, 0xffffff00, v8
	v_sub_i16 v30, v30, v27 clamp
	v_or_b32_sdwa v8, v30, v8 dst_sel:DWORD dst_unused:UNUSED_PAD src0_sel:BYTE_1 src1_sel:DWORD
	v_and_b32_sdwa v30, v29, s31 dst_sel:DWORD dst_unused:UNUSED_PAD src0_sel:WORD_1 src1_sel:DWORD
	v_sub_i16 v9, v30, v9 clamp
	v_lshlrev_b16_sdwa v29, v41, v29 dst_sel:DWORD dst_unused:UNUSED_PAD src0_sel:DWORD src1_sel:WORD_1
	v_lshlrev_b16_e32 v0, 8, v0
	v_and_b32_e32 v9, 0xffffff00, v9
	v_sub_i16 v0, v29, v0 clamp
	v_or_b32_sdwa v0, v0, v9 dst_sel:WORD_1 dst_unused:UNUSED_PAD src0_sel:BYTE_1 src1_sel:DWORD
	v_dot4c_i32_i8_e32 v11, v7, v1
	v_or_b32_sdwa v0, v8, v0 dst_sel:DWORD dst_unused:UNUSED_PAD src0_sel:WORD_0 src1_sel:DWORD
	v_dot4c_i32_i8_e32 v11, v0, v2
	v_bfe_u32 v0, v10, 5, 8
	v_bcnt_u32_b32 v1, v0, 0
	v_and_b32_e32 v1, 1, v1
	v_lshlrev_b32_e32 v1, 7, v1
	v_xor_b32_e32 v0, v1, v0
	v_mul_lo_u32 v0, v0, s30
	v_and_b32_e32 v1, 0x8000000, v0
	v_lshrrev_b32_e32 v7, 8, v0
	v_lshrrev_b16_e32 v8, 1, v7
	v_cmp_ne_u16_sdwa s[34:35], v1, v15 src0_sel:BYTE_3 src1_sel:DWORD
	v_bfe_i32 v8, v8, 0, 1
	v_lshrrev_b32_e32 v9, 18, v0
	v_cndmask_b32_e64 v1, 0, -1, s[34:35]
	v_bfe_i32 v2, v10, 5, 1
	v_bfe_i32 v9, v9, 0, 1
	v_lshlrev_b16_e32 v1, 8, v1
	v_lshlrev_b16_e32 v8, 8, v8
	v_or_b32_sdwa v29, v9, v1 dst_sel:WORD_1 dst_unused:UNUSED_PAD src0_sel:BYTE_0 src1_sel:DWORD
	v_or_b32_sdwa v30, v2, v8 dst_sel:DWORD dst_unused:UNUSED_PAD src0_sel:BYTE_0 src1_sel:DWORD
	v_or_b32_sdwa v29, v30, v29 dst_sel:DWORD dst_unused:UNUSED_PAD src0_sel:WORD_0 src1_sel:DWORD
	s_waitcnt vmcnt(2)
	v_xor_b32_e32 v6, v6, v29
	v_and_b32_e32 v29, 0xffffff00, v6
	v_sub_i16 v8, v29, v8 clamp
	v_lshlrev_b16_e32 v29, 8, v6
	v_lshlrev_b16_e32 v2, 8, v2
	v_and_b32_e32 v8, 0xffffff00, v8
	v_sub_i16 v2, v29, v2 clamp
	v_or_b32_sdwa v2, v2, v8 dst_sel:DWORD dst_unused:UNUSED_PAD src0_sel:BYTE_1 src1_sel:DWORD
	v_and_b32_sdwa v8, v6, s31 dst_sel:DWORD dst_unused:UNUSED_PAD src0_sel:WORD_1 src1_sel:DWORD
	v_sub_i16 v1, v8, v1 clamp
	v_lshlrev_b16_sdwa v6, v41, v6 dst_sel:DWORD dst_unused:UNUSED_PAD src0_sel:DWORD src1_sel:WORD_1
	v_lshlrev_b16_e32 v8, 8, v9
	v_and_b32_e32 v1, 0xffffff00, v1
	v_sub_i16 v6, v6, v8 clamp
	v_or_b32_sdwa v1, v6, v1 dst_sel:WORD_1 dst_unused:UNUSED_PAD src0_sel:BYTE_1 src1_sel:DWORD
	v_lshrrev_b16_e32 v6, 5, v7
	v_or_b32_sdwa v29, v2, v1 dst_sel:DWORD dst_unused:UNUSED_PAD src0_sel:WORD_0 src1_sel:DWORD
	v_and_b32_e32 v1, 0x80000000, v0
	v_cmp_ne_u16_sdwa s[34:35], v1, v15 src0_sel:BYTE_3 src1_sel:DWORD
	v_bfe_i32 v6, v6, 0, 1
	v_lshrrev_b32_e32 v0, 22, v0
	v_cndmask_b32_e64 v1, 0, -1, s[34:35]
	v_bfe_i32 v2, v10, 9, 1
	v_bfe_i32 v0, v0, 0, 1
	v_lshlrev_b16_e32 v1, 8, v1
	v_lshlrev_b16_e32 v6, 8, v6
	v_or_b32_sdwa v7, v0, v1 dst_sel:WORD_1 dst_unused:UNUSED_PAD src0_sel:BYTE_0 src1_sel:DWORD
	v_or_b32_sdwa v8, v2, v6 dst_sel:DWORD dst_unused:UNUSED_PAD src0_sel:BYTE_0 src1_sel:DWORD
	v_or_b32_sdwa v7, v8, v7 dst_sel:DWORD dst_unused:UNUSED_PAD src0_sel:WORD_0 src1_sel:DWORD
	s_waitcnt vmcnt(1)
	v_xor_b32_e32 v5, v5, v7
	v_and_b32_e32 v7, 0xffffff00, v5
	v_sub_i16 v6, v7, v6 clamp
	v_lshlrev_b16_e32 v7, 8, v5
	v_lshlrev_b16_e32 v2, 8, v2
	v_and_b32_e32 v6, 0xffffff00, v6
	v_sub_i16 v2, v7, v2 clamp
	v_or_b32_sdwa v2, v2, v6 dst_sel:DWORD dst_unused:UNUSED_PAD src0_sel:BYTE_1 src1_sel:DWORD
	v_and_b32_sdwa v6, v5, s31 dst_sel:DWORD dst_unused:UNUSED_PAD src0_sel:WORD_1 src1_sel:DWORD
	v_sub_i16 v1, v6, v1 clamp
	v_lshlrev_b16_sdwa v5, v41, v5 dst_sel:DWORD dst_unused:UNUSED_PAD src0_sel:DWORD src1_sel:WORD_1
	v_lshlrev_b16_e32 v0, 8, v0
	v_and_b32_e32 v1, 0xffffff00, v1
	v_sub_i16 v0, v5, v0 clamp
	v_dot4c_i32_i8_e32 v25, v50, v3
	v_or_b32_sdwa v0, v0, v1 dst_sel:WORD_1 dst_unused:UNUSED_PAD src0_sel:BYTE_1 src1_sel:DWORD
	v_dot4c_i32_i8_e32 v25, v51, v36
	v_or_b32_sdwa v33, v2, v0 dst_sel:DWORD dst_unused:UNUSED_PAD src0_sel:WORD_0 src1_sel:DWORD
	v_dot4c_i32_i8_e32 v11, v29, v3
	v_dot4c_i32_i8_e32 v11, v33, v36
	v_lshrrev_b32_e32 v0, 31, v25
	v_add_u32_e32 v0, v25, v0
	v_lshrrev_b32_e32 v30, 12, v24
	v_lshrrev_b32_e32 v1, 31, v11
	v_ashrrev_i32_e32 v0, 1, v0
	v_add_u32_e32 v1, v11, v1
	v_lshrrev_b32_e32 v31, 12, v10
	v_ashrrev_i32_e32 v2, 1, v1
	v_mad_u64_u32 v[0:1], s[34:35], v25, v30, v[0:1]
	v_mad_u64_u32 v[2:3], s[34:35], v11, v31, v[2:3]
	v_lshrrev_b32_e32 v1, 31, v0
	v_add_u32_e32 v0, v0, v1
	v_lshrrev_b32_e32 v1, 31, v2
	v_add_u32_e32 v1, v2, v1
	v_ashrrev_i32_e32 v0, 1, v0
	v_ashrrev_i32_e32 v1, 1, v1
	v_cvt_f32_i32_e32 v7, v1
	v_cvt_f32_i32_e32 v6, v0
	scratch_load_dwordx4 v[0:3], off, off offset:48
	s_waitcnt vmcnt(1)
	v_cvt_f32_f16_e32 v25, v35
	v_cvt_f32_f16_e32 v24, v32
	v_and_b32_e32 v36, 0xff, v43
	v_and_b32_e32 v53, 1, v43
	v_sub_u16_e32 v53, 0, v53
	v_pk_mul_f32 v[4:5], v[4:5], v[24:25] op_sel_hi:[0,1]
	v_and_or_b32 v26, v43, s23, v26
	v_bfe_u32 v26, v26, 14, 8
	s_waitcnt vmcnt(0)
	v_pk_fma_f32 v[0:1], v[4:5], v[6:7], v[0:1]
	v_add_u32_e32 v4, s28, v39
	v_mad_u64_u32 v[4:5], s[34:35], v4, 36, s[24:25]
	v_mad_u64_u32 v[34:35], s[34:35], v16, 36, v[4:5]
	global_load_dword v32, v[34:35], off offset:32
	global_load_dwordx4 v[4:7], v[34:35], off offset:16
	global_load_dwordx4 v[8:11], v[34:35], off
	v_lshlrev_b32_sdwa v34, v40, v49 dst_sel:DWORD dst_unused:UNUSED_PAD src0_sel:DWORD src1_sel:BYTE_0
	global_load_dword v35, v34, s[20:21]
	v_lshlrev_b32_sdwa v34, v40, v49 dst_sel:DWORD dst_unused:UNUSED_PAD src0_sel:DWORD src1_sel:BYTE_1
	global_load_dword v34, v34, s[20:21]
	v_bcnt_u32_b32 v49, v36, 0
	v_and_b32_e32 v49, 1, v49
	v_lshlrev_b32_e32 v49, 7, v49
	v_xor_b32_e32 v36, v49, v36
	v_mul_lo_u32 v36, v36, s30
	v_and_b32_e32 v49, 0x8000000, v36
	v_lshrrev_b32_e32 v54, 8, v36
	v_lshrrev_b16_e32 v55, 1, v54
	v_cmp_ne_u16_sdwa s[34:35], v49, v15 src0_sel:BYTE_3 src1_sel:DWORD
	v_bfe_i32 v55, v55, 0, 1
	v_lshrrev_b32_e32 v56, 18, v36
	v_cndmask_b32_e64 v49, 0, -1, s[34:35]
	v_bfe_i32 v56, v56, 0, 1
	v_lshlrev_b16_e32 v49, 8, v49
	v_lshlrev_b16_e32 v55, 8, v55
	v_or_b32_sdwa v57, v56, v49 dst_sel:WORD_1 dst_unused:UNUSED_PAD src0_sel:BYTE_0 src1_sel:DWORD
	v_or_b32_sdwa v58, v53, v55 dst_sel:DWORD dst_unused:UNUSED_PAD src0_sel:BYTE_0 src1_sel:DWORD
	v_or_b32_sdwa v57, v58, v57 dst_sel:DWORD dst_unused:UNUSED_PAD src0_sel:WORD_0 src1_sel:DWORD
	v_lshlrev_b16_e32 v53, 8, v53
	v_lshrrev_b16_e32 v54, 5, v54
	v_bfe_i32 v54, v54, 0, 1
	v_lshlrev_b16_e32 v54, 8, v54
	v_add_u32_e32 v39, 64, v39
	s_waitcnt vmcnt(2)
	v_cvt_f32_f16_e32 v8, v8
	s_waitcnt vmcnt(1)
	v_xor_b32_e32 v35, v35, v57
	v_and_b32_e32 v57, 0xffffff00, v35
	v_sub_i16 v55, v57, v55 clamp
	v_lshlrev_b16_e32 v57, 8, v35
	v_and_b32_e32 v55, 0xffffff00, v55
	v_sub_i16 v53, v57, v53 clamp
	v_or_b32_sdwa v53, v53, v55 dst_sel:DWORD dst_unused:UNUSED_PAD src0_sel:BYTE_1 src1_sel:DWORD
	v_and_b32_sdwa v55, v35, s31 dst_sel:DWORD dst_unused:UNUSED_PAD src0_sel:WORD_1 src1_sel:DWORD
	v_sub_i16 v49, v55, v49 clamp
	v_lshlrev_b16_sdwa v35, v41, v35 dst_sel:DWORD dst_unused:UNUSED_PAD src0_sel:DWORD src1_sel:WORD_1
	v_lshlrev_b16_e32 v55, 8, v56
	v_and_b32_e32 v49, 0xffffff00, v49
	v_sub_i16 v35, v35, v55 clamp
	v_or_b32_sdwa v35, v35, v49 dst_sel:WORD_1 dst_unused:UNUSED_PAD src0_sel:BYTE_1 src1_sel:DWORD
	v_and_b32_e32 v49, 0x80000000, v36
	v_cmp_ne_u16_sdwa s[34:35], v49, v15 src0_sel:BYTE_3 src1_sel:DWORD
	v_lshrrev_b32_e32 v36, 22, v36
	v_or_b32_sdwa v35, v53, v35 dst_sel:DWORD dst_unused:UNUSED_PAD src0_sel:WORD_0 src1_sel:DWORD
	v_cndmask_b32_e64 v49, 0, -1, s[34:35]
	v_bfe_i32 v53, v43, 4, 1
	v_bfe_i32 v36, v36, 0, 1
	v_lshlrev_b16_e32 v49, 8, v49
	v_or_b32_sdwa v55, v36, v49 dst_sel:WORD_1 dst_unused:UNUSED_PAD src0_sel:BYTE_0 src1_sel:DWORD
	v_or_b32_sdwa v56, v53, v54 dst_sel:DWORD dst_unused:UNUSED_PAD src0_sel:BYTE_0 src1_sel:DWORD
	v_or_b32_sdwa v55, v56, v55 dst_sel:DWORD dst_unused:UNUSED_PAD src0_sel:WORD_0 src1_sel:DWORD
	s_waitcnt vmcnt(0)
	v_xor_b32_e32 v34, v34, v55
	v_and_b32_e32 v55, 0xffffff00, v34
	v_sub_i16 v54, v55, v54 clamp
	v_lshlrev_b16_e32 v55, 8, v34
	v_lshlrev_b16_e32 v53, 8, v53
	v_and_b32_e32 v54, 0xffffff00, v54
	v_sub_i16 v53, v55, v53 clamp
	v_or_b32_sdwa v53, v53, v54 dst_sel:DWORD dst_unused:UNUSED_PAD src0_sel:BYTE_1 src1_sel:DWORD
	v_and_b32_sdwa v54, v34, s31 dst_sel:DWORD dst_unused:UNUSED_PAD src0_sel:WORD_1 src1_sel:DWORD
	v_sub_i16 v49, v54, v49 clamp
	v_lshlrev_b16_sdwa v34, v41, v34 dst_sel:DWORD dst_unused:UNUSED_PAD src0_sel:DWORD src1_sel:WORD_1
	v_lshlrev_b16_e32 v36, 8, v36
	v_and_b32_e32 v49, 0xffffff00, v49
	v_sub_i16 v34, v34, v36 clamp
	v_or_b32_sdwa v34, v34, v49 dst_sel:WORD_1 dst_unused:UNUSED_PAD src0_sel:BYTE_1 src1_sel:DWORD
	v_bfe_i32 v56, v43, 7, 1
	v_or_b32_sdwa v36, v53, v34 dst_sel:DWORD dst_unused:UNUSED_PAD src0_sel:WORD_0 src1_sel:DWORD
	v_mov_b32_e32 v34, 0
	v_dot4c_i32_i8_e32 v34, v35, v9
	v_dot4c_i32_i8_e32 v34, v36, v10
	v_lshlrev_b32_sdwa v35, v40, v45 dst_sel:DWORD dst_unused:UNUSED_PAD src0_sel:DWORD src1_sel:BYTE_0
	v_lshlrev_b32_sdwa v36, v40, v48 dst_sel:DWORD dst_unused:UNUSED_PAD src0_sel:DWORD src1_sel:BYTE_1
	global_load_dword v57, v35, s[20:21]
	v_bfe_i32 v53, v43, 14, 1
	global_load_dword v36, v36, s[20:21]
	v_lshlrev_b32_sdwa v35, v40, v45 dst_sel:DWORD dst_unused:UNUSED_PAD src0_sel:DWORD src1_sel:BYTE_1
	global_load_dword v55, v35, s[20:21]
	v_lshlrev_b32_sdwa v35, v40, v44 dst_sel:DWORD dst_unused:UNUSED_PAD src0_sel:DWORD src1_sel:BYTE_0
	global_load_dword v54, v35, s[20:21]
	v_lshlrev_b32_sdwa v35, v40, v44 dst_sel:DWORD dst_unused:UNUSED_PAD src0_sel:DWORD src1_sel:BYTE_1
	global_load_dword v49, v35, s[20:21]
	v_lshlrev_b32_sdwa v35, v40, v48 dst_sel:DWORD dst_unused:UNUSED_PAD src0_sel:DWORD src1_sel:BYTE_0
	global_load_dword v35, v35, s[20:21]
	v_and_b32_e32 v44, 0xff, v42
	v_bcnt_u32_b32 v45, v44, 0
	v_and_b32_e32 v45, 1, v45
	v_lshlrev_b32_e32 v45, 7, v45
	v_xor_b32_e32 v44, v45, v44
	v_mul_lo_u32 v44, v44, s30
	v_and_b32_e32 v45, 0x8000000, v44
	v_lshrrev_b32_e32 v58, 8, v44
	v_lshrrev_b16_e32 v59, 1, v58
	v_cmp_ne_u16_sdwa s[34:35], v45, v15 src0_sel:BYTE_3 src1_sel:DWORD
	v_and_b32_e32 v48, 1, v42
	v_bfe_i32 v59, v59, 0, 1
	v_lshrrev_b32_e32 v60, 18, v44
	v_cndmask_b32_e64 v45, 0, -1, s[34:35]
	v_sub_u16_e32 v48, 0, v48
	v_bfe_i32 v60, v60, 0, 1
	v_lshlrev_b16_e32 v45, 8, v45
	v_lshlrev_b16_e32 v59, 8, v59
	v_or_b32_sdwa v61, v60, v45 dst_sel:WORD_1 dst_unused:UNUSED_PAD src0_sel:BYTE_0 src1_sel:DWORD
	v_or_b32_sdwa v62, v48, v59 dst_sel:DWORD dst_unused:UNUSED_PAD src0_sel:BYTE_0 src1_sel:DWORD
	v_or_b32_sdwa v61, v62, v61 dst_sel:DWORD dst_unused:UNUSED_PAD src0_sel:WORD_0 src1_sel:DWORD
	v_lshlrev_b16_e32 v48, 8, v48
	v_lshrrev_b16_e32 v58, 5, v58
	v_bfe_i32 v58, v58, 0, 1
	v_lshlrev_b16_e32 v58, 8, v58
	s_waitcnt vmcnt(0)
	v_xor_b32_e32 v35, v35, v61
	v_and_b32_e32 v61, 0xffffff00, v35
	v_sub_i16 v59, v61, v59 clamp
	v_lshlrev_b16_e32 v61, 8, v35
	v_and_b32_e32 v59, 0xffffff00, v59
	v_sub_i16 v48, v61, v48 clamp
	v_or_b32_sdwa v48, v48, v59 dst_sel:DWORD dst_unused:UNUSED_PAD src0_sel:BYTE_1 src1_sel:DWORD
	v_and_b32_sdwa v59, v35, s31 dst_sel:DWORD dst_unused:UNUSED_PAD src0_sel:WORD_1 src1_sel:DWORD
	v_sub_i16 v45, v59, v45 clamp
	v_lshlrev_b16_sdwa v35, v41, v35 dst_sel:DWORD dst_unused:UNUSED_PAD src0_sel:DWORD src1_sel:WORD_1
	v_lshlrev_b16_e32 v59, 8, v60
	v_and_b32_e32 v45, 0xffffff00, v45
	v_sub_i16 v35, v35, v59 clamp
	v_or_b32_sdwa v35, v35, v45 dst_sel:WORD_1 dst_unused:UNUSED_PAD src0_sel:BYTE_1 src1_sel:DWORD
	s_nop 0
	v_or_b32_sdwa v45, v48, v35 dst_sel:DWORD dst_unused:UNUSED_PAD src0_sel:WORD_0 src1_sel:DWORD
	v_and_b32_e32 v35, 0x80000000, v44
	v_cmp_ne_u16_sdwa s[34:35], v35, v15 src0_sel:BYTE_3 src1_sel:DWORD
	v_lshrrev_b32_e32 v44, 22, v44
	v_bfe_i32 v48, v42, 4, 1
	v_cndmask_b32_e64 v35, 0, -1, s[34:35]
	v_bfe_i32 v44, v44, 0, 1
	v_lshlrev_b16_e32 v35, 8, v35
	v_or_b32_sdwa v59, v44, v35 dst_sel:WORD_1 dst_unused:UNUSED_PAD src0_sel:BYTE_0 src1_sel:DWORD
	v_or_b32_sdwa v60, v48, v58 dst_sel:DWORD dst_unused:UNUSED_PAD src0_sel:BYTE_0 src1_sel:DWORD
	v_or_b32_sdwa v59, v60, v59 dst_sel:DWORD dst_unused:UNUSED_PAD src0_sel:WORD_0 src1_sel:DWORD
	v_xor_b32_e32 v36, v36, v59
	v_and_b32_e32 v59, 0xffffff00, v36
	v_sub_i16 v58, v59, v58 clamp
	v_lshlrev_b16_e32 v59, 8, v36
	v_lshlrev_b16_e32 v48, 8, v48
	v_and_b32_e32 v58, 0xffffff00, v58
	v_sub_i16 v48, v59, v48 clamp
	v_or_b32_sdwa v48, v48, v58 dst_sel:DWORD dst_unused:UNUSED_PAD src0_sel:BYTE_1 src1_sel:DWORD
	v_and_b32_sdwa v58, v36, s31 dst_sel:DWORD dst_unused:UNUSED_PAD src0_sel:WORD_1 src1_sel:DWORD
	v_sub_i16 v35, v58, v35 clamp
	v_lshlrev_b16_sdwa v36, v41, v36 dst_sel:DWORD dst_unused:UNUSED_PAD src0_sel:DWORD src1_sel:WORD_1
	v_lshlrev_b16_e32 v44, 8, v44
	v_and_b32_e32 v35, 0xffffff00, v35
	v_sub_i16 v36, v36, v44 clamp
	v_or_b32_sdwa v35, v36, v35 dst_sel:WORD_1 dst_unused:UNUSED_PAD src0_sel:BYTE_1 src1_sel:DWORD
	s_nop 0
	v_or_b32_sdwa v36, v48, v35 dst_sel:DWORD dst_unused:UNUSED_PAD src0_sel:WORD_0 src1_sel:DWORD
	v_mov_b32_e32 v35, 0
	v_dot4c_i32_i8_e32 v35, v45, v9
	v_lshlrev_b32_sdwa v9, v40, v47 dst_sel:DWORD dst_unused:UNUSED_PAD src0_sel:DWORD src1_sel:BYTE_0
	global_load_dword v48, v9, s[20:21]
	v_lshlrev_b32_sdwa v9, v40, v47 dst_sel:DWORD dst_unused:UNUSED_PAD src0_sel:DWORD src1_sel:BYTE_1
	global_load_dword v44, v9, s[20:21]
	v_lshlrev_b32_sdwa v9, v40, v46 dst_sel:DWORD dst_unused:UNUSED_PAD src0_sel:DWORD src1_sel:BYTE_0
	v_dot4c_i32_i8_e32 v35, v36, v10
	global_load_dword v36, v9, s[20:21]
	v_lshlrev_b32_sdwa v9, v40, v46 dst_sel:DWORD dst_unused:UNUSED_PAD src0_sel:DWORD src1_sel:BYTE_1
	v_bfe_u32 v46, v43, 7, 8
	v_bcnt_u32_b32 v47, v46, 0
	v_and_b32_e32 v47, 1, v47
	v_lshlrev_b32_e32 v47, 7, v47
	v_xor_b32_e32 v46, v47, v46
	v_mul_lo_u32 v46, v46, s30
	v_and_b32_e32 v47, 0x8000000, v46
	v_lshrrev_b32_e32 v58, 8, v46
	global_load_dword v9, v9, s[20:21]
	v_lshrrev_b16_e32 v59, 1, v58
	v_cmp_ne_u16_sdwa s[20:21], v47, v15 src0_sel:BYTE_3 src1_sel:DWORD
	v_bfe_i32 v59, v59, 0, 1
	v_lshrrev_b32_e32 v60, 18, v46
	v_cndmask_b32_e64 v47, 0, -1, s[20:21]
	v_bfe_i32 v60, v60, 0, 1
	v_lshlrev_b16_e32 v47, 8, v47
	v_lshlrev_b16_e32 v59, 8, v59
	v_or_b32_sdwa v61, v60, v47 dst_sel:WORD_1 dst_unused:UNUSED_PAD src0_sel:BYTE_0 src1_sel:DWORD
	v_or_b32_sdwa v62, v56, v59 dst_sel:DWORD dst_unused:UNUSED_PAD src0_sel:BYTE_0 src1_sel:DWORD
	v_or_b32_sdwa v61, v62, v61 dst_sel:DWORD dst_unused:UNUSED_PAD src0_sel:WORD_0 src1_sel:DWORD
	v_xor_b32_e32 v57, v57, v61
	v_and_b32_e32 v61, 0xffffff00, v57
	v_sub_i16 v59, v61, v59 clamp
	v_lshlrev_b16_e32 v61, 8, v57
	v_lshlrev_b16_e32 v56, 8, v56
	v_and_b32_e32 v59, 0xffffff00, v59
	v_sub_i16 v56, v61, v56 clamp
	v_or_b32_sdwa v56, v56, v59 dst_sel:DWORD dst_unused:UNUSED_PAD src0_sel:BYTE_1 src1_sel:DWORD
	v_and_b32_sdwa v59, v57, s31 dst_sel:DWORD dst_unused:UNUSED_PAD src0_sel:WORD_1 src1_sel:DWORD
	v_sub_i16 v47, v59, v47 clamp
	v_lshlrev_b16_sdwa v57, v41, v57 dst_sel:DWORD dst_unused:UNUSED_PAD src0_sel:DWORD src1_sel:WORD_1
	v_lshlrev_b16_e32 v59, 8, v60
	v_and_b32_e32 v47, 0xffffff00, v47
	v_sub_i16 v57, v57, v59 clamp
	v_or_b32_sdwa v47, v57, v47 dst_sel:WORD_1 dst_unused:UNUSED_PAD src0_sel:BYTE_1 src1_sel:DWORD
	v_lshrrev_b16_e32 v57, 5, v58
	v_or_b32_sdwa v47, v56, v47 dst_sel:DWORD dst_unused:UNUSED_PAD src0_sel:WORD_0 src1_sel:DWORD
	v_and_b32_e32 v56, 0x80000000, v46
	v_cmp_ne_u16_sdwa s[20:21], v56, v15 src0_sel:BYTE_3 src1_sel:DWORD
	v_bfe_i32 v57, v57, 0, 1
	v_lshrrev_b32_e32 v46, 22, v46
	v_cndmask_b32_e64 v56, 0, -1, s[20:21]
	v_bfe_i32 v43, v43, 11, 1
	v_bfe_i32 v46, v46, 0, 1
	v_lshlrev_b16_e32 v56, 8, v56
	v_lshlrev_b16_e32 v57, 8, v57
	v_or_b32_sdwa v58, v46, v56 dst_sel:WORD_1 dst_unused:UNUSED_PAD src0_sel:BYTE_0 src1_sel:DWORD
	v_or_b32_sdwa v59, v43, v57 dst_sel:DWORD dst_unused:UNUSED_PAD src0_sel:BYTE_0 src1_sel:DWORD
	v_or_b32_sdwa v58, v59, v58 dst_sel:DWORD dst_unused:UNUSED_PAD src0_sel:WORD_0 src1_sel:DWORD
	v_xor_b32_e32 v55, v55, v58
	v_and_b32_e32 v58, 0xffffff00, v55
	v_sub_i16 v57, v58, v57 clamp
	v_lshlrev_b16_e32 v58, 8, v55
	v_lshlrev_b16_e32 v43, 8, v43
	v_and_b32_e32 v57, 0xffffff00, v57
	v_sub_i16 v43, v58, v43 clamp
	v_or_b32_sdwa v43, v43, v57 dst_sel:DWORD dst_unused:UNUSED_PAD src0_sel:BYTE_1 src1_sel:DWORD
	v_and_b32_sdwa v57, v55, s31 dst_sel:DWORD dst_unused:UNUSED_PAD src0_sel:WORD_1 src1_sel:DWORD
	v_sub_i16 v56, v57, v56 clamp
	v_lshlrev_b16_sdwa v55, v41, v55 dst_sel:DWORD dst_unused:UNUSED_PAD src0_sel:DWORD src1_sel:WORD_1
	v_lshlrev_b16_e32 v46, 8, v46
	v_and_b32_e32 v56, 0xffffff00, v56
	v_sub_i16 v46, v55, v46 clamp
	v_or_b32_sdwa v46, v46, v56 dst_sel:WORD_1 dst_unused:UNUSED_PAD src0_sel:BYTE_1 src1_sel:DWORD
	v_dot4c_i32_i8_e32 v34, v47, v11
	v_or_b32_sdwa v43, v43, v46 dst_sel:DWORD dst_unused:UNUSED_PAD src0_sel:WORD_0 src1_sel:DWORD
	v_dot4c_i32_i8_e32 v34, v43, v4
	v_bcnt_u32_b32 v43, v26, 0
	v_and_b32_e32 v43, 1, v43
	v_lshlrev_b32_e32 v43, 7, v43
	v_xor_b32_e32 v26, v43, v26
	v_mul_lo_u32 v26, v26, s30
	v_and_b32_e32 v43, 0x8000000, v26
	v_lshrrev_b32_e32 v46, 8, v26
	v_lshrrev_b16_e32 v47, 1, v46
	v_cmp_ne_u16_sdwa s[20:21], v43, v15 src0_sel:BYTE_3 src1_sel:DWORD
	v_bfe_i32 v47, v47, 0, 1
	v_lshrrev_b32_e32 v55, 18, v26
	v_cndmask_b32_e64 v43, 0, -1, s[20:21]
	v_bfe_i32 v55, v55, 0, 1
	v_lshlrev_b16_e32 v43, 8, v43
	v_lshlrev_b16_e32 v47, 8, v47
	v_or_b32_sdwa v56, v55, v43 dst_sel:WORD_1 dst_unused:UNUSED_PAD src0_sel:BYTE_0 src1_sel:DWORD
	v_or_b32_sdwa v57, v53, v47 dst_sel:DWORD dst_unused:UNUSED_PAD src0_sel:BYTE_0 src1_sel:DWORD
	v_or_b32_sdwa v56, v57, v56 dst_sel:DWORD dst_unused:UNUSED_PAD src0_sel:WORD_0 src1_sel:DWORD
	v_xor_b32_e32 v54, v54, v56
	v_and_b32_e32 v56, 0xffffff00, v54
	v_sub_i16 v47, v56, v47 clamp
	v_lshlrev_b16_e32 v56, 8, v54
	v_lshlrev_b16_e32 v53, 8, v53
	v_and_b32_e32 v47, 0xffffff00, v47
	v_sub_i16 v53, v56, v53 clamp
	v_or_b32_sdwa v47, v53, v47 dst_sel:DWORD dst_unused:UNUSED_PAD src0_sel:BYTE_1 src1_sel:DWORD
	v_and_b32_sdwa v53, v54, s31 dst_sel:DWORD dst_unused:UNUSED_PAD src0_sel:WORD_1 src1_sel:DWORD
	v_sub_i16 v43, v53, v43 clamp
	v_lshlrev_b16_sdwa v53, v41, v54 dst_sel:DWORD dst_unused:UNUSED_PAD src0_sel:DWORD src1_sel:WORD_1
	v_lshlrev_b16_e32 v54, 8, v55
	v_and_b32_e32 v43, 0xffffff00, v43
	v_sub_i16 v53, v53, v54 clamp
	v_or_b32_sdwa v43, v53, v43 dst_sel:WORD_1 dst_unused:UNUSED_PAD src0_sel:BYTE_1 src1_sel:DWORD
	v_lshrrev_b16_e32 v46, 5, v46
	v_or_b32_sdwa v43, v47, v43 dst_sel:DWORD dst_unused:UNUSED_PAD src0_sel:WORD_0 src1_sel:DWORD
	v_and_b32_e32 v47, 0x80000000, v26
	v_cmp_ne_u16_sdwa s[20:21], v47, v15 src0_sel:BYTE_3 src1_sel:DWORD
	v_bfe_i32 v46, v46, 0, 1
	v_lshrrev_b32_e32 v26, 22, v26
	v_cndmask_b32_e64 v47, 0, -1, s[20:21]
	v_bfe_i32 v26, v26, 0, 1
	v_lshlrev_b16_e32 v47, 8, v47
	v_lshlrev_b16_e32 v46, 8, v46
	v_or_b32_sdwa v53, v26, v47 dst_sel:WORD_1 dst_unused:UNUSED_PAD src0_sel:BYTE_0 src1_sel:DWORD
	v_or_b32_sdwa v37, v37, v46 dst_sel:DWORD dst_unused:UNUSED_PAD src0_sel:BYTE_0 src1_sel:DWORD
	v_or_b32_sdwa v37, v37, v53 dst_sel:DWORD dst_unused:UNUSED_PAD src0_sel:WORD_0 src1_sel:DWORD
	v_xor_b32_e32 v37, v49, v37
	v_and_b32_e32 v49, 0xffffff00, v37
	v_sub_i16 v46, v49, v46 clamp
	v_lshlrev_b16_e32 v49, 8, v37
	v_and_b32_e32 v46, 0xffffff00, v46
	v_sub_i16 v38, v49, v38 clamp
	v_or_b32_sdwa v38, v38, v46 dst_sel:DWORD dst_unused:UNUSED_PAD src0_sel:BYTE_1 src1_sel:DWORD
	v_and_b32_sdwa v46, v37, s31 dst_sel:DWORD dst_unused:UNUSED_PAD src0_sel:WORD_1 src1_sel:DWORD
	v_sub_i16 v46, v46, v47 clamp
	v_lshlrev_b16_sdwa v37, v41, v37 dst_sel:DWORD dst_unused:UNUSED_PAD src0_sel:DWORD src1_sel:WORD_1
	v_lshlrev_b16_e32 v26, 8, v26
	v_and_b32_e32 v46, 0xffffff00, v46
	v_sub_i16 v26, v37, v26 clamp
	v_or_b32_sdwa v26, v26, v46 dst_sel:WORD_1 dst_unused:UNUSED_PAD src0_sel:BYTE_1 src1_sel:DWORD
	v_bfe_u32 v37, v42, 7, 8
	v_or_b32_sdwa v26, v38, v26 dst_sel:DWORD dst_unused:UNUSED_PAD src0_sel:WORD_0 src1_sel:DWORD
	v_bcnt_u32_b32 v38, v37, 0
	v_and_b32_e32 v38, 1, v38
	v_lshlrev_b32_e32 v38, 7, v38
	v_xor_b32_e32 v37, v38, v37
	v_mul_lo_u32 v37, v37, s30
	v_dot4c_i32_i8_e32 v34, v43, v5
	v_and_b32_e32 v38, 0x8000000, v37
	v_lshrrev_b32_e32 v43, 8, v37
	v_lshrrev_b16_e32 v46, 1, v43
	v_cmp_ne_u16_sdwa s[20:21], v38, v15 src0_sel:BYTE_3 src1_sel:DWORD
	v_bfe_i32 v46, v46, 0, 1
	v_lshrrev_b32_e32 v47, 18, v37
	v_cndmask_b32_e64 v38, 0, -1, s[20:21]
	v_bfe_i32 v45, v42, 7, 1
	v_dot4c_i32_i8_e32 v34, v26, v6
	v_bfe_i32 v47, v47, 0, 1
	v_lshlrev_b16_e32 v38, 8, v38
	v_lshlrev_b16_e32 v46, 8, v46
	v_dot4c_i32_i8_e32 v34, v50, v7
	v_or_b32_sdwa v49, v47, v38 dst_sel:WORD_1 dst_unused:UNUSED_PAD src0_sel:BYTE_0 src1_sel:DWORD
	v_or_b32_sdwa v50, v45, v46 dst_sel:DWORD dst_unused:UNUSED_PAD src0_sel:BYTE_0 src1_sel:DWORD
	v_or_b32_sdwa v49, v50, v49 dst_sel:DWORD dst_unused:UNUSED_PAD src0_sel:WORD_0 src1_sel:DWORD
	s_waitcnt vmcnt(3)
	v_xor_b32_e32 v48, v48, v49
	v_and_b32_e32 v49, 0xffffff00, v48
	v_sub_i16 v46, v49, v46 clamp
	v_lshlrev_b16_e32 v49, 8, v48
	v_lshlrev_b16_e32 v45, 8, v45
	v_and_b32_e32 v46, 0xffffff00, v46
	v_sub_i16 v45, v49, v45 clamp
	v_or_b32_sdwa v45, v45, v46 dst_sel:DWORD dst_unused:UNUSED_PAD src0_sel:BYTE_1 src1_sel:DWORD
	v_and_b32_sdwa v46, v48, s31 dst_sel:DWORD dst_unused:UNUSED_PAD src0_sel:WORD_1 src1_sel:DWORD
	v_sub_i16 v38, v46, v38 clamp
	v_lshlrev_b16_sdwa v46, v41, v48 dst_sel:DWORD dst_unused:UNUSED_PAD src0_sel:DWORD src1_sel:WORD_1
	v_lshlrev_b16_e32 v47, 8, v47
	v_and_b32_e32 v38, 0xffffff00, v38
	v_sub_i16 v46, v46, v47 clamp
	v_or_b32_sdwa v38, v46, v38 dst_sel:WORD_1 dst_unused:UNUSED_PAD src0_sel:BYTE_1 src1_sel:DWORD
	v_lshrrev_b16_e32 v43, 5, v43
	v_or_b32_sdwa v38, v45, v38 dst_sel:DWORD dst_unused:UNUSED_PAD src0_sel:WORD_0 src1_sel:DWORD
	v_and_b32_e32 v45, 0x80000000, v37
	v_cmp_ne_u16_sdwa s[20:21], v45, v15 src0_sel:BYTE_3 src1_sel:DWORD
	v_bfe_i32 v43, v43, 0, 1
	v_lshrrev_b32_e32 v37, 22, v37
	v_cndmask_b32_e64 v45, 0, -1, s[20:21]
	v_bfe_i32 v10, v42, 14, 1
	v_and_or_b32 v26, v42, s23, v52
	v_bfe_i32 v42, v42, 11, 1
	v_bfe_i32 v37, v37, 0, 1
	v_lshlrev_b16_e32 v45, 8, v45
	v_lshlrev_b16_e32 v43, 8, v43
	v_or_b32_sdwa v46, v37, v45 dst_sel:WORD_1 dst_unused:UNUSED_PAD src0_sel:BYTE_0 src1_sel:DWORD
	v_or_b32_sdwa v47, v42, v43 dst_sel:DWORD dst_unused:UNUSED_PAD src0_sel:BYTE_0 src1_sel:DWORD
	v_or_b32_sdwa v46, v47, v46 dst_sel:DWORD dst_unused:UNUSED_PAD src0_sel:WORD_0 src1_sel:DWORD
	s_waitcnt vmcnt(2)
	v_xor_b32_e32 v44, v44, v46
	v_and_b32_e32 v46, 0xffffff00, v44
	v_sub_i16 v43, v46, v43 clamp
	v_lshlrev_b16_e32 v46, 8, v44
	v_lshlrev_b16_e32 v42, 8, v42
	v_and_b32_e32 v43, 0xffffff00, v43
	v_sub_i16 v42, v46, v42 clamp
	v_or_b32_sdwa v42, v42, v43 dst_sel:DWORD dst_unused:UNUSED_PAD src0_sel:BYTE_1 src1_sel:DWORD
	v_and_b32_sdwa v43, v44, s31 dst_sel:DWORD dst_unused:UNUSED_PAD src0_sel:WORD_1 src1_sel:DWORD
	v_sub_i16 v43, v43, v45 clamp
	v_lshlrev_b16_sdwa v44, v41, v44 dst_sel:DWORD dst_unused:UNUSED_PAD src0_sel:DWORD src1_sel:WORD_1
	v_lshlrev_b16_e32 v37, 8, v37
	v_and_b32_e32 v43, 0xffffff00, v43
	v_sub_i16 v37, v44, v37 clamp
	v_or_b32_sdwa v37, v37, v43 dst_sel:WORD_1 dst_unused:UNUSED_PAD src0_sel:BYTE_1 src1_sel:DWORD
	v_dot4c_i32_i8_e32 v35, v38, v11
	v_or_b32_sdwa v37, v42, v37 dst_sel:DWORD dst_unused:UNUSED_PAD src0_sel:WORD_0 src1_sel:DWORD
	v_dot4c_i32_i8_e32 v35, v37, v4
	v_bfe_u32 v4, v26, 14, 8
	v_bcnt_u32_b32 v11, v4, 0
	v_and_b32_e32 v11, 1, v11
	v_lshlrev_b32_e32 v11, 7, v11
	v_xor_b32_e32 v4, v11, v4
	v_mul_lo_u32 v4, v4, s30
	v_and_b32_e32 v11, 0x8000000, v4
	v_lshrrev_b32_e32 v26, 8, v4
	v_lshrrev_b16_e32 v37, 1, v26
	v_cmp_ne_u16_sdwa s[20:21], v11, v15 src0_sel:BYTE_3 src1_sel:DWORD
	v_bfe_i32 v37, v37, 0, 1
	v_lshrrev_b32_e32 v38, 18, v4
	v_cndmask_b32_e64 v11, 0, -1, s[20:21]
	v_bfe_i32 v38, v38, 0, 1
	v_lshlrev_b16_e32 v11, 8, v11
	v_lshlrev_b16_e32 v37, 8, v37
	v_or_b32_sdwa v42, v38, v11 dst_sel:WORD_1 dst_unused:UNUSED_PAD src0_sel:BYTE_0 src1_sel:DWORD
	v_or_b32_sdwa v43, v10, v37 dst_sel:DWORD dst_unused:UNUSED_PAD src0_sel:BYTE_0 src1_sel:DWORD
	v_or_b32_sdwa v42, v43, v42 dst_sel:DWORD dst_unused:UNUSED_PAD src0_sel:WORD_0 src1_sel:DWORD
	s_waitcnt vmcnt(1)
	v_xor_b32_e32 v36, v36, v42
	v_and_b32_e32 v42, 0xffffff00, v36
	v_sub_i16 v37, v42, v37 clamp
	v_lshlrev_b16_e32 v42, 8, v36
	v_lshlrev_b16_e32 v10, 8, v10
	v_and_b32_e32 v37, 0xffffff00, v37
	v_sub_i16 v10, v42, v10 clamp
	v_or_b32_sdwa v10, v10, v37 dst_sel:DWORD dst_unused:UNUSED_PAD src0_sel:BYTE_1 src1_sel:DWORD
	v_and_b32_sdwa v37, v36, s31 dst_sel:DWORD dst_unused:UNUSED_PAD src0_sel:WORD_1 src1_sel:DWORD
	v_sub_i16 v11, v37, v11 clamp
	v_lshlrev_b16_sdwa v36, v41, v36 dst_sel:DWORD dst_unused:UNUSED_PAD src0_sel:DWORD src1_sel:WORD_1
	v_lshlrev_b16_e32 v37, 8, v38
	v_and_b32_e32 v11, 0xffffff00, v11
	v_sub_i16 v36, v36, v37 clamp
	v_or_b32_sdwa v11, v36, v11 dst_sel:WORD_1 dst_unused:UNUSED_PAD src0_sel:BYTE_1 src1_sel:DWORD
	v_lshrrev_b16_e32 v26, 5, v26
	v_or_b32_sdwa v10, v10, v11 dst_sel:DWORD dst_unused:UNUSED_PAD src0_sel:WORD_0 src1_sel:DWORD
	v_and_b32_e32 v11, 0x80000000, v4
	v_cmp_ne_u16_sdwa s[20:21], v11, v15 src0_sel:BYTE_3 src1_sel:DWORD
	v_bfe_i32 v26, v26, 0, 1
	v_lshrrev_b32_e32 v4, 22, v4
	v_cndmask_b32_e64 v11, 0, -1, s[20:21]
	v_bfe_i32 v4, v4, 0, 1
	v_lshlrev_b16_e32 v11, 8, v11
	v_lshlrev_b16_e32 v26, 8, v26
	v_or_b32_sdwa v36, v4, v11 dst_sel:WORD_1 dst_unused:UNUSED_PAD src0_sel:BYTE_0 src1_sel:DWORD
	v_or_b32_sdwa v28, v28, v26 dst_sel:DWORD dst_unused:UNUSED_PAD src0_sel:BYTE_0 src1_sel:DWORD
	v_or_b32_sdwa v28, v28, v36 dst_sel:DWORD dst_unused:UNUSED_PAD src0_sel:WORD_0 src1_sel:DWORD
	s_waitcnt vmcnt(0)
	v_xor_b32_e32 v9, v9, v28
	v_and_b32_e32 v28, 0xffffff00, v9
	v_sub_i16 v26, v28, v26 clamp
	v_lshlrev_b16_e32 v28, 8, v9
	v_and_b32_e32 v26, 0xffffff00, v26
	v_sub_i16 v27, v28, v27 clamp
	v_or_b32_sdwa v26, v27, v26 dst_sel:DWORD dst_unused:UNUSED_PAD src0_sel:BYTE_1 src1_sel:DWORD
	v_and_b32_sdwa v27, v9, s31 dst_sel:DWORD dst_unused:UNUSED_PAD src0_sel:WORD_1 src1_sel:DWORD
	v_sub_i16 v11, v27, v11 clamp
	v_lshlrev_b16_sdwa v9, v41, v9 dst_sel:DWORD dst_unused:UNUSED_PAD src0_sel:DWORD src1_sel:WORD_1
	v_lshlrev_b16_e32 v4, 8, v4
	v_and_b32_e32 v11, 0xffffff00, v11
	v_sub_i16 v4, v9, v4 clamp
	v_or_b32_sdwa v4, v4, v11 dst_sel:WORD_1 dst_unused:UNUSED_PAD src0_sel:BYTE_1 src1_sel:DWORD
	v_dot4c_i32_i8_e32 v35, v10, v5
	v_or_b32_sdwa v4, v26, v4 dst_sel:DWORD dst_unused:UNUSED_PAD src0_sel:WORD_0 src1_sel:DWORD
	v_dot4c_i32_i8_e32 v35, v4, v6
	v_dot4c_i32_i8_e32 v34, v51, v32
	;; [unrolled: 1-line block ×4, first 2 shown]
	s_nop 0
	v_lshrrev_b32_e32 v4, 31, v34
	v_add_u32_e32 v4, v34, v4
	v_lshrrev_b32_e32 v5, 31, v35
	v_ashrrev_i32_e32 v4, 1, v4
	v_add_u32_e32 v5, v35, v5
	v_ashrrev_i32_e32 v6, 1, v5
	v_mad_u64_u32 v[4:5], s[20:21], v34, v30, v[4:5]
	v_mad_u64_u32 v[6:7], s[20:21], v35, v31, v[6:7]
	v_lshrrev_b32_e32 v5, 31, v4
	v_add_u32_e32 v4, v4, v5
	v_lshrrev_b32_e32 v5, 31, v6
	v_add_u32_e32 v5, v6, v5
	v_ashrrev_i32_e32 v4, 1, v4
	v_ashrrev_i32_e32 v5, 1, v5
	v_cvt_f32_i32_e32 v5, v5
	v_cvt_f32_i32_e32 v4, v4
	v_pk_mul_f32 v[6:7], v[8:9], v[24:25] op_sel_hi:[0,1]
	v_pk_fma_f32 v[2:3], v[6:7], v[4:5], v[2:3]
	scratch_store_dwordx4 off, v[0:3], off offset:48
	s_andn2_b64 exec, exec, s[12:13]
	s_cbranch_execnz .LBB203_2
.LBB203_3:
	s_or_b64 exec, exec, s[6:7]
	s_mov_b32 s5, 0
	v_cmp_eq_u32_e32 vcc, 0, v13
	s_waitcnt lgkmcnt(0)
	; wave barrier
	s_and_saveexec_b64 s[6:7], vcc
	s_cbranch_execz .LBB203_20
; %bb.4:
	scratch_load_dwordx2 v[2:3], off, off
	v_mbcnt_lo_u32_b32 v0, -1, 0
	v_mbcnt_hi_u32_b32 v13, -1, v0
	s_load_dwordx2 s[6:7], s[0:1], 0x38
	s_mul_i32 s0, s3, s14
	v_or_b32_e32 v1, s2, v12
	v_and_b32_e32 v0, 64, v13
	s_mul_i32 s4, s4, s18
	s_add_i32 s2, s0, s2
	v_cmp_gt_u32_e64 s[0:1], s10, v1
	v_xor_b32_e32 v1, 32, v13
	v_add_u32_e32 v14, 64, v0
	s_add_i32 s4, s2, s4
	v_cmp_lt_i32_e64 s[2:3], v1, v14
	v_cmp_gt_u32_e32 vcc, 2, v12
	s_nop 0
	v_cndmask_b32_e64 v0, v13, v1, s[2:3]
	v_lshlrev_b32_e32 v0, 2, v0
	v_xor_b32_e32 v1, 16, v13
	v_cmp_lt_i32_e64 s[2:3], v1, v14
	s_waitcnt vmcnt(0)
	ds_bpermute_b32 v4, v0, v2
	ds_bpermute_b32 v5, v0, v3
	v_cndmask_b32_e64 v1, v13, v1, s[2:3]
	v_lshlrev_b32_e32 v1, 2, v1
	s_waitcnt lgkmcnt(0)
	v_pk_add_f32 v[4:5], v[2:3], v[4:5]
	ds_bpermute_b32 v6, v1, v4
	ds_bpermute_b32 v7, v1, v5
	v_xor_b32_e32 v2, 8, v13
	v_cmp_lt_i32_e64 s[2:3], v2, v14
	v_xor_b32_e32 v3, 4, v13
	s_waitcnt lgkmcnt(0)
	v_pk_add_f32 v[4:5], v[4:5], v[6:7]
	v_cndmask_b32_e64 v2, v13, v2, s[2:3]
	v_lshlrev_b32_e32 v2, 2, v2
	ds_bpermute_b32 v6, v2, v4
	ds_bpermute_b32 v7, v2, v5
	v_cmp_lt_i32_e64 s[2:3], v3, v14
	s_waitcnt lgkmcnt(0)
	v_pk_add_f32 v[6:7], v[4:5], v[6:7]
	v_cndmask_b32_e64 v3, v13, v3, s[2:3]
	v_lshlrev_b32_e32 v3, 2, v3
	ds_bpermute_b32 v8, v3, v6
	ds_bpermute_b32 v9, v3, v7
	v_xor_b32_e32 v4, 2, v13
	v_cmp_lt_i32_e64 s[2:3], v4, v14
	v_xor_b32_e32 v5, 1, v13
	s_waitcnt lgkmcnt(0)
	v_pk_add_f32 v[8:9], v[6:7], v[8:9]
	v_cndmask_b32_e64 v4, v13, v4, s[2:3]
	v_lshlrev_b32_e32 v4, 2, v4
	ds_bpermute_b32 v10, v4, v8
	ds_bpermute_b32 v11, v4, v9
	v_cmp_lt_i32_e64 s[2:3], v5, v14
	s_waitcnt lgkmcnt(0)
	v_pk_add_f32 v[8:9], v[8:9], v[10:11]
	v_cndmask_b32_e64 v5, v13, v5, s[2:3]
	v_lshlrev_b32_e32 v6, 2, v5
	ds_bpermute_b32 v10, v6, v8
	ds_bpermute_b32 v11, v6, v9
	s_lshl_b64 s[2:3], s[4:5], 2
	s_add_u32 s2, s6, s2
	s_addc_u32 s3, s7, s3
	s_and_b64 s[0:1], vcc, s[0:1]
	s_waitcnt lgkmcnt(0)
	v_pk_add_f32 v[8:9], v[8:9], v[10:11]
	v_lshlrev_b32_e32 v5, 2, v12
	scratch_store_dwordx2 off, v[8:9], off
	s_and_saveexec_b64 s[4:5], s[0:1]
	s_cbranch_execz .LBB203_6
; %bb.5:
	scratch_load_dword v7, v5, off
	s_waitcnt vmcnt(0)
	global_store_dword v5, v7, s[2:3]
.LBB203_6:
	s_or_b64 exec, exec, s[4:5]
	scratch_load_dwordx2 v[8:9], off, off offset:8
	s_waitcnt vmcnt(0)
	ds_bpermute_b32 v10, v0, v8
	ds_bpermute_b32 v11, v0, v9
	s_waitcnt lgkmcnt(0)
	v_pk_add_f32 v[8:9], v[8:9], v[10:11]
	ds_bpermute_b32 v10, v1, v8
	ds_bpermute_b32 v11, v1, v9
	s_waitcnt lgkmcnt(0)
	v_pk_add_f32 v[8:9], v[8:9], v[10:11]
	ds_bpermute_b32 v10, v2, v8
	ds_bpermute_b32 v11, v2, v9
	s_waitcnt lgkmcnt(0)
	v_pk_add_f32 v[8:9], v[8:9], v[10:11]
	ds_bpermute_b32 v10, v3, v8
	ds_bpermute_b32 v11, v3, v9
	s_waitcnt lgkmcnt(0)
	v_pk_add_f32 v[8:9], v[8:9], v[10:11]
	ds_bpermute_b32 v10, v4, v8
	ds_bpermute_b32 v11, v4, v9
	s_waitcnt lgkmcnt(0)
	v_pk_add_f32 v[8:9], v[8:9], v[10:11]
	ds_bpermute_b32 v10, v6, v8
	ds_bpermute_b32 v11, v6, v9
	s_waitcnt lgkmcnt(0)
	v_pk_add_f32 v[8:9], v[8:9], v[10:11]
	scratch_store_dwordx2 off, v[8:9], off offset:8
	s_and_saveexec_b64 s[4:5], s[0:1]
	s_cbranch_execz .LBB203_8
; %bb.7:
	scratch_load_dword v7, v5, off offset:8
	v_add_u32_e32 v8, s10, v12
	v_mov_b32_e32 v9, 0
	v_lshl_add_u64 v[8:9], v[8:9], 2, s[2:3]
	s_waitcnt vmcnt(0)
	global_store_dword v[8:9], v7, off
.LBB203_8:
	s_or_b64 exec, exec, s[4:5]
	scratch_load_dwordx2 v[8:9], off, off offset:16
	s_waitcnt vmcnt(0)
	ds_bpermute_b32 v10, v0, v8
	ds_bpermute_b32 v11, v0, v9
	s_waitcnt lgkmcnt(0)
	v_pk_add_f32 v[8:9], v[8:9], v[10:11]
	ds_bpermute_b32 v10, v1, v8
	ds_bpermute_b32 v11, v1, v9
	s_waitcnt lgkmcnt(0)
	v_pk_add_f32 v[8:9], v[8:9], v[10:11]
	;; [unrolled: 4-line block ×6, first 2 shown]
	scratch_store_dwordx2 off, v[8:9], off offset:16
	s_and_saveexec_b64 s[4:5], s[0:1]
	s_cbranch_execz .LBB203_10
; %bb.9:
	scratch_load_dword v7, v5, off offset:16
	v_lshl_or_b32 v8, s10, 1, v12
	v_mov_b32_e32 v9, 0
	v_lshl_add_u64 v[8:9], v[8:9], 2, s[2:3]
	s_waitcnt vmcnt(0)
	global_store_dword v[8:9], v7, off
.LBB203_10:
	s_or_b64 exec, exec, s[4:5]
	scratch_load_dwordx2 v[8:9], off, off offset:24
	s_waitcnt vmcnt(0)
	ds_bpermute_b32 v10, v0, v8
	ds_bpermute_b32 v11, v0, v9
	s_waitcnt lgkmcnt(0)
	v_pk_add_f32 v[8:9], v[8:9], v[10:11]
	ds_bpermute_b32 v10, v1, v8
	ds_bpermute_b32 v11, v1, v9
	s_waitcnt lgkmcnt(0)
	v_pk_add_f32 v[8:9], v[8:9], v[10:11]
	;; [unrolled: 4-line block ×6, first 2 shown]
	scratch_store_dwordx2 off, v[8:9], off offset:24
	s_and_saveexec_b64 s[4:5], s[0:1]
	s_cbranch_execz .LBB203_12
; %bb.11:
	scratch_load_dword v7, v5, off offset:24
	v_mad_u64_u32 v[8:9], s[6:7], s10, 3, v[12:13]
	v_mov_b32_e32 v9, 0
	v_lshl_add_u64 v[8:9], v[8:9], 2, s[2:3]
	s_waitcnt vmcnt(0)
	global_store_dword v[8:9], v7, off
.LBB203_12:
	s_or_b64 exec, exec, s[4:5]
	scratch_load_dwordx2 v[8:9], off, off offset:32
	s_waitcnt vmcnt(0)
	ds_bpermute_b32 v10, v0, v8
	ds_bpermute_b32 v11, v0, v9
	s_waitcnt lgkmcnt(0)
	v_pk_add_f32 v[8:9], v[8:9], v[10:11]
	ds_bpermute_b32 v10, v1, v8
	ds_bpermute_b32 v11, v1, v9
	s_waitcnt lgkmcnt(0)
	v_pk_add_f32 v[8:9], v[8:9], v[10:11]
	;; [unrolled: 4-line block ×6, first 2 shown]
	scratch_store_dwordx2 off, v[8:9], off offset:32
	s_and_saveexec_b64 s[4:5], s[0:1]
	s_cbranch_execz .LBB203_14
; %bb.13:
	scratch_load_dword v7, v5, off offset:32
	v_lshl_or_b32 v8, s10, 2, v12
	v_mov_b32_e32 v9, 0
	v_lshl_add_u64 v[8:9], v[8:9], 2, s[2:3]
	s_waitcnt vmcnt(0)
	global_store_dword v[8:9], v7, off
.LBB203_14:
	s_or_b64 exec, exec, s[4:5]
	scratch_load_dwordx2 v[8:9], off, off offset:40
	s_waitcnt vmcnt(0)
	ds_bpermute_b32 v10, v0, v8
	ds_bpermute_b32 v11, v0, v9
	s_waitcnt lgkmcnt(0)
	v_pk_add_f32 v[8:9], v[8:9], v[10:11]
	ds_bpermute_b32 v10, v1, v8
	ds_bpermute_b32 v11, v1, v9
	s_waitcnt lgkmcnt(0)
	v_pk_add_f32 v[8:9], v[8:9], v[10:11]
	;; [unrolled: 4-line block ×6, first 2 shown]
	scratch_store_dwordx2 off, v[8:9], off offset:40
	s_and_saveexec_b64 s[4:5], s[0:1]
	s_cbranch_execz .LBB203_16
; %bb.15:
	scratch_load_dword v7, v5, off offset:40
	v_mad_u64_u32 v[8:9], s[6:7], s10, 5, v[12:13]
	v_mov_b32_e32 v9, 0
	v_lshl_add_u64 v[8:9], v[8:9], 2, s[2:3]
	s_waitcnt vmcnt(0)
	global_store_dword v[8:9], v7, off
.LBB203_16:
	s_or_b64 exec, exec, s[4:5]
	scratch_load_dwordx2 v[8:9], off, off offset:48
	s_waitcnt vmcnt(0)
	ds_bpermute_b32 v10, v0, v8
	ds_bpermute_b32 v11, v0, v9
	s_waitcnt lgkmcnt(0)
	v_pk_add_f32 v[8:9], v[8:9], v[10:11]
	ds_bpermute_b32 v10, v1, v8
	ds_bpermute_b32 v11, v1, v9
	s_waitcnt lgkmcnt(0)
	v_pk_add_f32 v[8:9], v[8:9], v[10:11]
	;; [unrolled: 4-line block ×6, first 2 shown]
	scratch_store_dwordx2 off, v[8:9], off offset:48
	s_and_saveexec_b64 s[4:5], s[0:1]
	s_cbranch_execz .LBB203_18
; %bb.17:
	scratch_load_dword v7, v5, off offset:48
	s_mul_i32 s6, s10, 6
	v_or_b32_e32 v8, s6, v12
	v_mov_b32_e32 v9, 0
	v_lshl_add_u64 v[8:9], v[8:9], 2, s[2:3]
	s_waitcnt vmcnt(0)
	global_store_dword v[8:9], v7, off
.LBB203_18:
	s_or_b64 exec, exec, s[4:5]
	scratch_load_dwordx2 v[8:9], off, off offset:56
	s_waitcnt vmcnt(0)
	ds_bpermute_b32 v10, v0, v8
	ds_bpermute_b32 v11, v0, v9
	s_waitcnt lgkmcnt(0)
	v_pk_add_f32 v[8:9], v[8:9], v[10:11]
	ds_bpermute_b32 v0, v1, v8
	ds_bpermute_b32 v1, v1, v9
	s_waitcnt lgkmcnt(0)
	v_pk_add_f32 v[0:1], v[8:9], v[0:1]
	;; [unrolled: 4-line block ×6, first 2 shown]
	scratch_store_dwordx2 off, v[0:1], off offset:56
	s_and_b64 exec, exec, s[0:1]
	s_cbranch_execz .LBB203_20
; %bb.19:
	scratch_load_dword v2, v5, off offset:56
	v_mad_u64_u32 v[0:1], s[0:1], s10, 7, v[12:13]
	v_mov_b32_e32 v1, 0
	v_lshl_add_u64 v[0:1], v[0:1], 2, s[2:3]
	s_waitcnt vmcnt(0)
	global_store_dword v[0:1], v2, off
.LBB203_20:
	s_endpgm
	.section	.rodata,"a",@progbits
	.p2align	6, 0x0
	.amdhsa_kernel _ZL13mul_mat_vec_qIL9ggml_type18ELi8ELb0ELb0EEvPKvS2_PKi31ggml_cuda_mm_fusion_args_devicePfj15HIP_vector_typeIjLj3EEjjjS8_jjjS8_jjjj
		.amdhsa_group_segment_fixed_size 0
		.amdhsa_private_segment_fixed_size 80
		.amdhsa_kernarg_size 144
		.amdhsa_user_sgpr_count 2
		.amdhsa_user_sgpr_dispatch_ptr 0
		.amdhsa_user_sgpr_queue_ptr 0
		.amdhsa_user_sgpr_kernarg_segment_ptr 1
		.amdhsa_user_sgpr_dispatch_id 0
		.amdhsa_user_sgpr_kernarg_preload_length 0
		.amdhsa_user_sgpr_kernarg_preload_offset 0
		.amdhsa_user_sgpr_private_segment_size 0
		.amdhsa_uses_dynamic_stack 0
		.amdhsa_enable_private_segment 1
		.amdhsa_system_sgpr_workgroup_id_x 1
		.amdhsa_system_sgpr_workgroup_id_y 1
		.amdhsa_system_sgpr_workgroup_id_z 1
		.amdhsa_system_sgpr_workgroup_info 0
		.amdhsa_system_vgpr_workitem_id 1
		.amdhsa_next_free_vgpr 95
		.amdhsa_next_free_sgpr 36
		.amdhsa_accum_offset 96
		.amdhsa_reserve_vcc 1
		.amdhsa_float_round_mode_32 0
		.amdhsa_float_round_mode_16_64 0
		.amdhsa_float_denorm_mode_32 3
		.amdhsa_float_denorm_mode_16_64 3
		.amdhsa_dx10_clamp 1
		.amdhsa_ieee_mode 1
		.amdhsa_fp16_overflow 0
		.amdhsa_tg_split 0
		.amdhsa_exception_fp_ieee_invalid_op 0
		.amdhsa_exception_fp_denorm_src 0
		.amdhsa_exception_fp_ieee_div_zero 0
		.amdhsa_exception_fp_ieee_overflow 0
		.amdhsa_exception_fp_ieee_underflow 0
		.amdhsa_exception_fp_ieee_inexact 0
		.amdhsa_exception_int_div_zero 0
	.end_amdhsa_kernel
	.section	.text._ZL13mul_mat_vec_qIL9ggml_type18ELi8ELb0ELb0EEvPKvS2_PKi31ggml_cuda_mm_fusion_args_devicePfj15HIP_vector_typeIjLj3EEjjjS8_jjjS8_jjjj,"axG",@progbits,_ZL13mul_mat_vec_qIL9ggml_type18ELi8ELb0ELb0EEvPKvS2_PKi31ggml_cuda_mm_fusion_args_devicePfj15HIP_vector_typeIjLj3EEjjjS8_jjjS8_jjjj,comdat
.Lfunc_end203:
	.size	_ZL13mul_mat_vec_qIL9ggml_type18ELi8ELb0ELb0EEvPKvS2_PKi31ggml_cuda_mm_fusion_args_devicePfj15HIP_vector_typeIjLj3EEjjjS8_jjjS8_jjjj, .Lfunc_end203-_ZL13mul_mat_vec_qIL9ggml_type18ELi8ELb0ELb0EEvPKvS2_PKi31ggml_cuda_mm_fusion_args_devicePfj15HIP_vector_typeIjLj3EEjjjS8_jjjS8_jjjj
                                        ; -- End function
	.section	.AMDGPU.csdata,"",@progbits
; Kernel info:
; codeLenInByte = 26004
; NumSgprs: 42
; NumVgprs: 95
; NumAgprs: 0
; TotalNumVgprs: 95
; ScratchSize: 80
; MemoryBound: 0
; FloatMode: 240
; IeeeMode: 1
; LDSByteSize: 0 bytes/workgroup (compile time only)
; SGPRBlocks: 5
; VGPRBlocks: 11
; NumSGPRsForWavesPerEU: 42
; NumVGPRsForWavesPerEU: 95
; AccumOffset: 96
; Occupancy: 5
; WaveLimiterHint : 0
; COMPUTE_PGM_RSRC2:SCRATCH_EN: 1
; COMPUTE_PGM_RSRC2:USER_SGPR: 2
; COMPUTE_PGM_RSRC2:TRAP_HANDLER: 0
; COMPUTE_PGM_RSRC2:TGID_X_EN: 1
; COMPUTE_PGM_RSRC2:TGID_Y_EN: 1
; COMPUTE_PGM_RSRC2:TGID_Z_EN: 1
; COMPUTE_PGM_RSRC2:TIDIG_COMP_CNT: 1
; COMPUTE_PGM_RSRC3_GFX90A:ACCUM_OFFSET: 23
; COMPUTE_PGM_RSRC3_GFX90A:TG_SPLIT: 0
	.section	.text._ZL17mul_mat_vec_q_moeIL9ggml_type19ELi2EEvPKvS2_PKiPfj15HIP_vector_typeIjLj3EEjjjjjjjjj,"axG",@progbits,_ZL17mul_mat_vec_q_moeIL9ggml_type19ELi2EEvPKvS2_PKiPfj15HIP_vector_typeIjLj3EEjjjjjjjjj,comdat
	.globl	_ZL17mul_mat_vec_q_moeIL9ggml_type19ELi2EEvPKvS2_PKiPfj15HIP_vector_typeIjLj3EEjjjjjjjjj ; -- Begin function _ZL17mul_mat_vec_q_moeIL9ggml_type19ELi2EEvPKvS2_PKiPfj15HIP_vector_typeIjLj3EEjjjjjjjjj
	.p2align	8
	.type	_ZL17mul_mat_vec_q_moeIL9ggml_type19ELi2EEvPKvS2_PKiPfj15HIP_vector_typeIjLj3EEjjjjjjjjj,@function
_ZL17mul_mat_vec_q_moeIL9ggml_type19ELi2EEvPKvS2_PKiPfj15HIP_vector_typeIjLj3EEjjjjjjjjj: ; @_ZL17mul_mat_vec_q_moeIL9ggml_type19ELi2EEvPKvS2_PKiPfj15HIP_vector_typeIjLj3EEjjjjjjjjj
; %bb.0:
	s_load_dwordx8 s[4:11], s[0:1], 0x30
	v_bfe_u32 v8, v0, 10, 10
	s_waitcnt lgkmcnt(0)
	v_cmp_gt_u32_e32 vcc, s11, v8
	s_and_saveexec_b64 s[12:13], vcc
	s_cbranch_execz .LBB204_7
; %bb.1:
	s_load_dword s11, s[0:1], 0x20
	s_load_dword s20, s[0:1], 0x50
	s_load_dwordx8 s[12:19], s[0:1], 0x0
	v_and_b32_e32 v9, 0x3ff, v0
	v_lshrrev_b32_e32 v10, 3, v9
	s_waitcnt lgkmcnt(0)
	s_lshr_b32 s11, s11, 8
	v_mov_b32_e32 v3, 0
	s_lshl_b32 s2, s2, 1
	v_cmp_gt_u32_e32 vcc, s11, v10
	v_mov_b32_e32 v2, v3
	s_and_saveexec_b64 s[24:25], vcc
	s_cbranch_execz .LBB204_5
; %bb.2:
	v_mul_lo_u32 v0, v8, s20
	v_mov_b32_e32 v2, s16
	v_mov_b32_e32 v3, s17
	v_add_u32_e32 v0, s3, v0
	v_mov_b32_e32 v1, 0
	v_lshl_add_u64 v[2:3], v[0:1], 2, v[2:3]
	global_load_dword v3, v[2:3], off
	s_load_dwordx4 s[20:23], s[0:1], 0x24
	v_mul_lo_u32 v2, v8, s6
	s_add_i32 s28, s2, 1
	s_mul_i32 s27, s2, s5
	v_lshrrev_b32_e32 v7, 3, v9
	s_waitcnt lgkmcnt(0)
	s_mul_hi_u32 s20, s20, s3
	s_add_i32 s20, s3, s20
	s_lshr_b32 s20, s20, s21
	s_mul_i32 s20, s20, s22
	s_movk_i32 s30, 0x120
	s_mul_i32 s5, s5, s28
	v_mad_u64_u32 v[16:17], s[28:29], v2, 36, 0
	s_sub_i32 s20, s3, s20
	v_mad_u64_u32 v[16:17], s[28:29], v7, s30, v[16:17]
	s_mul_i32 s20, s20, s9
	v_and_b32_e32 v6, 7, v9
	v_mad_u64_u32 v[16:17], s[20:21], s20, 36, v[16:17]
	v_lshlrev_b32_e32 v0, 1, v6
	v_lshlrev_b32_e32 v4, 1, v6
	v_mad_u64_u32 v[6:7], s[20:21], v6, 36, v[16:17]
	v_lshl_add_u64 v[6:7], v[6:7], 0, s[14:15]
	s_mov_b64 s[0:1], 0
	s_mov_b32 s6, 0x5040100
	s_movk_i32 s23, 0x700
	s_mov_b32 s26, 0x8000
	v_mov_b32_e32 v11, 0xbf600000
	s_mov_b64 s[16:17], 0x900
	v_mov_b32_e32 v12, 8
	v_mov_b32_e32 v13, 5
	;; [unrolled: 1-line block ×6, first 2 shown]
	v_lshlrev_b32_e32 v0, 1, v0
	v_lshl_add_u64 v[6:7], v[6:7], 0, 16
	s_waitcnt vmcnt(0)
	v_mul_lo_u32 v3, v3, s8
	v_add_u32_e32 v16, s27, v3
	v_add_u32_e32 v17, s5, v3
	v_mov_b32_e32 v3, v1
.LBB204_3:                              ; =>This Inner Loop Header: Depth=1
	v_add_u32_e32 v18, v16, v10
	v_add_u32_e32 v19, v17, v10
	v_mad_i64_i32 v[26:27], s[8:9], v18, 50, s[12:13]
	v_mad_i64_i32 v[28:29], s[8:9], v19, 50, s[12:13]
	v_lshl_add_u64 v[30:31], v[26:27], 0, v[0:1]
	v_lshl_add_u64 v[32:33], v[26:27], 0, v[4:5]
	;; [unrolled: 1-line block ×4, first 2 shown]
	global_load_dword v38, v[30:31], off offset:2
	global_load_dword v39, v[34:35], off offset:2
	global_load_ushort v40, v[32:33], off offset:34
	global_load_ushort v41, v[36:37], off offset:34
	global_load_dwordx4 v[18:21], v[6:7], off
	global_load_dwordx4 v[22:25], v[6:7], off offset:-16
	global_load_ushort v30, v[28:29], off
	global_load_ushort v31, v[26:27], off
	s_getpc_b64 s[8:9]
	s_add_u32 s8, s8, _ZL13iq1s_grid_gpu@rel32@lo+4
	s_addc_u32 s9, s9, _ZL13iq1s_grid_gpu@rel32@hi+12
	v_add_u32_e32 v10, 8, v10
	v_cmp_le_u32_e32 vcc, s11, v10
	s_or_b64 s[0:1], vcc, s[0:1]
	s_waitcnt vmcnt(7)
	v_and_b32_e32 v28, 0xff, v38
	v_lshrrev_b16_e32 v26, 8, v38
	s_waitcnt vmcnt(5)
	v_lshlrev_b32_sdwa v36, v12, v40 dst_sel:DWORD dst_unused:UNUSED_PAD src0_sel:DWORD src1_sel:WORD_0
	v_lshrrev_b32_e32 v27, 24, v38
	v_bfe_u32 v29, v38, 16, 8
	v_lshrrev_b16_e32 v32, 8, v39
	v_lshrrev_b32_e32 v33, 24, v39
	v_and_b32_e32 v34, 0xff, v39
	v_bfe_u32 v35, v39, 16, 8
	v_lshlrev_b32_sdwa v37, v13, v40 dst_sel:DWORD dst_unused:UNUSED_PAD src0_sel:DWORD src1_sel:WORD_0
	v_lshlrev_b32_sdwa v38, v14, v40 dst_sel:DWORD dst_unused:UNUSED_PAD src0_sel:DWORD src1_sel:WORD_0
	v_lshrrev_b32_sdwa v39, v15, v40 dst_sel:DWORD dst_unused:UNUSED_PAD src0_sel:DWORD src1_sel:WORD_0
	s_waitcnt vmcnt(4)
	v_lshlrev_b32_sdwa v42, v12, v41 dst_sel:DWORD dst_unused:UNUSED_PAD src0_sel:DWORD src1_sel:WORD_0
	v_lshlrev_b32_sdwa v43, v13, v41 dst_sel:DWORD dst_unused:UNUSED_PAD src0_sel:DWORD src1_sel:WORD_0
	;; [unrolled: 1-line block ×3, first 2 shown]
	v_lshrrev_b32_sdwa v45, v15, v41 dst_sel:DWORD dst_unused:UNUSED_PAD src0_sel:DWORD src1_sel:WORD_0
	v_and_or_b32 v28, v36, s23, v28
	v_and_or_b32 v26, v37, s23, v26
	v_and_or_b32 v29, v38, s23, v29
	v_and_or_b32 v27, v39, s23, v27
	v_and_or_b32 v34, v42, s23, v34
	v_and_or_b32 v32, v43, s23, v32
	v_and_or_b32 v35, v44, s23, v35
	v_and_or_b32 v33, v45, s23, v33
	v_lshlrev_b32_e32 v28, 2, v28
	v_lshlrev_b32_e32 v26, 2, v26
	;; [unrolled: 1-line block ×8, first 2 shown]
	global_load_dword v36, v28, s[8:9]
	global_load_dword v37, v26, s[8:9]
	;; [unrolled: 1-line block ×8, first 2 shown]
	global_load_dword v46, v[6:7], off offset:16
	s_waitcnt vmcnt(11)
	v_cvt_f32_f16_sdwa v27, v22 dst_sel:DWORD dst_unused:UNUSED_PAD src0_sel:WORD_1
	v_cvt_f32_f16_e32 v26, v22
	v_perm_b32 v22, v41, v40, s6
	v_and_b32_sdwa v34, v40, s26 dst_sel:DWORD dst_unused:UNUSED_PAD src0_sel:WORD_0 src1_sel:DWORD
	s_waitcnt vmcnt(10)
	v_cvt_f32_f16_e32 v29, v30
	v_and_b32_sdwa v30, v41, s26 dst_sel:DWORD dst_unused:UNUSED_PAD src0_sel:WORD_0 src1_sel:DWORD
	s_waitcnt vmcnt(9)
	v_cvt_f32_f16_e32 v28, v31
	v_cvt_f32_u32_e32 v34, v34
	v_pk_lshrrev_b16 v22, 11, v22 op_sel_hi:[0,1]
	v_cvt_f32_u32_e32 v35, v30
	v_and_b32_e32 v22, 0xe000e, v22
	v_or_b32_e32 v22, 0x10001, v22
	v_cvt_f32_ubyte2_e32 v31, v22
	v_cvt_f32_ubyte0_e32 v30, v22
	v_mov_b32_e32 v32, 0
	v_mov_b32_e32 v33, 0
	v_fmamk_f32 v22, v34, 0xb7000000, v11
	v_pk_mul_f32 v[28:29], v[30:31], v[28:29]
	v_fmamk_f32 v31, v35, 0xb7000000, v11
	v_mul_f32_e32 v22, v22, v27
	v_lshl_add_u64 v[6:7], v[6:7], 0, s[16:17]
	s_waitcnt vmcnt(8)
	v_and_b32_e32 v30, 0xf0f0f0f, v36
	v_lshrrev_b32_e32 v34, 4, v36
	s_waitcnt vmcnt(7)
	v_and_b32_e32 v35, 0xf0f0f0f, v37
	v_lshrrev_b32_e32 v36, 4, v37
	;; [unrolled: 3-line block ×5, first 2 shown]
	v_dot4c_i32_i8_e32 v32, v30, v23
	v_and_b32_e32 v30, 0xf0f0f0f, v36
	v_and_b32_e32 v36, 0xf0f0f0f, v38
	;; [unrolled: 1-line block ×4, first 2 shown]
	v_dot4c_i32_i8_e32 v33, v41, v23
	s_waitcnt vmcnt(3)
	v_and_b32_e32 v47, 0xf0f0f0f, v43
	v_lshrrev_b32_e32 v43, 4, v43
	v_and_b32_e32 v34, 0xf0f0f0f, v34
	v_dot4c_i32_i8_e32 v33, v39, v24
	v_and_b32_e32 v23, 0xf0f0f0f, v43
	v_dot4c_i32_i8_e32 v32, v34, v24
	v_dot4c_i32_i8_e32 v33, v47, v25
	s_waitcnt vmcnt(2)
	v_and_b32_e32 v48, 0xf0f0f0f, v44
	v_lshrrev_b32_e32 v44, 4, v44
	v_dot4c_i32_i8_e32 v32, v35, v25
	v_dot4c_i32_i8_e32 v33, v23, v18
	v_and_b32_e32 v41, 0xf0f0f0f, v44
	v_dot4c_i32_i8_e32 v32, v30, v18
	v_dot4c_i32_i8_e32 v33, v48, v19
	s_waitcnt vmcnt(1)
	v_and_b32_e32 v49, 0xf0f0f0f, v45
	v_lshrrev_b32_e32 v45, 4, v45
	v_dot4c_i32_i8_e32 v32, v37, v19
	v_dot4c_i32_i8_e32 v33, v41, v20
	v_and_b32_e32 v42, 0xf0f0f0f, v45
	v_dot4c_i32_i8_e32 v32, v36, v20
	v_dot4c_i32_i8_e32 v33, v49, v21
	;; [unrolled: 1-line block ×3, first 2 shown]
	s_waitcnt vmcnt(0)
	v_dot4c_i32_i8_e32 v33, v42, v46
	v_dot4c_i32_i8_e32 v32, v38, v46
	s_nop 1
	v_cvt_f32_i32_e32 v30, v33
	v_cvt_f32_i32_e32 v18, v32
	v_pk_mul_f32 v[20:21], v[30:31], v[26:27]
	v_mul_f32_e32 v18, v26, v18
	v_mov_b32_e32 v19, v20
	v_mov_b32_e32 v23, v21
	v_pk_add_f32 v[18:19], v[18:19], v[22:23]
	s_nop 0
	v_pk_fma_f32 v[2:3], v[28:29], v[18:19], v[2:3]
	s_andn2_b64 exec, exec, s[0:1]
	s_cbranch_execnz .LBB204_3
; %bb.4:
	s_or_b64 exec, exec, s[0:1]
.LBB204_5:
	s_or_b64 exec, exec, s[24:25]
	v_mbcnt_lo_u32_b32 v0, -1, 0
	v_mbcnt_hi_u32_b32 v4, -1, v0
	v_and_b32_e32 v0, 64, v4
	v_add_u32_e32 v5, 64, v0
	v_xor_b32_e32 v0, 32, v4
	v_cmp_lt_i32_e32 vcc, v0, v5
	v_xor_b32_e32 v6, 16, v4
	s_nop 0
	v_cndmask_b32_e32 v0, v4, v0, vcc
	v_lshlrev_b32_e32 v1, 2, v0
	ds_bpermute_b32 v0, v1, v2
	ds_bpermute_b32 v1, v1, v3
	v_cmp_lt_i32_e32 vcc, v6, v5
	s_waitcnt lgkmcnt(0)
	v_pk_add_f32 v[0:1], v[2:3], v[0:1]
	v_cndmask_b32_e32 v6, v4, v6, vcc
	v_lshlrev_b32_e32 v6, 2, v6
	ds_bpermute_b32 v2, v6, v0
	ds_bpermute_b32 v3, v6, v1
	v_xor_b32_e32 v6, 8, v4
	v_cmp_lt_i32_e32 vcc, v6, v5
	s_waitcnt lgkmcnt(0)
	v_pk_add_f32 v[0:1], v[0:1], v[2:3]
	v_cndmask_b32_e32 v6, v4, v6, vcc
	v_lshlrev_b32_e32 v6, 2, v6
	ds_bpermute_b32 v2, v6, v0
	ds_bpermute_b32 v3, v6, v1
	v_xor_b32_e32 v6, 4, v4
	;; [unrolled: 8-line block ×4, first 2 shown]
	v_cmp_lt_i32_e32 vcc, v6, v5
	s_waitcnt lgkmcnt(0)
	v_pk_add_f32 v[0:1], v[0:1], v[2:3]
	v_cndmask_b32_e32 v4, v4, v6, vcc
	v_lshlrev_b32_e32 v4, 2, v4
	ds_bpermute_b32 v2, v4, v0
	ds_bpermute_b32 v3, v4, v1
	v_add_u32_e32 v4, s2, v9
	v_cmp_gt_u32_e32 vcc, 2, v9
	v_cmp_gt_u32_e64 s[0:1], s4, v4
	s_and_b64 s[0:1], vcc, s[0:1]
	s_and_b64 exec, exec, s[0:1]
	s_cbranch_execz .LBB204_7
; %bb.6:
	v_cmp_eq_u32_e32 vcc, 1, v9
	s_mul_i32 s3, s3, s10
	v_mov_b32_e32 v4, s18
	s_waitcnt lgkmcnt(0)
	v_cndmask_b32_e32 v2, v2, v3, vcc
	v_cndmask_b32_e32 v0, v0, v1, vcc
	v_add_f32_e32 v2, v0, v2
	v_mul_lo_u32 v0, v8, s7
	v_or_b32_e32 v1, s2, v9
	v_mov_b32_e32 v5, s19
	v_add3_u32 v0, v1, v0, s3
	v_mov_b32_e32 v1, 0
	v_lshl_add_u64 v[0:1], v[0:1], 2, v[4:5]
	global_store_dword v[0:1], v2, off
.LBB204_7:
	s_endpgm
	.section	.rodata,"a",@progbits
	.p2align	6, 0x0
	.amdhsa_kernel _ZL17mul_mat_vec_q_moeIL9ggml_type19ELi2EEvPKvS2_PKiPfj15HIP_vector_typeIjLj3EEjjjjjjjjj
		.amdhsa_group_segment_fixed_size 0
		.amdhsa_private_segment_fixed_size 0
		.amdhsa_kernarg_size 84
		.amdhsa_user_sgpr_count 2
		.amdhsa_user_sgpr_dispatch_ptr 0
		.amdhsa_user_sgpr_queue_ptr 0
		.amdhsa_user_sgpr_kernarg_segment_ptr 1
		.amdhsa_user_sgpr_dispatch_id 0
		.amdhsa_user_sgpr_kernarg_preload_length 0
		.amdhsa_user_sgpr_kernarg_preload_offset 0
		.amdhsa_user_sgpr_private_segment_size 0
		.amdhsa_uses_dynamic_stack 0
		.amdhsa_enable_private_segment 0
		.amdhsa_system_sgpr_workgroup_id_x 1
		.amdhsa_system_sgpr_workgroup_id_y 1
		.amdhsa_system_sgpr_workgroup_id_z 0
		.amdhsa_system_sgpr_workgroup_info 0
		.amdhsa_system_vgpr_workitem_id 1
		.amdhsa_next_free_vgpr 50
		.amdhsa_next_free_sgpr 31
		.amdhsa_accum_offset 52
		.amdhsa_reserve_vcc 1
		.amdhsa_float_round_mode_32 0
		.amdhsa_float_round_mode_16_64 0
		.amdhsa_float_denorm_mode_32 3
		.amdhsa_float_denorm_mode_16_64 3
		.amdhsa_dx10_clamp 1
		.amdhsa_ieee_mode 1
		.amdhsa_fp16_overflow 0
		.amdhsa_tg_split 0
		.amdhsa_exception_fp_ieee_invalid_op 0
		.amdhsa_exception_fp_denorm_src 0
		.amdhsa_exception_fp_ieee_div_zero 0
		.amdhsa_exception_fp_ieee_overflow 0
		.amdhsa_exception_fp_ieee_underflow 0
		.amdhsa_exception_fp_ieee_inexact 0
		.amdhsa_exception_int_div_zero 0
	.end_amdhsa_kernel
	.section	.text._ZL17mul_mat_vec_q_moeIL9ggml_type19ELi2EEvPKvS2_PKiPfj15HIP_vector_typeIjLj3EEjjjjjjjjj,"axG",@progbits,_ZL17mul_mat_vec_q_moeIL9ggml_type19ELi2EEvPKvS2_PKiPfj15HIP_vector_typeIjLj3EEjjjjjjjjj,comdat
.Lfunc_end204:
	.size	_ZL17mul_mat_vec_q_moeIL9ggml_type19ELi2EEvPKvS2_PKiPfj15HIP_vector_typeIjLj3EEjjjjjjjjj, .Lfunc_end204-_ZL17mul_mat_vec_q_moeIL9ggml_type19ELi2EEvPKvS2_PKiPfj15HIP_vector_typeIjLj3EEjjjjjjjjj
                                        ; -- End function
	.section	.AMDGPU.csdata,"",@progbits
; Kernel info:
; codeLenInByte = 1652
; NumSgprs: 37
; NumVgprs: 50
; NumAgprs: 0
; TotalNumVgprs: 50
; ScratchSize: 0
; MemoryBound: 0
; FloatMode: 240
; IeeeMode: 1
; LDSByteSize: 0 bytes/workgroup (compile time only)
; SGPRBlocks: 4
; VGPRBlocks: 6
; NumSGPRsForWavesPerEU: 37
; NumVGPRsForWavesPerEU: 50
; AccumOffset: 52
; Occupancy: 8
; WaveLimiterHint : 1
; COMPUTE_PGM_RSRC2:SCRATCH_EN: 0
; COMPUTE_PGM_RSRC2:USER_SGPR: 2
; COMPUTE_PGM_RSRC2:TRAP_HANDLER: 0
; COMPUTE_PGM_RSRC2:TGID_X_EN: 1
; COMPUTE_PGM_RSRC2:TGID_Y_EN: 1
; COMPUTE_PGM_RSRC2:TGID_Z_EN: 0
; COMPUTE_PGM_RSRC2:TIDIG_COMP_CNT: 1
; COMPUTE_PGM_RSRC3_GFX90A:ACCUM_OFFSET: 12
; COMPUTE_PGM_RSRC3_GFX90A:TG_SPLIT: 0
	.section	.text._ZL13mul_mat_vec_qIL9ggml_type19ELi1ELb1ELb1EEvPKvS2_PKi31ggml_cuda_mm_fusion_args_devicePfj15HIP_vector_typeIjLj3EEjjjS8_jjjS8_jjjj,"axG",@progbits,_ZL13mul_mat_vec_qIL9ggml_type19ELi1ELb1ELb1EEvPKvS2_PKi31ggml_cuda_mm_fusion_args_devicePfj15HIP_vector_typeIjLj3EEjjjS8_jjjS8_jjjj,comdat
	.globl	_ZL13mul_mat_vec_qIL9ggml_type19ELi1ELb1ELb1EEvPKvS2_PKi31ggml_cuda_mm_fusion_args_devicePfj15HIP_vector_typeIjLj3EEjjjS8_jjjS8_jjjj ; -- Begin function _ZL13mul_mat_vec_qIL9ggml_type19ELi1ELb1ELb1EEvPKvS2_PKi31ggml_cuda_mm_fusion_args_devicePfj15HIP_vector_typeIjLj3EEjjjS8_jjjS8_jjjj
	.p2align	8
	.type	_ZL13mul_mat_vec_qIL9ggml_type19ELi1ELb1ELb1EEvPKvS2_PKi31ggml_cuda_mm_fusion_args_devicePfj15HIP_vector_typeIjLj3EEjjjS8_jjjS8_jjjj,@function
_ZL13mul_mat_vec_qIL9ggml_type19ELi1ELb1ELb1EEvPKvS2_PKi31ggml_cuda_mm_fusion_args_devicePfj15HIP_vector_typeIjLj3EEjjjS8_jjjS8_jjjj: ; @_ZL13mul_mat_vec_qIL9ggml_type19ELi1ELb1ELb1EEvPKvS2_PKi31ggml_cuda_mm_fusion_args_devicePfj15HIP_vector_typeIjLj3EEjjjS8_jjjS8_jjjj
; %bb.0:
	s_load_dwordx8 s[16:23], s[2:3], 0x0
	s_load_dwordx4 s[36:39], s[2:3], 0x20
	s_load_dwordx4 s[40:43], s[2:3], 0x40
	;; [unrolled: 1-line block ×3, first 2 shown]
	s_mov_b32 s14, s5
	s_waitcnt lgkmcnt(0)
	s_cmp_lg_u64 s[20:21], 0
	s_cselect_b64 s[8:9], -1, 0
	s_cmp_eq_u64 s[20:21], 0
	s_mov_b64 s[10:11], 0
	s_cbranch_scc1 .LBB205_5
; %bb.1:
	s_mov_b32 s15, 0
	s_lshl_b64 s[12:13], s[14:15], 2
	s_add_u32 s12, s20, s12
	s_addc_u32 s13, s21, s13
	s_load_dword s44, s[12:13], 0x0
	s_load_dword s33, s[2:3], 0x50
	;; [unrolled: 1-line block ×3, first 2 shown]
	s_andn2_b64 vcc, exec, s[10:11]
	s_cbranch_vccnz .LBB205_3
.LBB205_2:
	s_load_dwordx2 s[10:11], s[2:3], 0x5c
	s_waitcnt lgkmcnt(0)
	s_mul_hi_u32 s5, s10, s14
	s_add_i32 s5, s14, s5
	s_lshr_b32 s44, s5, s11
.LBB205_3:
	s_andn2_b64 vcc, exec, s[8:9]
	s_cbranch_vccnz .LBB205_6
; %bb.4:
	s_mul_hi_u32 s5, s41, s14
	s_add_i32 s5, s14, s5
	s_lshr_b32 s5, s5, s42
	s_mul_i32 s5, s5, s43
	s_sub_i32 s41, s14, s5
	s_waitcnt lgkmcnt(0)
	s_mov_b32 s15, s44
	s_branch .LBB205_7
.LBB205_5:
                                        ; implicit-def: $sgpr44
	s_load_dword s33, s[2:3], 0x50
	s_load_dword s45, s[2:3], 0x78
	s_branch .LBB205_2
.LBB205_6:
	s_mov_b32 s15, s14
	s_mov_b32 s41, s14
.LBB205_7:
	s_load_dword s7, s[2:3], 0x58
	s_load_dwordx4 s[28:31], s[2:3], 0x80
	s_lshl_b32 s20, s4, 1
	s_cmp_eq_u64 s[22:23], 0
	v_and_b32_e32 v18, 0x3ff, v0
	v_bfe_u32 v23, v0, 10, 10
	s_cselect_b64 s[8:9], -1, 0
	s_and_b64 vcc, exec, s[8:9]
	v_mov_b32_e32 v19, 0
	v_cmp_gt_u32_e64 s[4:5], 2, v18
	v_cmp_eq_u32_e64 s[10:11], 0, v23
	v_or_b32_e32 v1, s20, v18
	v_mov_b32_e32 v20, 0
	s_cbranch_vccnz .LBB205_11
; %bb.8:
	s_waitcnt lgkmcnt(0)
	v_cmp_gt_u32_e32 vcc, s7, v1
	s_and_b64 s[4:5], s[4:5], vcc
	s_mov_b32 s13, 0
	s_and_b64 s[10:11], s[4:5], s[10:11]
	v_mov_b32_e32 v20, 0
	s_and_saveexec_b64 s[4:5], s[10:11]
	s_cbranch_execz .LBB205_10
; %bb.9:
	s_mul_i32 s12, s6, s30
	s_lshl_b64 s[10:11], s[12:13], 2
	s_add_u32 s21, s22, s10
	s_mul_i32 s12, s15, s26
	s_addc_u32 s22, s23, s11
	s_lshl_b64 s[10:11], s[12:13], 2
	s_add_u32 s12, s21, s10
	s_addc_u32 s13, s22, s11
	s_ashr_i32 s21, s20, 31
	s_lshl_b64 s[10:11], s[20:21], 2
	s_add_u32 s10, s12, s10
	s_addc_u32 s11, s13, s11
	v_lshlrev_b32_e32 v2, 2, v18
	global_load_dword v20, v2, s[10:11]
.LBB205_10:
	s_or_b64 exec, exec, s[4:5]
.LBB205_11:
	s_cmp_lg_u64 s[36:37], 0
	s_cselect_b64 s[34:35], -1, 0
	s_cmp_eq_u64 s[36:37], 0
	s_cselect_b64 s[22:23], -1, 0
	s_cmp_lg_u64 s[38:39], 0
	s_cselect_b64 s[4:5], -1, 0
	s_and_b64 s[10:11], s[4:5], s[34:35]
	s_andn2_b64 vcc, exec, s[10:11]
	s_cbranch_vccnz .LBB205_15
; %bb.12:
	v_cmp_gt_u32_e32 vcc, 2, v18
	s_waitcnt lgkmcnt(0)
	v_cmp_gt_u32_e64 s[12:13], s7, v1
	v_cmp_eq_u32_e64 s[10:11], 0, v23
	s_and_b64 s[12:13], vcc, s[12:13]
	s_mov_b32 s43, 0
	s_and_b64 s[12:13], s[12:13], s[10:11]
	v_mov_b32_e32 v19, 0
	s_and_saveexec_b64 s[10:11], s[12:13]
	s_cbranch_execz .LBB205_14
; %bb.13:
	s_mul_i32 s42, s6, s30
	s_lshl_b64 s[12:13], s[42:43], 2
	s_add_u32 s21, s38, s12
	s_mul_i32 s42, s15, s26
	s_addc_u32 s31, s39, s13
	s_lshl_b64 s[12:13], s[42:43], 2
	s_add_u32 s15, s21, s12
	s_addc_u32 s31, s31, s13
	s_ashr_i32 s21, s20, 31
	s_lshl_b64 s[12:13], s[20:21], 2
	s_add_u32 s12, s15, s12
	s_addc_u32 s13, s31, s13
	v_lshlrev_b32_e32 v1, 2, v18
	global_load_dword v19, v1, s[12:13]
.LBB205_14:
	s_or_b64 exec, exec, s[10:11]
.LBB205_15:
	s_load_dwordx2 s[0:1], s[0:1], 0x4
	v_bfe_u32 v1, v0, 20, 10
	v_lshl_add_u32 v0, v23, 6, v18
	s_lshr_b32 s15, s40, 8
	v_lshrrev_b32_e32 v24, 3, v0
	s_waitcnt lgkmcnt(0)
	s_lshr_b32 s0, s0, 16
	v_mul_u32_u24_e32 v2, s1, v23
	s_mul_i32 s0, s0, s1
	v_mad_u32_u24 v2, s0, v18, v2
	v_add_lshl_u32 v1, v2, v1, 3
	v_add_u32_e32 v22, 0x800, v1
	v_add_u32_e32 v21, 0x400, v1
	v_cndmask_b32_e64 v1, 0, 1, s[34:35]
	v_mov_b32_e32 v28, 0
	v_cmp_gt_u32_e32 vcc, s15, v24
	v_cmp_ne_u32_e64 s[10:11], 1, v1
	v_mov_b32_e32 v25, 0
	v_mov_b32_e32 v27, 0
	v_mov_b32_e32 v26, 0
	ds_write2_b32 v22, v28, v28 offset1:1
	ds_write2_b32 v21, v28, v28 offset1:1
	s_and_saveexec_b64 s[0:1], vcc
	s_cbranch_execz .LBB205_23
; %bb.16:
	s_mul_hi_u32 s13, s27, s6
	s_add_i32 s13, s6, s13
	s_lshr_b32 s13, s13, s45
	s_mul_i32 s21, s44, s24
	s_mul_i32 s13, s13, s28
	s_mul_i32 s12, s41, s25
	s_add_i32 s27, s13, s21
	s_add_i32 s13, s20, 1
	s_mul_i32 s24, s20, s33
	s_mul_i32 s33, s33, s13
	s_mul_hi_u32 s13, s12, 36
	s_mul_i32 s12, s12, 36
	v_lshrrev_b32_e32 v3, 3, v0
	v_mov_b32_e32 v0, s12
	v_mov_b32_e32 v1, s13
	s_movk_i32 s12, 0x120
	s_mul_i32 s29, s6, s29
	v_mad_u64_u32 v[0:1], s[12:13], v3, s12, v[0:1]
	v_and_b32_e32 v2, 7, v18
	v_mad_u64_u32 v[0:1], s[12:13], s29, 36, v[0:1]
	v_mad_u64_u32 v[0:1], s[12:13], v2, 36, v[0:1]
	v_lshlrev_b32_e32 v4, 1, v2
	v_mov_b32_e32 v9, 0
	v_lshl_add_u64 v[0:1], v[0:1], 0, s[18:19]
	v_lshlrev_b32_e32 v12, 1, v2
	s_add_i32 s21, s27, s24
	s_add_i32 s27, s27, s33
	v_lshl_add_u64 v[10:11], v[0:1], 0, 16
	s_mov_b64 s[12:13], 0
	v_lshlrev_b32_e32 v8, 1, v4
	s_movk_i32 s28, 0x700
	v_mov_b32_e32 v29, 0xbf600000
	s_mov_b64 s[18:19], 0x1200
	v_mov_b32_e32 v14, v12
	v_mov_b32_e32 v15, v9
	;; [unrolled: 1-line block ×6, first 2 shown]
	s_branch .LBB205_18
.LBB205_17:                             ;   in Loop: Header=BB205_18 Depth=1
	s_waitcnt vmcnt(3)
	v_and_b32_e32 v13, 0xf0f0f0f, v41
	v_lshrrev_b32_e32 v41, 4, v41
	v_mov_b32_e32 v42, v9
	v_and_b32_e32 v41, 0xf0f0f0f, v41
	v_dot4c_i32_i8_e32 v42, v13, v5
	v_dot4c_i32_i8_e32 v42, v41, v6
	s_waitcnt vmcnt(2)
	v_and_b32_e32 v13, 0xf0f0f0f, v40
	v_lshrrev_b32_e32 v40, 4, v40
	v_and_b32_e32 v40, 0xf0f0f0f, v40
	v_dot4c_i32_i8_e32 v42, v13, v7
	v_dot4c_i32_i8_e32 v42, v40, v0
	s_waitcnt vmcnt(1)
	v_and_b32_e32 v13, 0xf0f0f0f, v39
	v_lshrrev_b32_e32 v39, 4, v39
	;; [unrolled: 6-line block ×3, first 2 shown]
	v_dot4c_i32_i8_e32 v42, v13, v3
	v_cvt_f32_f16_e32 v13, v37
	v_lshrrev_b32_e32 v37, 11, v4
	v_and_b32_e32 v4, 0x8000, v4
	v_and_b32_e32 v38, 0xf0f0f0f, v38
	v_cvt_f32_u32_e32 v4, v4
	v_dot4c_i32_i8_e32 v42, v38, v31
	v_and_or_b32 v37, v37, 14, 1
	v_cvt_f32_ubyte0_e32 v37, v37
	v_fmamk_f32 v4, v4, 0xb7000000, v29
	v_cvt_f32_i32_e32 v38, v42
	v_mul_f32_e32 v4, v4, v16
	v_mul_f32_e32 v13, v37, v13
	v_add_u32_e32 v24, 16, v24
	v_fmac_f32_e32 v4, v17, v38
	v_fmac_f32_e32 v25, v13, v4
	v_and_b32_e32 v4, 0xf0f0f0f, v36
	v_lshrrev_b32_e32 v13, 4, v36
	v_mov_b32_e32 v36, v9
	v_and_b32_e32 v13, 0xf0f0f0f, v13
	v_dot4c_i32_i8_e32 v36, v4, v5
	v_dot4c_i32_i8_e32 v36, v13, v6
	v_and_b32_e32 v4, 0xf0f0f0f, v35
	v_lshrrev_b32_e32 v5, 4, v35
	v_and_b32_e32 v5, 0xf0f0f0f, v5
	v_dot4c_i32_i8_e32 v36, v4, v7
	v_dot4c_i32_i8_e32 v36, v5, v0
	v_and_b32_e32 v0, 0xf0f0f0f, v34
	v_lshrrev_b32_e32 v4, 4, v34
	;; [unrolled: 5-line block ×3, first 2 shown]
	v_and_b32_e32 v2, 0x8000, v30
	v_and_b32_e32 v1, 0xf0f0f0f, v1
	v_dot4c_i32_i8_e32 v36, v0, v3
	v_cvt_f32_f16_e32 v0, v32
	v_cvt_f32_u32_e32 v2, v2
	v_dot4c_i32_i8_e32 v36, v1, v31
	v_lshrrev_b32_e32 v1, 11, v30
	v_and_or_b32 v1, v1, 14, 1
	v_cvt_f32_ubyte0_e32 v1, v1
	v_cvt_f32_i32_e32 v3, v36
	v_mul_f32_e32 v0, v1, v0
	v_fmamk_f32 v1, v2, 0xb7000000, v29
	v_mul_f32_e32 v1, v1, v16
	v_fmac_f32_e32 v1, v17, v3
	v_cmp_le_u32_e32 vcc, s15, v24
	v_fmac_f32_e32 v28, v0, v1
	s_or_b64 s[12:13], vcc, s[12:13]
	v_lshl_add_u64 v[10:11], v[10:11], 0, s[18:19]
	s_andn2_b64 exec, exec, s[12:13]
	s_cbranch_execz .LBB205_22
.LBB205_18:                             ; =>This Inner Loop Header: Depth=1
	v_add_u32_e32 v13, s21, v24
	v_mad_i64_i32 v[16:17], s[24:25], v13, 50, s[16:17]
	v_lshl_add_u64 v[0:1], v[16:17], 0, v[8:9]
	global_load_dword v34, v[0:1], off offset:2
	v_lshl_add_u64 v[32:33], v[16:17], 0, v[14:15]
	global_load_ushort v30, v[32:33], off offset:34
	global_load_dwordx4 v[4:7], v[10:11], off offset:-16
	global_load_dwordx4 v[0:3], v[10:11], off
	global_load_dword v31, v[10:11], off offset:16
	s_getpc_b64 s[24:25]
	s_add_u32 s24, s24, _ZL13iq1s_grid_gpu@rel32@lo+4
	s_addc_u32 s25, s25, _ZL13iq1s_grid_gpu@rel32@hi+12
	global_load_ushort v32, v[16:17], off
	s_and_b64 vcc, exec, s[10:11]
	s_waitcnt vmcnt(4)
	v_lshlrev_b32_e32 v35, 8, v30
	v_and_b32_e32 v33, 0xff, v34
	v_lshrrev_b16_e32 v16, 8, v34
	v_lshrrev_b32_e32 v17, 24, v34
	v_lshlrev_b32_e32 v36, 5, v30
	v_bfe_u32 v34, v34, 16, 8
	v_lshlrev_b32_e32 v37, 2, v30
	v_lshrrev_b32_e32 v38, 1, v30
	v_and_or_b32 v33, v35, s28, v33
	v_and_or_b32 v16, v36, s28, v16
	;; [unrolled: 1-line block ×4, first 2 shown]
	v_lshlrev_b32_e32 v37, 2, v33
	v_lshlrev_b32_e32 v16, 2, v16
	;; [unrolled: 1-line block ×4, first 2 shown]
	global_load_dword v36, v37, s[24:25]
	global_load_dword v35, v16, s[24:25]
	;; [unrolled: 1-line block ×4, first 2 shown]
	s_waitcnt vmcnt(7)
	v_cvt_f32_f16_sdwa v16, v4 dst_sel:DWORD dst_unused:UNUSED_PAD src0_sel:WORD_1
	v_cvt_f32_f16_e32 v17, v4
	s_cbranch_vccnz .LBB205_20
; %bb.19:                               ;   in Loop: Header=BB205_18 Depth=1
	v_mad_i64_i32 v[38:39], s[34:35], v13, 50, s[36:37]
	v_lshl_add_u64 v[40:41], v[38:39], 0, v[8:9]
	global_load_dword v4, v[40:41], off offset:2
	v_lshl_add_u64 v[40:41], v[38:39], 0, v[14:15]
	global_load_ushort v13, v[40:41], off offset:34
	global_load_ushort v37, v[38:39], off
	s_waitcnt vmcnt(2)
	v_and_b32_e32 v40, 0xff, v4
	s_waitcnt vmcnt(1)
	v_lshlrev_b32_e32 v41, 8, v13
	v_and_or_b32 v40, v41, s28, v40
	v_lshrrev_b16_e32 v38, 8, v4
	v_lshlrev_b32_e32 v42, 5, v13
	v_lshlrev_b32_e32 v40, 2, v40
	v_and_or_b32 v38, v42, s28, v38
	global_load_dword v40, v40, s[24:25]
	v_lshrrev_b32_e32 v39, 24, v4
	v_bfe_u32 v4, v4, 16, 8
	v_lshlrev_b32_e32 v43, 2, v13
	v_lshrrev_b32_e32 v44, 1, v13
	v_lshlrev_b32_e32 v38, 2, v38
	v_and_or_b32 v4, v43, s28, v4
	v_and_or_b32 v39, v44, s28, v39
	global_load_dword v38, v38, s[24:25]
	v_lshlrev_b32_e32 v4, 2, v4
	v_lshlrev_b32_e32 v39, 2, v39
	global_load_dword v39, v39, s[24:25]
	v_mov_b32_e32 v41, v9
	global_load_dword v4, v4, s[24:25]
	v_lshrrev_b32_e32 v42, 11, v13
	v_and_b32_e32 v13, 0x8000, v13
	s_waitcnt vmcnt(4)
	v_cvt_f32_f16_e32 v37, v37
	v_and_or_b32 v42, v42, 14, 1
	s_waitcnt vmcnt(3)
	v_and_b32_e32 v43, 0xf0f0f0f, v40
	v_lshrrev_b32_e32 v40, 4, v40
	v_and_b32_e32 v40, 0xf0f0f0f, v40
	v_dot4c_i32_i8_e32 v41, v43, v5
	v_dot4c_i32_i8_e32 v41, v40, v6
	s_waitcnt vmcnt(2)
	v_and_b32_e32 v44, 0xf0f0f0f, v38
	v_lshrrev_b32_e32 v38, 4, v38
	v_and_b32_e32 v38, 0xf0f0f0f, v38
	v_dot4c_i32_i8_e32 v41, v44, v7
	v_dot4c_i32_i8_e32 v41, v38, v0
	s_waitcnt vmcnt(0)
	v_and_b32_e32 v45, 0xf0f0f0f, v4
	v_lshrrev_b32_e32 v4, 4, v4
	v_and_b32_e32 v4, 0xf0f0f0f, v4
	v_dot4c_i32_i8_e32 v41, v45, v1
	v_and_b32_e32 v46, 0xf0f0f0f, v39
	v_lshrrev_b32_e32 v39, 4, v39
	v_dot4c_i32_i8_e32 v41, v4, v2
	v_and_b32_e32 v39, 0xf0f0f0f, v39
	v_dot4c_i32_i8_e32 v41, v46, v3
	v_dot4c_i32_i8_e32 v41, v39, v31
	v_cvt_f32_u32_e32 v4, v13
	v_cvt_f32_ubyte0_e32 v38, v42
	v_mul_f32_e32 v37, v38, v37
	v_cvt_f32_i32_e32 v13, v41
	v_fmamk_f32 v4, v4, 0xb7000000, v29
	v_mul_f32_e32 v13, v17, v13
	v_fmac_f32_e32 v13, v4, v16
	v_fmac_f32_e32 v27, v37, v13
.LBB205_20:                             ;   in Loop: Header=BB205_18 Depth=1
	v_add_u32_e32 v42, s27, v24
	v_mad_i64_i32 v[38:39], s[34:35], v42, 50, s[16:17]
	v_lshl_add_u64 v[40:41], v[38:39], 0, v[8:9]
	v_mov_b32_e32 v13, v9
	global_load_dword v43, v[40:41], off offset:2
	v_lshl_add_u64 v[40:41], v[38:39], 0, v[12:13]
	global_load_ushort v4, v[40:41], off offset:34
	global_load_ushort v37, v[38:39], off
	s_and_b64 vcc, exec, s[10:11]
	s_waitcnt vmcnt(2)
	v_and_b32_e32 v40, 0xff, v43
	s_waitcnt vmcnt(1)
	v_lshlrev_b32_e32 v41, 8, v4
	v_lshrrev_b16_e32 v38, 8, v43
	v_lshrrev_b32_e32 v39, 24, v43
	v_lshlrev_b32_e32 v44, 5, v4
	v_bfe_u32 v43, v43, 16, 8
	v_lshlrev_b32_e32 v45, 2, v4
	v_lshrrev_b32_e32 v46, 1, v4
	v_and_or_b32 v40, v41, s28, v40
	v_and_or_b32 v38, v44, s28, v38
	;; [unrolled: 1-line block ×4, first 2 shown]
	v_lshlrev_b32_e32 v43, 2, v40
	v_lshlrev_b32_e32 v44, 2, v38
	;; [unrolled: 1-line block ×4, first 2 shown]
	global_load_dword v41, v43, s[24:25]
	global_load_dword v40, v44, s[24:25]
	;; [unrolled: 1-line block ×4, first 2 shown]
	s_cbranch_vccnz .LBB205_17
; %bb.21:                               ;   in Loop: Header=BB205_18 Depth=1
	v_mad_i64_i32 v[42:43], s[24:25], v42, 50, s[36:37]
	v_lshl_add_u64 v[44:45], v[42:43], 0, v[8:9]
	global_load_dword v46, v[44:45], off offset:2
	v_lshl_add_u64 v[44:45], v[42:43], 0, v[12:13]
	global_load_ushort v13, v[44:45], off offset:34
	s_getpc_b64 s[24:25]
	s_add_u32 s24, s24, _ZL13iq1s_grid_gpu@rel32@lo+4
	s_addc_u32 s25, s25, _ZL13iq1s_grid_gpu@rel32@hi+12
	global_load_ushort v42, v[42:43], off
	s_waitcnt vmcnt(2)
	v_and_b32_e32 v45, 0xff, v46
	v_lshrrev_b16_e32 v43, 8, v46
	s_waitcnt vmcnt(1)
	v_lshlrev_b32_e32 v47, 8, v13
	v_and_or_b32 v45, v47, s28, v45
	v_lshlrev_b32_e32 v48, 5, v13
	v_lshlrev_b32_e32 v45, 2, v45
	v_and_or_b32 v43, v48, s28, v43
	global_load_dword v45, v45, s[24:25]
	v_lshrrev_b32_e32 v44, 24, v46
	v_bfe_u32 v46, v46, 16, 8
	v_lshlrev_b32_e32 v49, 2, v13
	v_lshlrev_b32_e32 v43, 2, v43
	v_and_or_b32 v46, v49, s28, v46
	global_load_dword v43, v43, s[24:25]
	v_lshrrev_b32_e32 v50, 1, v13
	v_lshlrev_b32_e32 v46, 2, v46
	v_and_or_b32 v44, v50, s28, v44
	global_load_dword v46, v46, s[24:25]
	v_lshlrev_b32_e32 v44, 2, v44
	global_load_dword v44, v44, s[24:25]
	v_mov_b32_e32 v47, v9
	v_lshrrev_b32_e32 v48, 11, v13
	v_and_b32_e32 v13, 0x8000, v13
	s_waitcnt vmcnt(4)
	v_cvt_f32_f16_e32 v42, v42
	v_cvt_f32_u32_e32 v13, v13
	v_and_or_b32 v48, v48, 14, 1
	s_waitcnt vmcnt(3)
	v_and_b32_e32 v49, 0xf0f0f0f, v45
	v_lshrrev_b32_e32 v45, 4, v45
	v_and_b32_e32 v45, 0xf0f0f0f, v45
	v_dot4c_i32_i8_e32 v47, v49, v5
	v_dot4c_i32_i8_e32 v47, v45, v6
	s_waitcnt vmcnt(2)
	v_and_b32_e32 v50, 0xf0f0f0f, v43
	v_lshrrev_b32_e32 v43, 4, v43
	v_and_b32_e32 v43, 0xf0f0f0f, v43
	v_dot4c_i32_i8_e32 v47, v50, v7
	s_waitcnt vmcnt(1)
	v_and_b32_e32 v51, 0xf0f0f0f, v46
	v_lshrrev_b32_e32 v46, 4, v46
	v_dot4c_i32_i8_e32 v47, v43, v0
	v_and_b32_e32 v46, 0xf0f0f0f, v46
	v_dot4c_i32_i8_e32 v47, v51, v1
	s_waitcnt vmcnt(0)
	v_and_b32_e32 v52, 0xf0f0f0f, v44
	v_lshrrev_b32_e32 v44, 4, v44
	v_dot4c_i32_i8_e32 v47, v46, v2
	v_and_b32_e32 v44, 0xf0f0f0f, v44
	v_dot4c_i32_i8_e32 v47, v52, v3
	v_dot4c_i32_i8_e32 v47, v44, v31
	v_cvt_f32_ubyte0_e32 v44, v48
	v_mul_f32_e32 v44, v44, v42
	v_fmamk_f32 v42, v13, 0xb7000000, v29
	v_cvt_f32_i32_e32 v43, v47
	v_pk_mul_f32 v[42:43], v[42:43], v[16:17]
	s_nop 0
	v_add_f32_e32 v13, v42, v43
	v_fmac_f32_e32 v26, v44, v13
	s_branch .LBB205_17
.LBB205_22:
	s_or_b64 exec, exec, s[12:13]
	ds_write2_b32 v22, v28, v25 offset1:1
	ds_write2_b32 v21, v27, v26 offset1:1
.LBB205_23:
	s_or_b64 exec, exec, s[0:1]
	s_load_dword s15, s[2:3], 0x30
	v_cmp_eq_u32_e64 s[0:1], 0, v23
	v_cmp_ne_u32_e32 vcc, 0, v23
	v_lshlrev_b32_e32 v0, 2, v18
	s_and_saveexec_b64 s[12:13], vcc
	s_cbranch_execz .LBB205_28
; %bb.24:
	v_add_u32_e32 v1, -1, v23
	v_lshl_or_b32 v1, v1, 9, v0
	s_mov_b64 s[16:17], -1
	s_and_b64 vcc, exec, s[22:23]
	ds_write_b32 v1, v28
	s_cbranch_vccz .LBB205_26
; %bb.25:
	ds_write_b32 v1, v25 offset:256
	s_mov_b64 s[16:17], 0
.LBB205_26:
	s_andn2_b64 vcc, exec, s[16:17]
	s_cbranch_vccnz .LBB205_28
; %bb.27:
	ds_write_b32 v1, v25 offset:256
	ds_write2st64_b32 v1, v27, v26 offset0:2 offset1:3
.LBB205_28:
	s_or_b64 exec, exec, s[12:13]
	s_waitcnt lgkmcnt(0)
	s_barrier
	s_and_saveexec_b64 s[12:13], s[0:1]
	s_cbranch_execz .LBB205_61
; %bb.29:
	ds_read_b32 v2, v0
	ds_read_b32 v3, v22
	s_and_b64 vcc, exec, s[10:11]
	s_cbranch_vccnz .LBB205_31
; %bb.30:
	ds_read_b32 v1, v0 offset:512
	ds_read_b32 v4, v21
	s_waitcnt lgkmcnt(0)
	v_add_f32_e32 v1, v1, v4
	ds_write_b32 v21, v1
.LBB205_31:
	v_mbcnt_lo_u32_b32 v1, -1, 0
	v_mbcnt_hi_u32_b32 v6, -1, v1
	v_and_b32_e32 v1, 64, v6
	v_add_u32_e32 v7, 64, v1
	v_xor_b32_e32 v1, 32, v6
	v_cmp_lt_i32_e32 vcc, v1, v7
	s_waitcnt lgkmcnt(0)
	v_add_f32_e32 v3, v2, v3
	v_xor_b32_e32 v2, 16, v6
	v_cndmask_b32_e32 v1, v6, v1, vcc
	v_lshlrev_b32_e32 v1, 2, v1
	ds_bpermute_b32 v4, v1, v3
	v_cmp_lt_i32_e32 vcc, v2, v7
	v_xor_b32_e32 v10, 1, v6
	s_waitcnt lgkmcnt(0)
	v_add_f32_e32 v4, v3, v4
	v_cndmask_b32_e32 v2, v6, v2, vcc
	v_lshlrev_b32_e32 v2, 2, v2
	ds_bpermute_b32 v5, v2, v4
	v_xor_b32_e32 v3, 8, v6
	v_cmp_lt_i32_e32 vcc, v3, v7
	s_waitcnt lgkmcnt(0)
	v_add_f32_e32 v5, v4, v5
	v_cndmask_b32_e32 v3, v6, v3, vcc
	v_lshlrev_b32_e32 v3, 2, v3
	ds_bpermute_b32 v8, v3, v5
	v_xor_b32_e32 v4, 4, v6
	v_cmp_lt_i32_e32 vcc, v4, v7
	;; [unrolled: 7-line block ×3, first 2 shown]
	s_waitcnt lgkmcnt(0)
	v_add_f32_e32 v8, v8, v9
	v_cndmask_b32_e32 v5, v6, v5, vcc
	v_lshlrev_b32_e32 v5, 2, v5
	ds_bpermute_b32 v9, v5, v8
	v_cmp_lt_i32_e32 vcc, v10, v7
	s_waitcnt lgkmcnt(0)
	v_add_f32_e32 v7, v8, v9
	v_cndmask_b32_e32 v6, v6, v10, vcc
	v_lshlrev_b32_e32 v6, 2, v6
	ds_bpermute_b32 v8, v6, v7
	s_and_b64 vcc, exec, s[10:11]
	s_waitcnt lgkmcnt(0)
	v_add_f32_e32 v7, v7, v8
	ds_write_b32 v22, v7
	s_cbranch_vccnz .LBB205_33
; %bb.32:
	ds_read_b32 v7, v21
	s_waitcnt lgkmcnt(0)
	ds_bpermute_b32 v8, v1, v7
	s_waitcnt lgkmcnt(0)
	v_add_f32_e32 v7, v7, v8
	ds_bpermute_b32 v8, v2, v7
	s_waitcnt lgkmcnt(0)
	v_add_f32_e32 v7, v7, v8
	;; [unrolled: 3-line block ×6, first 2 shown]
	ds_write_b32 v21, v7
.LBB205_33:
	ds_read_b32 v7, v0 offset:256
	ds_read_b32 v8, v22 offset:4
	s_and_b64 vcc, exec, s[10:11]
	s_cbranch_vccnz .LBB205_35
; %bb.34:
	ds_read_b32 v9, v0 offset:768
	ds_read_b32 v10, v21 offset:4
	s_waitcnt lgkmcnt(0)
	v_add_f32_e32 v9, v9, v10
	ds_write_b32 v21, v9 offset:4
.LBB205_35:
	s_waitcnt lgkmcnt(0)
	v_add_f32_e32 v7, v7, v8
	ds_bpermute_b32 v8, v1, v7
	s_and_b64 vcc, exec, s[10:11]
	s_waitcnt lgkmcnt(0)
	v_add_f32_e32 v7, v7, v8
	ds_bpermute_b32 v8, v2, v7
	s_waitcnt lgkmcnt(0)
	v_add_f32_e32 v7, v7, v8
	ds_bpermute_b32 v8, v3, v7
	;; [unrolled: 3-line block ×5, first 2 shown]
	s_waitcnt lgkmcnt(0)
	v_add_f32_e32 v7, v7, v8
	ds_write_b32 v22, v7 offset:4
	s_cbranch_vccnz .LBB205_37
; %bb.36:
	ds_read_b32 v7, v21 offset:4
	s_waitcnt lgkmcnt(0)
	ds_bpermute_b32 v1, v1, v7
	s_waitcnt lgkmcnt(0)
	v_add_f32_e32 v1, v7, v1
	ds_bpermute_b32 v2, v2, v1
	s_waitcnt lgkmcnt(0)
	v_add_f32_e32 v1, v1, v2
	;; [unrolled: 3-line block ×6, first 2 shown]
	ds_write_b32 v21, v1 offset:4
.LBB205_37:
	v_add_u32_e32 v1, s20, v18
	v_cmp_gt_u32_e32 vcc, 2, v18
	v_cmp_gt_u32_e64 s[0:1], s7, v1
	s_and_b64 s[0:1], vcc, s[0:1]
	s_and_b64 exec, exec, s[0:1]
	s_cbranch_execz .LBB205_61
; %bb.38:
	v_lshl_add_u32 v1, v18, 2, v22
	ds_read_b32 v1, v1
	s_and_b64 vcc, exec, s[10:11]
	s_waitcnt vmcnt(0) lgkmcnt(0)
	v_add_f32_e32 v2, v20, v1
	v_cndmask_b32_e64 v1, v2, v1, s[8:9]
	s_cbranch_vccnz .LBB205_60
; %bb.39:
	v_lshl_add_u32 v2, v18, 2, v21
	ds_read_b32 v2, v2
	s_cmp_lt_i32 s15, 2
	s_mov_b64 s[0:1], 0
	s_waitcnt lgkmcnt(0)
	v_add_f32_e32 v3, v19, v2
	v_cndmask_b32_e64 v2, v2, v3, s[4:5]
	s_cbranch_scc1 .LBB205_43
; %bb.40:
	s_cmp_gt_i32 s15, 2
	s_cbranch_scc0 .LBB205_44
; %bb.41:
	s_cmp_eq_u32 s15, 3
	s_cbranch_scc0 .LBB205_45
; %bb.42:
	v_max_f32_e32 v3, v2, v2
	v_min_f32_e32 v3, 0x40e00000, v3
	v_mul_f32_e32 v5, 0xbfd9db23, v3
	s_mov_b32 s4, 0x3fb8aa3b
	v_mul_f32_e32 v4, 0x3fb8aa3b, v5
	v_fma_f32 v6, v5, s4, -v4
	v_rndne_f32_e32 v7, v4
	v_fmamk_f32 v6, v5, 0x32a5705f, v6
	v_sub_f32_e32 v4, v4, v7
	v_add_f32_e32 v4, v4, v6
	v_exp_f32_e32 v6, v4
	v_cvt_i32_f32_e32 v7, v7
	s_mov_b32 s4, 0xc2ce8ed0
	v_max_f32_e32 v4, v1, v1
	v_cmp_ngt_f32_e32 vcc, s4, v5
	v_ldexp_f32 v6, v6, v7
	s_mov_b32 s4, 0x42b17218
	v_min_f32_e32 v4, 0x40e00000, v4
	v_cndmask_b32_e32 v6, 0, v6, vcc
	v_mov_b32_e32 v7, 0x7f800000
	v_cmp_nlt_f32_e32 vcc, s4, v5
	v_max_f32_e32 v4, 0xc0e00000, v4
	s_nop 0
	v_cndmask_b32_e32 v5, v7, v6, vcc
	v_pk_add_f32 v[4:5], v[4:5], 1.0 op_sel_hi:[1,0]
	s_nop 0
	v_div_scale_f32 v6, s[4:5], v5, v5, v3
	v_rcp_f32_e32 v7, v6
	s_mov_b64 s[4:5], 0
	v_fma_f32 v8, -v6, v7, 1.0
	v_fmac_f32_e32 v7, v8, v7
	v_div_scale_f32 v8, vcc, v3, v5, v3
	v_mul_f32_e32 v9, v8, v7
	v_fma_f32 v10, -v6, v9, v8
	v_fmac_f32_e32 v9, v10, v7
	v_fma_f32 v6, -v6, v9, v8
	v_div_fmas_f32 v6, v6, v7, v9
	v_div_fixup_f32 v3, v6, v5, v3
	v_mul_f32_e32 v3, v4, v3
	s_branch .LBB205_46
.LBB205_43:
                                        ; implicit-def: $vgpr3
	s_mov_b64 s[4:5], 0
	s_cbranch_execnz .LBB205_50
	s_branch .LBB205_51
.LBB205_44:
	s_mov_b64 s[8:9], -1
	s_mov_b64 s[4:5], 0
                                        ; implicit-def: $vgpr3
	s_branch .LBB205_47
.LBB205_45:
	s_mov_b64 s[4:5], -1
                                        ; implicit-def: $vgpr3
.LBB205_46:
	s_mov_b64 s[8:9], 0
.LBB205_47:
	s_and_b64 vcc, exec, s[8:9]
	s_cbranch_vccz .LBB205_49
; %bb.48:
	v_mul_f32_e32 v3, 0xbfb8aa3b, v2
	s_mov_b32 s7, 0xbfb8aa3b
	v_rndne_f32_e32 v4, v3
	v_sub_f32_e32 v5, v3, v4
	v_fma_f32 v3, v2, s7, -v3
	v_fmamk_f32 v3, v2, 0xb2a5705f, v3
	v_add_f32_e32 v3, v5, v3
	v_exp_f32_e32 v3, v3
	v_cvt_i32_f32_e32 v4, v4
	s_mov_b32 s7, 0x42ce8ed0
	v_cmp_nlt_f32_e32 vcc, s7, v2
	s_mov_b32 s7, 0xc2b17218
	v_ldexp_f32 v3, v3, v4
	v_cndmask_b32_e32 v3, 0, v3, vcc
	v_mov_b32_e32 v4, 0x7f800000
	v_cmp_ngt_f32_e32 vcc, s7, v2
	s_nop 1
	v_cndmask_b32_e32 v3, v4, v3, vcc
	v_add_f32_e32 v3, 1.0, v3
	v_div_scale_f32 v4, s[8:9], v3, v3, v2
	v_rcp_f32_e32 v5, v4
	s_nop 0
	v_fma_f32 v6, -v4, v5, 1.0
	v_fmac_f32_e32 v5, v6, v5
	v_div_scale_f32 v6, vcc, v2, v3, v2
	v_mul_f32_e32 v7, v6, v5
	v_fma_f32 v8, -v4, v7, v6
	v_fmac_f32_e32 v7, v8, v5
	v_fma_f32 v4, -v4, v7, v6
	v_div_fmas_f32 v4, v4, v5, v7
	v_div_fixup_f32 v3, v4, v3, v2
	v_mul_f32_e32 v3, v1, v3
.LBB205_49:
	s_branch .LBB205_51
.LBB205_50:
	s_cmp_lg_u32 s15, 1
	s_mov_b64 s[0:1], -1
	s_cselect_b64 s[4:5], -1, 0
                                        ; implicit-def: $vgpr3
.LBB205_51:
	s_andn2_b64 vcc, exec, s[4:5]
	s_cbranch_vccz .LBB205_53
; %bb.52:
	s_andn2_b64 vcc, exec, s[0:1]
	s_cbranch_vccz .LBB205_54
	s_branch .LBB205_59
.LBB205_53:
	v_mul_f32_e32 v3, v1, v2
	s_cbranch_execnz .LBB205_59
.LBB205_54:
	v_mul_f32_e32 v4, 0x3d372713, v2
	v_mul_f32_e32 v3, 0x3f4c422a, v2
	v_fma_f32 v4, v2, v4, 1.0
	v_mul_f32_e32 v3, v3, v4
	s_mov_b32 s0, 0x3f200000
	v_cmp_nlt_f32_e64 s[0:1], |v3|, s0
                                        ; implicit-def: $vgpr4
	s_and_saveexec_b64 s[4:5], s[0:1]
	s_xor_b64 s[0:1], exec, s[4:5]
	s_cbranch_execz .LBB205_56
; %bb.55:
	v_add_f32_e64 v4, |v3|, |v3|
	v_mul_f32_e32 v5, 0x3fb8aa3b, v4
	s_mov_b32 s4, 0x3fb8aa3b
	v_rndne_f32_e32 v6, v5
	v_sub_f32_e32 v7, v5, v6
	v_fma_f32 v5, v4, s4, -v5
	v_fmamk_f32 v5, v4, 0x32a5705f, v5
	v_add_f32_e32 v5, v7, v5
	v_exp_f32_e32 v5, v5
	v_cvt_i32_f32_e32 v6, v6
	s_mov_b32 s4, 0xc2ce8ed0
	v_cmp_ngt_f32_e32 vcc, s4, v4
	s_mov_b32 s4, 0x42b17218
	v_ldexp_f32 v5, v5, v6
	v_cndmask_b32_e32 v5, 0, v5, vcc
	v_mov_b32_e32 v6, 0x7f800000
	v_cmp_nlt_f32_e32 vcc, s4, v4
	s_nop 1
	v_cndmask_b32_e32 v4, v6, v5, vcc
	v_add_f32_e32 v4, 1.0, v4
	v_rcp_f32_e32 v4, v4
	s_nop 0
	v_fma_f32 v4, v4, -2.0, 1.0
.LBB205_56:
	s_andn2_saveexec_b64 s[0:1], s[0:1]
; %bb.57:
	v_mul_f32_e32 v4, v3, v3
	v_mov_b32_e32 v5, 0x3ca908c9
	v_fmac_f32_e32 v5, 0xbbbac73d, v4
	v_fmaak_f32 v5, v4, v5, 0xbd5c1c4e
	v_fmaak_f32 v5, v4, v5, 0x3e088382
	;; [unrolled: 1-line block ×3, first 2 shown]
	v_mul_f32_e64 v5, |v3|, v5
	v_fma_f32 v4, v4, v5, |v3|
; %bb.58:
	s_or_b64 exec, exec, s[0:1]
	s_brev_b32 s0, -2
	v_bfi_b32 v3, s0, v4, v3
	v_mul_f32_e32 v2, 0.5, v2
	v_add_f32_e32 v3, 1.0, v3
	v_mul_f32_e32 v2, v2, v3
	v_mul_f32_e32 v3, v1, v2
.LBB205_59:
	v_mov_b32_e32 v1, v3
.LBB205_60:
	s_load_dwordx2 s[0:1], s[2:3], 0x38
	s_mul_i32 s4, s14, s26
	s_mul_i32 s6, s6, s30
	s_add_i32 s2, s4, s20
	s_add_i32 s2, s2, s6
	s_mov_b32 s3, 0
	s_lshl_b64 s[2:3], s[2:3], 2
	s_waitcnt lgkmcnt(0)
	s_add_u32 s0, s0, s2
	s_addc_u32 s1, s1, s3
	global_store_dword v0, v1, s[0:1]
.LBB205_61:
	s_endpgm
	.section	.rodata,"a",@progbits
	.p2align	6, 0x0
	.amdhsa_kernel _ZL13mul_mat_vec_qIL9ggml_type19ELi1ELb1ELb1EEvPKvS2_PKi31ggml_cuda_mm_fusion_args_devicePfj15HIP_vector_typeIjLj3EEjjjS8_jjjS8_jjjj
		.amdhsa_group_segment_fixed_size 3072
		.amdhsa_private_segment_fixed_size 0
		.amdhsa_kernarg_size 144
		.amdhsa_user_sgpr_count 4
		.amdhsa_user_sgpr_dispatch_ptr 1
		.amdhsa_user_sgpr_queue_ptr 0
		.amdhsa_user_sgpr_kernarg_segment_ptr 1
		.amdhsa_user_sgpr_dispatch_id 0
		.amdhsa_user_sgpr_kernarg_preload_length 0
		.amdhsa_user_sgpr_kernarg_preload_offset 0
		.amdhsa_user_sgpr_private_segment_size 0
		.amdhsa_uses_dynamic_stack 0
		.amdhsa_enable_private_segment 0
		.amdhsa_system_sgpr_workgroup_id_x 1
		.amdhsa_system_sgpr_workgroup_id_y 1
		.amdhsa_system_sgpr_workgroup_id_z 1
		.amdhsa_system_sgpr_workgroup_info 0
		.amdhsa_system_vgpr_workitem_id 2
		.amdhsa_next_free_vgpr 53
		.amdhsa_next_free_sgpr 46
		.amdhsa_accum_offset 56
		.amdhsa_reserve_vcc 1
		.amdhsa_float_round_mode_32 0
		.amdhsa_float_round_mode_16_64 0
		.amdhsa_float_denorm_mode_32 3
		.amdhsa_float_denorm_mode_16_64 3
		.amdhsa_dx10_clamp 1
		.amdhsa_ieee_mode 1
		.amdhsa_fp16_overflow 0
		.amdhsa_tg_split 0
		.amdhsa_exception_fp_ieee_invalid_op 0
		.amdhsa_exception_fp_denorm_src 0
		.amdhsa_exception_fp_ieee_div_zero 0
		.amdhsa_exception_fp_ieee_overflow 0
		.amdhsa_exception_fp_ieee_underflow 0
		.amdhsa_exception_fp_ieee_inexact 0
		.amdhsa_exception_int_div_zero 0
	.end_amdhsa_kernel
	.section	.text._ZL13mul_mat_vec_qIL9ggml_type19ELi1ELb1ELb1EEvPKvS2_PKi31ggml_cuda_mm_fusion_args_devicePfj15HIP_vector_typeIjLj3EEjjjS8_jjjS8_jjjj,"axG",@progbits,_ZL13mul_mat_vec_qIL9ggml_type19ELi1ELb1ELb1EEvPKvS2_PKi31ggml_cuda_mm_fusion_args_devicePfj15HIP_vector_typeIjLj3EEjjjS8_jjjS8_jjjj,comdat
.Lfunc_end205:
	.size	_ZL13mul_mat_vec_qIL9ggml_type19ELi1ELb1ELb1EEvPKvS2_PKi31ggml_cuda_mm_fusion_args_devicePfj15HIP_vector_typeIjLj3EEjjjS8_jjjS8_jjjj, .Lfunc_end205-_ZL13mul_mat_vec_qIL9ggml_type19ELi1ELb1ELb1EEvPKvS2_PKi31ggml_cuda_mm_fusion_args_devicePfj15HIP_vector_typeIjLj3EEjjjS8_jjjS8_jjjj
                                        ; -- End function
	.section	.AMDGPU.csdata,"",@progbits
; Kernel info:
; codeLenInByte = 4288
; NumSgprs: 52
; NumVgprs: 53
; NumAgprs: 0
; TotalNumVgprs: 53
; ScratchSize: 0
; MemoryBound: 0
; FloatMode: 240
; IeeeMode: 1
; LDSByteSize: 3072 bytes/workgroup (compile time only)
; SGPRBlocks: 6
; VGPRBlocks: 6
; NumSGPRsForWavesPerEU: 52
; NumVGPRsForWavesPerEU: 53
; AccumOffset: 56
; Occupancy: 8
; WaveLimiterHint : 0
; COMPUTE_PGM_RSRC2:SCRATCH_EN: 0
; COMPUTE_PGM_RSRC2:USER_SGPR: 4
; COMPUTE_PGM_RSRC2:TRAP_HANDLER: 0
; COMPUTE_PGM_RSRC2:TGID_X_EN: 1
; COMPUTE_PGM_RSRC2:TGID_Y_EN: 1
; COMPUTE_PGM_RSRC2:TGID_Z_EN: 1
; COMPUTE_PGM_RSRC2:TIDIG_COMP_CNT: 2
; COMPUTE_PGM_RSRC3_GFX90A:ACCUM_OFFSET: 13
; COMPUTE_PGM_RSRC3_GFX90A:TG_SPLIT: 0
	.section	.text._ZL13mul_mat_vec_qIL9ggml_type19ELi1ELb0ELb1EEvPKvS2_PKi31ggml_cuda_mm_fusion_args_devicePfj15HIP_vector_typeIjLj3EEjjjS8_jjjS8_jjjj,"axG",@progbits,_ZL13mul_mat_vec_qIL9ggml_type19ELi1ELb0ELb1EEvPKvS2_PKi31ggml_cuda_mm_fusion_args_devicePfj15HIP_vector_typeIjLj3EEjjjS8_jjjS8_jjjj,comdat
	.globl	_ZL13mul_mat_vec_qIL9ggml_type19ELi1ELb0ELb1EEvPKvS2_PKi31ggml_cuda_mm_fusion_args_devicePfj15HIP_vector_typeIjLj3EEjjjS8_jjjS8_jjjj ; -- Begin function _ZL13mul_mat_vec_qIL9ggml_type19ELi1ELb0ELb1EEvPKvS2_PKi31ggml_cuda_mm_fusion_args_devicePfj15HIP_vector_typeIjLj3EEjjjS8_jjjS8_jjjj
	.p2align	8
	.type	_ZL13mul_mat_vec_qIL9ggml_type19ELi1ELb0ELb1EEvPKvS2_PKi31ggml_cuda_mm_fusion_args_devicePfj15HIP_vector_typeIjLj3EEjjjS8_jjjS8_jjjj,@function
_ZL13mul_mat_vec_qIL9ggml_type19ELi1ELb0ELb1EEvPKvS2_PKi31ggml_cuda_mm_fusion_args_devicePfj15HIP_vector_typeIjLj3EEjjjS8_jjjS8_jjjj: ; @_ZL13mul_mat_vec_qIL9ggml_type19ELi1ELb0ELb1EEvPKvS2_PKi31ggml_cuda_mm_fusion_args_devicePfj15HIP_vector_typeIjLj3EEjjjS8_jjjS8_jjjj
; %bb.0:
	s_load_dwordx2 s[8:9], s[2:3], 0x10
	s_load_dwordx4 s[16:19], s[2:3], 0x40
	s_mov_b32 s20, s5
	s_mov_b64 s[14:15], 0
	s_waitcnt lgkmcnt(0)
	s_cmp_lg_u64 s[8:9], 0
	s_cselect_b64 s[12:13], -1, 0
	s_cmp_eq_u64 s[8:9], 0
	s_cbranch_scc1 .LBB206_5
; %bb.1:
	s_mov_b32 s21, 0
	s_lshl_b64 s[10:11], s[20:21], 2
	s_add_u32 s8, s8, s10
	s_addc_u32 s9, s9, s11
	s_load_dword s21, s[8:9], 0x0
	s_nop 0
	s_load_dwordx4 s[8:11], s[2:3], 0x68
	s_load_dword s5, s[2:3], 0x50
	s_andn2_b64 vcc, exec, s[14:15]
	s_cbranch_vccnz .LBB206_3
.LBB206_2:
	s_load_dwordx2 s[14:15], s[2:3], 0x5c
	s_waitcnt lgkmcnt(0)
	s_mul_hi_u32 s7, s14, s20
	s_add_i32 s7, s20, s7
	s_lshr_b32 s21, s7, s15
.LBB206_3:
	s_load_dword s22, s[2:3], 0x78
	s_andn2_b64 vcc, exec, s[12:13]
	s_cbranch_vccnz .LBB206_6
; %bb.4:
	s_mul_hi_u32 s7, s17, s20
	s_add_i32 s7, s20, s7
	s_lshr_b32 s7, s7, s18
	s_mul_i32 s7, s7, s19
	s_sub_i32 s23, s20, s7
	s_branch .LBB206_7
.LBB206_5:
                                        ; implicit-def: $sgpr21
	s_load_dwordx4 s[8:11], s[2:3], 0x68
	s_load_dword s5, s[2:3], 0x50
	s_branch .LBB206_2
.LBB206_6:
	s_mov_b32 s23, s20
.LBB206_7:
	s_load_dwordx2 s[18:19], s[0:1], 0x4
	s_load_dwordx4 s[12:15], s[2:3], 0x80
	v_bfe_u32 v11, v0, 10, 10
	v_and_b32_e32 v10, 0x3ff, v0
	v_bfe_u32 v0, v0, 20, 10
	s_waitcnt lgkmcnt(0)
	s_lshr_b32 s0, s18, 16
	v_mul_u32_u24_e32 v1, s19, v11
	s_mul_i32 s0, s0, s19
	v_mad_u32_u24 v1, s0, v10, v1
	v_add_lshl_u32 v1, v1, v0, 3
	v_lshl_add_u32 v0, v11, 6, v10
	s_lshr_b32 s15, s16, 8
	v_mov_b32_e32 v3, 0
	v_lshrrev_b32_e32 v12, 3, v0
	v_add_u32_e32 v9, 0x200, v1
	s_lshl_b32 s7, s4, 1
	v_cmp_gt_u32_e32 vcc, s15, v12
	v_mov_b32_e32 v2, v3
	ds_write2_b32 v1, v3, v3 offset0:128 offset1:129
	s_and_saveexec_b64 s[0:1], vcc
	s_cbranch_execz .LBB206_11
; %bb.8:
	s_mul_i32 s4, s23, s9
	s_mul_hi_u32 s9, s11, s6
	s_add_i32 s9, s6, s9
	s_lshr_b32 s9, s9, s22
	s_mul_i32 s8, s21, s8
	s_mul_i32 s9, s9, s12
	;; [unrolled: 1-line block ×3, first 2 shown]
	s_add_i32 s8, s9, s8
	s_add_i32 s9, s8, s11
	;; [unrolled: 1-line block ×3, first 2 shown]
	s_mul_i32 s5, s5, s11
	s_load_dwordx4 s[16:19], s[2:3], 0x0
	s_add_i32 s11, s8, s5
	s_mul_hi_u32 s5, s4, 36
	s_mul_i32 s4, s4, 36
	v_lshrrev_b32_e32 v0, 3, v0
	v_mov_b32_e32 v4, s4
	v_mov_b32_e32 v5, s5
	s_movk_i32 s4, 0x120
	s_mul_i32 s13, s6, s13
	v_mad_u64_u32 v[4:5], s[4:5], v0, s4, v[4:5]
	v_and_b32_e32 v2, 7, v10
	v_mad_u64_u32 v[4:5], s[4:5], s13, 36, v[4:5]
	v_mad_u64_u32 v[4:5], s[4:5], v2, 36, v[4:5]
	v_lshlrev_b32_e32 v6, 1, v2
	v_mov_b32_e32 v1, 0
	s_waitcnt lgkmcnt(0)
	v_lshl_add_u64 v[4:5], v[4:5], 0, s[18:19]
	v_lshl_add_u64 v[4:5], v[4:5], 0, 16
	s_mov_b64 s[4:5], 0
	v_lshlrev_b32_e32 v0, 1, v6
	v_lshlrev_b32_e32 v6, 1, v2
	s_mov_b32 s21, 0x5040100
	s_movk_i32 s22, 0x700
	s_mov_b32 s8, 0xb7000000
	v_mov_b32_e32 v8, 0xbf600000
	s_mov_b64 s[12:13], 0x1200
	v_mov_b32_e32 v7, v1
	v_mov_b32_e32 v13, 8
	;; [unrolled: 1-line block ×7, first 2 shown]
.LBB206_9:                              ; =>This Inner Loop Header: Depth=1
	v_add_u32_e32 v17, s9, v12
	v_add_u32_e32 v18, s11, v12
	v_mad_i64_i32 v[26:27], s[18:19], v17, 50, s[16:17]
	v_mad_i64_i32 v[28:29], s[18:19], v18, 50, s[16:17]
	v_lshl_add_u64 v[30:31], v[26:27], 0, v[0:1]
	v_lshl_add_u64 v[32:33], v[26:27], 0, v[6:7]
	;; [unrolled: 1-line block ×4, first 2 shown]
	global_load_dword v17, v[30:31], off offset:2
	global_load_dword v38, v[34:35], off offset:2
	global_load_ushort v39, v[32:33], off offset:34
	global_load_ushort v40, v[36:37], off offset:34
	global_load_dwordx4 v[18:21], v[4:5], off
	global_load_dwordx4 v[22:25], v[4:5], off offset:-16
	global_load_ushort v30, v[28:29], off
	global_load_ushort v31, v[26:27], off
	s_getpc_b64 s[18:19]
	s_add_u32 s18, s18, _ZL13iq1s_grid_gpu@rel32@lo+4
	s_addc_u32 s19, s19, _ZL13iq1s_grid_gpu@rel32@hi+12
	v_add_u32_e32 v12, 16, v12
	v_cmp_le_u32_e32 vcc, s15, v12
	s_or_b64 s[4:5], vcc, s[4:5]
	s_waitcnt vmcnt(7)
	v_and_b32_e32 v28, 0xff, v17
	v_lshrrev_b16_e32 v26, 8, v17
	s_waitcnt vmcnt(5)
	v_lshlrev_b32_sdwa v35, v13, v39 dst_sel:DWORD dst_unused:UNUSED_PAD src0_sel:DWORD src1_sel:WORD_0
	v_lshrrev_b32_e32 v27, 24, v17
	v_bfe_u32 v17, v17, 16, 8
	v_lshrrev_b16_e32 v29, 8, v38
	v_lshrrev_b32_e32 v32, 24, v38
	v_and_b32_e32 v33, 0xff, v38
	v_bfe_u32 v34, v38, 16, 8
	v_lshlrev_b32_sdwa v36, v14, v39 dst_sel:DWORD dst_unused:UNUSED_PAD src0_sel:DWORD src1_sel:WORD_0
	v_lshlrev_b32_sdwa v37, v15, v39 dst_sel:DWORD dst_unused:UNUSED_PAD src0_sel:DWORD src1_sel:WORD_0
	v_lshrrev_b32_sdwa v38, v16, v39 dst_sel:DWORD dst_unused:UNUSED_PAD src0_sel:DWORD src1_sel:WORD_0
	s_waitcnt vmcnt(4)
	v_lshlrev_b32_sdwa v41, v13, v40 dst_sel:DWORD dst_unused:UNUSED_PAD src0_sel:DWORD src1_sel:WORD_0
	v_lshlrev_b32_sdwa v42, v14, v40 dst_sel:DWORD dst_unused:UNUSED_PAD src0_sel:DWORD src1_sel:WORD_0
	;; [unrolled: 1-line block ×3, first 2 shown]
	v_lshrrev_b32_sdwa v44, v16, v40 dst_sel:DWORD dst_unused:UNUSED_PAD src0_sel:DWORD src1_sel:WORD_0
	v_and_or_b32 v28, v35, s22, v28
	v_and_or_b32 v26, v36, s22, v26
	;; [unrolled: 1-line block ×8, first 2 shown]
	v_lshlrev_b32_e32 v28, 2, v28
	v_lshlrev_b32_e32 v26, 2, v26
	;; [unrolled: 1-line block ×8, first 2 shown]
	global_load_dword v35, v28, s[18:19]
	global_load_dword v36, v26, s[18:19]
	;; [unrolled: 1-line block ×8, first 2 shown]
	global_load_dword v45, v[4:5], off offset:16
	v_perm_b32 v32, v40, v39, s21
	s_waitcnt vmcnt(10)
	v_cvt_f32_f16_e32 v29, v30
	v_pk_lshrrev_b16 v30, 11, v32 op_sel_hi:[0,1]
	v_and_b32_e32 v32, 0x80008000, v32
	v_and_b32_e32 v30, 0xe000e, v30
	s_waitcnt vmcnt(9)
	v_cvt_f32_f16_e32 v28, v31
	v_cvt_f32_u32_sdwa v31, v32 dst_sel:DWORD dst_unused:UNUSED_PAD src0_sel:WORD_1
	v_and_b32_e32 v32, 0x8000, v32
	v_or_b32_e32 v34, 0x10001, v30
	v_mov_b32_e32 v17, 0
	v_mov_b32_e32 v27, 0
	v_cvt_f32_u32_e32 v30, v32
	v_cvt_f32_ubyte2_e32 v33, v34
	v_cvt_f32_ubyte0_e32 v32, v34
	v_cvt_f32_f16_e32 v26, v22
	v_cvt_f32_f16_sdwa v22, v22 dst_sel:DWORD dst_unused:UNUSED_PAD src0_sel:WORD_1
	v_lshl_add_u64 v[4:5], v[4:5], 0, s[12:13]
	s_waitcnt vmcnt(8)
	v_and_b32_e32 v34, 0xf0f0f0f, v35
	v_lshrrev_b32_e32 v35, 4, v35
	s_waitcnt vmcnt(7)
	v_and_b32_e32 v39, 0xf0f0f0f, v36
	v_lshrrev_b32_e32 v36, 4, v36
	;; [unrolled: 3-line block ×5, first 2 shown]
	v_and_b32_e32 v35, 0xf0f0f0f, v35
	v_dot4c_i32_i8_e32 v17, v34, v23
	v_and_b32_e32 v34, 0xf0f0f0f, v36
	v_and_b32_e32 v36, 0xf0f0f0f, v37
	;; [unrolled: 1-line block ×4, first 2 shown]
	v_dot4c_i32_i8_e32 v27, v47, v23
	s_waitcnt vmcnt(3)
	v_and_b32_e32 v48, 0xf0f0f0f, v42
	v_lshrrev_b32_e32 v42, 4, v42
	v_dot4c_i32_i8_e32 v17, v35, v24
	v_dot4c_i32_i8_e32 v27, v38, v24
	v_and_b32_e32 v23, 0xf0f0f0f, v42
	v_dot4c_i32_i8_e32 v17, v39, v25
	v_dot4c_i32_i8_e32 v27, v48, v25
	s_waitcnt vmcnt(2)
	v_and_b32_e32 v49, 0xf0f0f0f, v43
	v_lshrrev_b32_e32 v43, 4, v43
	v_dot4c_i32_i8_e32 v17, v34, v18
	v_dot4c_i32_i8_e32 v27, v23, v18
	v_and_b32_e32 v41, 0xf0f0f0f, v43
	v_dot4c_i32_i8_e32 v17, v40, v19
	;; [unrolled: 8-line block ×3, first 2 shown]
	v_dot4c_i32_i8_e32 v27, v50, v21
	s_waitcnt vmcnt(0)
	v_dot4c_i32_i8_e32 v17, v37, v45
	v_dot4c_i32_i8_e32 v27, v42, v45
	v_pk_fma_f32 v[24:25], v[30:31], s[8:9], v[8:9] op_sel_hi:[1,0,0]
	v_pk_mul_f32 v[20:21], v[32:33], v[28:29]
	v_cvt_f32_i32_e32 v18, v17
	v_cvt_f32_i32_e32 v19, v27
	v_pk_mul_f32 v[22:23], v[24:25], v[22:23] op_sel_hi:[1,0]
	s_nop 0
	v_pk_fma_f32 v[18:19], v[26:27], v[18:19], v[22:23] op_sel_hi:[0,1,1]
	v_pk_fma_f32 v[2:3], v[20:21], v[18:19], v[2:3]
	s_andn2_b64 exec, exec, s[4:5]
	s_cbranch_execnz .LBB206_9
; %bb.10:
	s_or_b64 exec, exec, s[4:5]
	ds_write2_b32 v9, v2, v3 offset1:1
.LBB206_11:
	s_or_b64 exec, exec, s[0:1]
	v_cmp_eq_u32_e32 vcc, 0, v11
	v_cmp_ne_u32_e64 s[0:1], 0, v11
	v_lshlrev_b32_e32 v0, 2, v10
	s_and_saveexec_b64 s[4:5], s[0:1]
	s_cbranch_execz .LBB206_13
; %bb.12:
	v_lshl_or_b32 v1, v11, 9, v0
	v_add_u32_e32 v1, 0xfffffe00, v1
	ds_write2st64_b32 v1, v2, v3 offset1:1
.LBB206_13:
	s_or_b64 exec, exec, s[4:5]
	s_waitcnt lgkmcnt(0)
	s_barrier
	s_and_saveexec_b64 s[0:1], vcc
	s_cbranch_execz .LBB206_16
; %bb.14:
	v_mbcnt_lo_u32_b32 v1, -1, 0
	v_mbcnt_hi_u32_b32 v1, -1, v1
	v_and_b32_e32 v2, 64, v1
	v_add_u32_e32 v6, 64, v2
	ds_read2st64_b32 v[2:3], v0 offset1:1
	ds_read2_b32 v[4:5], v9 offset1:1
	v_xor_b32_e32 v7, 32, v1
	v_cmp_lt_i32_e32 vcc, v7, v6
	s_load_dword s0, s[2:3], 0x58
	s_mov_b32 s5, 0
	v_cndmask_b32_e32 v7, v1, v7, vcc
	v_lshlrev_b32_e32 v7, 2, v7
	s_waitcnt lgkmcnt(0)
	v_pk_add_f32 v[2:3], v[2:3], v[4:5]
	ds_bpermute_b32 v4, v7, v2
	ds_bpermute_b32 v5, v7, v3
	v_xor_b32_e32 v7, 16, v1
	v_cmp_lt_i32_e32 vcc, v7, v6
	s_waitcnt lgkmcnt(0)
	v_pk_add_f32 v[2:3], v[2:3], v[4:5]
	v_cndmask_b32_e32 v7, v1, v7, vcc
	v_lshlrev_b32_e32 v7, 2, v7
	ds_bpermute_b32 v4, v7, v2
	ds_bpermute_b32 v5, v7, v3
	v_xor_b32_e32 v7, 8, v1
	v_cmp_lt_i32_e32 vcc, v7, v6
	s_waitcnt lgkmcnt(0)
	v_pk_add_f32 v[2:3], v[2:3], v[4:5]
	v_cndmask_b32_e32 v7, v1, v7, vcc
	v_lshlrev_b32_e32 v7, 2, v7
	;; [unrolled: 8-line block ×5, first 2 shown]
	ds_bpermute_b32 v4, v1, v2
	ds_bpermute_b32 v5, v1, v3
	v_or_b32_e32 v1, s7, v10
	v_cmp_gt_u32_e32 vcc, 2, v10
	v_cmp_gt_u32_e64 s[0:1], s0, v1
	s_and_b64 s[0:1], vcc, s[0:1]
	s_waitcnt lgkmcnt(0)
	v_pk_add_f32 v[2:3], v[2:3], v[4:5]
	ds_write2_b32 v9, v2, v3 offset1:1
	s_and_b64 exec, exec, s[0:1]
	s_cbranch_execz .LBB206_16
; %bb.15:
	s_load_dwordx2 s[0:1], s[2:3], 0x38
	s_mul_i32 s2, s20, s10
	v_add_u32_e32 v1, v9, v0
	s_add_i32 s2, s2, s7
	s_mul_i32 s6, s6, s14
	ds_read_b32 v1, v1
	s_add_i32 s4, s2, s6
	s_lshl_b64 s[2:3], s[4:5], 2
	s_waitcnt lgkmcnt(0)
	s_add_u32 s0, s0, s2
	s_addc_u32 s1, s1, s3
	global_store_dword v0, v1, s[0:1]
.LBB206_16:
	s_endpgm
	.section	.rodata,"a",@progbits
	.p2align	6, 0x0
	.amdhsa_kernel _ZL13mul_mat_vec_qIL9ggml_type19ELi1ELb0ELb1EEvPKvS2_PKi31ggml_cuda_mm_fusion_args_devicePfj15HIP_vector_typeIjLj3EEjjjS8_jjjS8_jjjj
		.amdhsa_group_segment_fixed_size 1536
		.amdhsa_private_segment_fixed_size 0
		.amdhsa_kernarg_size 144
		.amdhsa_user_sgpr_count 4
		.amdhsa_user_sgpr_dispatch_ptr 1
		.amdhsa_user_sgpr_queue_ptr 0
		.amdhsa_user_sgpr_kernarg_segment_ptr 1
		.amdhsa_user_sgpr_dispatch_id 0
		.amdhsa_user_sgpr_kernarg_preload_length 0
		.amdhsa_user_sgpr_kernarg_preload_offset 0
		.amdhsa_user_sgpr_private_segment_size 0
		.amdhsa_uses_dynamic_stack 0
		.amdhsa_enable_private_segment 0
		.amdhsa_system_sgpr_workgroup_id_x 1
		.amdhsa_system_sgpr_workgroup_id_y 1
		.amdhsa_system_sgpr_workgroup_id_z 1
		.amdhsa_system_sgpr_workgroup_info 0
		.amdhsa_system_vgpr_workitem_id 2
		.amdhsa_next_free_vgpr 51
		.amdhsa_next_free_sgpr 24
		.amdhsa_accum_offset 52
		.amdhsa_reserve_vcc 1
		.amdhsa_float_round_mode_32 0
		.amdhsa_float_round_mode_16_64 0
		.amdhsa_float_denorm_mode_32 3
		.amdhsa_float_denorm_mode_16_64 3
		.amdhsa_dx10_clamp 1
		.amdhsa_ieee_mode 1
		.amdhsa_fp16_overflow 0
		.amdhsa_tg_split 0
		.amdhsa_exception_fp_ieee_invalid_op 0
		.amdhsa_exception_fp_denorm_src 0
		.amdhsa_exception_fp_ieee_div_zero 0
		.amdhsa_exception_fp_ieee_overflow 0
		.amdhsa_exception_fp_ieee_underflow 0
		.amdhsa_exception_fp_ieee_inexact 0
		.amdhsa_exception_int_div_zero 0
	.end_amdhsa_kernel
	.section	.text._ZL13mul_mat_vec_qIL9ggml_type19ELi1ELb0ELb1EEvPKvS2_PKi31ggml_cuda_mm_fusion_args_devicePfj15HIP_vector_typeIjLj3EEjjjS8_jjjS8_jjjj,"axG",@progbits,_ZL13mul_mat_vec_qIL9ggml_type19ELi1ELb0ELb1EEvPKvS2_PKi31ggml_cuda_mm_fusion_args_devicePfj15HIP_vector_typeIjLj3EEjjjS8_jjjS8_jjjj,comdat
.Lfunc_end206:
	.size	_ZL13mul_mat_vec_qIL9ggml_type19ELi1ELb0ELb1EEvPKvS2_PKi31ggml_cuda_mm_fusion_args_devicePfj15HIP_vector_typeIjLj3EEjjjS8_jjjS8_jjjj, .Lfunc_end206-_ZL13mul_mat_vec_qIL9ggml_type19ELi1ELb0ELb1EEvPKvS2_PKi31ggml_cuda_mm_fusion_args_devicePfj15HIP_vector_typeIjLj3EEjjjS8_jjjS8_jjjj
                                        ; -- End function
	.section	.AMDGPU.csdata,"",@progbits
; Kernel info:
; codeLenInByte = 1916
; NumSgprs: 30
; NumVgprs: 51
; NumAgprs: 0
; TotalNumVgprs: 51
; ScratchSize: 0
; MemoryBound: 0
; FloatMode: 240
; IeeeMode: 1
; LDSByteSize: 1536 bytes/workgroup (compile time only)
; SGPRBlocks: 3
; VGPRBlocks: 6
; NumSGPRsForWavesPerEU: 30
; NumVGPRsForWavesPerEU: 51
; AccumOffset: 52
; Occupancy: 8
; WaveLimiterHint : 0
; COMPUTE_PGM_RSRC2:SCRATCH_EN: 0
; COMPUTE_PGM_RSRC2:USER_SGPR: 4
; COMPUTE_PGM_RSRC2:TRAP_HANDLER: 0
; COMPUTE_PGM_RSRC2:TGID_X_EN: 1
; COMPUTE_PGM_RSRC2:TGID_Y_EN: 1
; COMPUTE_PGM_RSRC2:TGID_Z_EN: 1
; COMPUTE_PGM_RSRC2:TIDIG_COMP_CNT: 2
; COMPUTE_PGM_RSRC3_GFX90A:ACCUM_OFFSET: 12
; COMPUTE_PGM_RSRC3_GFX90A:TG_SPLIT: 0
	.section	.text._ZL13mul_mat_vec_qIL9ggml_type19ELi1ELb1ELb0EEvPKvS2_PKi31ggml_cuda_mm_fusion_args_devicePfj15HIP_vector_typeIjLj3EEjjjS8_jjjS8_jjjj,"axG",@progbits,_ZL13mul_mat_vec_qIL9ggml_type19ELi1ELb1ELb0EEvPKvS2_PKi31ggml_cuda_mm_fusion_args_devicePfj15HIP_vector_typeIjLj3EEjjjS8_jjjS8_jjjj,comdat
	.globl	_ZL13mul_mat_vec_qIL9ggml_type19ELi1ELb1ELb0EEvPKvS2_PKi31ggml_cuda_mm_fusion_args_devicePfj15HIP_vector_typeIjLj3EEjjjS8_jjjS8_jjjj ; -- Begin function _ZL13mul_mat_vec_qIL9ggml_type19ELi1ELb1ELb0EEvPKvS2_PKi31ggml_cuda_mm_fusion_args_devicePfj15HIP_vector_typeIjLj3EEjjjS8_jjjS8_jjjj
	.p2align	8
	.type	_ZL13mul_mat_vec_qIL9ggml_type19ELi1ELb1ELb0EEvPKvS2_PKi31ggml_cuda_mm_fusion_args_devicePfj15HIP_vector_typeIjLj3EEjjjS8_jjjS8_jjjj,@function
_ZL13mul_mat_vec_qIL9ggml_type19ELi1ELb1ELb0EEvPKvS2_PKi31ggml_cuda_mm_fusion_args_devicePfj15HIP_vector_typeIjLj3EEjjjS8_jjjS8_jjjj: ; @_ZL13mul_mat_vec_qIL9ggml_type19ELi1ELb1ELb0EEvPKvS2_PKi31ggml_cuda_mm_fusion_args_devicePfj15HIP_vector_typeIjLj3EEjjjS8_jjjS8_jjjj
; %bb.0:
	s_load_dwordx8 s[16:23], s[0:1], 0x0
	s_load_dwordx4 s[36:39], s[0:1], 0x20
	s_load_dwordx4 s[8:11], s[0:1], 0x40
	;; [unrolled: 1-line block ×3, first 2 shown]
	s_mov_b32 s14, s3
	s_waitcnt lgkmcnt(0)
	s_cmp_lg_u64 s[20:21], 0
	s_cselect_b64 s[6:7], -1, 0
	s_cmp_eq_u64 s[20:21], 0
	s_mov_b64 s[12:13], 0
	s_cbranch_scc1 .LBB207_5
; %bb.1:
	s_mov_b32 s15, 0
	s_lshl_b64 s[28:29], s[14:15], 2
	s_add_u32 s20, s20, s28
	s_addc_u32 s21, s21, s29
	s_load_dword s5, s[20:21], 0x0
	s_load_dword s15, s[0:1], 0x50
	;; [unrolled: 1-line block ×3, first 2 shown]
	s_andn2_b64 vcc, exec, s[12:13]
	s_cbranch_vccnz .LBB207_3
.LBB207_2:
	s_load_dwordx2 s[12:13], s[0:1], 0x5c
	s_waitcnt lgkmcnt(0)
	s_mul_hi_u32 s3, s12, s14
	s_add_i32 s3, s14, s3
	s_lshr_b32 s5, s3, s13
.LBB207_3:
	s_andn2_b64 vcc, exec, s[6:7]
	s_cbranch_vccnz .LBB207_6
; %bb.4:
	s_mul_hi_u32 s3, s9, s14
	s_add_i32 s3, s14, s3
	s_lshr_b32 s3, s3, s10
	s_mul_i32 s3, s3, s11
	s_sub_i32 s34, s14, s3
	s_waitcnt lgkmcnt(0)
	s_mov_b32 s3, s5
	s_branch .LBB207_7
.LBB207_5:
                                        ; implicit-def: $sgpr5
	s_load_dword s15, s[0:1], 0x50
	s_load_dword s33, s[0:1], 0x78
	s_branch .LBB207_2
.LBB207_6:
	s_mov_b32 s3, s14
	s_mov_b32 s34, s14
.LBB207_7:
	s_load_dwordx4 s[28:31], s[0:1], 0x80
	v_bfe_u32 v20, v0, 10, 10
	v_and_b32_e32 v17, 0x3ff, v0
	s_cmp_lg_u64 s[22:23], 0
	v_or_b32_e32 v0, v20, v17
	s_cselect_b64 s[12:13], -1, 0
	v_cmp_eq_u32_e32 vcc, 0, v0
	s_mov_b32 s21, 0
	s_and_b64 s[40:41], vcc, s[12:13]
	v_mov_b32_e32 v18, 0
	s_mul_i32 s10, s3, s26
	v_lshlrev_b32_e32 v16, 2, v17
	v_mov_b32_e32 v19, 0
	s_and_saveexec_b64 s[6:7], s[40:41]
	s_cbranch_execz .LBB207_9
; %bb.8:
	s_waitcnt lgkmcnt(0)
	s_mul_i32 s20, s4, s30
	s_lshl_b64 s[40:41], s[20:21], 2
	s_add_u32 s3, s22, s40
	s_mov_b32 s11, s21
	s_addc_u32 s9, s23, s41
	s_lshl_b64 s[20:21], s[10:11], 2
	s_add_u32 s11, s3, s20
	s_addc_u32 s9, s9, s21
	s_ashr_i32 s3, s2, 31
	s_lshl_b64 s[20:21], s[2:3], 2
	s_add_u32 s20, s11, s20
	s_addc_u32 s21, s9, s21
	global_load_dword v19, v16, s[20:21]
.LBB207_9:
	s_or_b64 exec, exec, s[6:7]
	s_cmp_lg_u64 s[36:37], 0
	s_cselect_b64 s[20:21], -1, 0
	s_cmp_lg_u64 s[38:39], 0
	s_cselect_b64 s[6:7], -1, 0
	s_and_b64 s[22:23], s[6:7], s[20:21]
	s_and_b64 s[40:41], vcc, s[22:23]
	s_and_saveexec_b64 s[22:23], s[40:41]
	s_cbranch_execz .LBB207_11
; %bb.10:
	s_waitcnt lgkmcnt(0)
	s_mul_i32 s40, s4, s30
	s_mov_b32 s41, 0
	s_lshl_b64 s[42:43], s[40:41], 2
	s_add_u32 s3, s38, s42
	s_mov_b32 s11, s41
	s_addc_u32 s9, s39, s43
	s_lshl_b64 s[10:11], s[10:11], 2
	s_add_u32 s31, s3, s10
	s_addc_u32 s9, s9, s11
	s_ashr_i32 s3, s2, 31
	s_lshl_b64 s[10:11], s[2:3], 2
	s_add_u32 s10, s31, s10
	s_addc_u32 s11, s9, s11
	global_load_dword v18, v16, s[10:11]
.LBB207_11:
	s_or_b64 exec, exec, s[22:23]
	v_lshl_add_u32 v0, v20, 6, v17
	s_lshr_b32 s3, s8, 8
	v_lshrrev_b32_e32 v23, 3, v0
	v_cndmask_b32_e64 v1, 0, 1, s[20:21]
	v_cmp_gt_u32_e32 vcc, s3, v23
	v_mov_b32_e32 v22, 0
	v_cmp_ne_u32_e64 s[8:9], 1, v1
	v_mov_b32_e32 v21, 0
	s_and_saveexec_b64 s[10:11], vcc
	s_cbranch_execz .LBB207_17
; %bb.12:
	s_mul_hi_u32 s21, s27, s4
	s_add_i32 s21, s4, s21
	s_waitcnt lgkmcnt(0)
	s_lshr_b32 s21, s21, s33
	s_mul_i32 s5, s5, s24
	s_mul_i32 s21, s21, s28
	;; [unrolled: 1-line block ×4, first 2 shown]
	s_add_i32 s5, s21, s5
	s_add_i32 s5, s5, s15
	s_mul_hi_u32 s15, s20, 36
	s_mul_i32 s20, s20, 36
	v_lshrrev_b32_e32 v3, 3, v0
	v_mov_b32_e32 v0, s20
	v_mov_b32_e32 v1, s15
	s_movk_i32 s15, 0x120
	s_mul_i32 s22, s4, s29
	v_mad_u64_u32 v[0:1], s[20:21], v3, s15, v[0:1]
	v_and_b32_e32 v2, 7, v17
	v_mad_u64_u32 v[0:1], s[20:21], s22, 36, v[0:1]
	v_mad_u64_u32 v[0:1], s[20:21], v2, 36, v[0:1]
	v_lshlrev_b32_e32 v4, 1, v2
	v_mov_b32_e32 v9, 0
	v_lshl_add_u64 v[0:1], v[0:1], 0, s[18:19]
	v_lshl_add_u64 v[10:11], v[0:1], 0, 16
	s_mov_b64 s[18:19], 0
	v_lshlrev_b32_e32 v8, 1, v4
	v_lshlrev_b32_e32 v12, 1, v2
	s_movk_i32 s15, 0x700
	v_mov_b32_e32 v24, 0xbf600000
	s_mov_b64 s[20:21], 0x1200
	v_mov_b32_e32 v13, v9
	v_mov_b32_e32 v22, v9
	;; [unrolled: 1-line block ×3, first 2 shown]
	s_branch .LBB207_14
.LBB207_13:                             ;   in Loop: Header=BB207_14 Depth=1
	s_waitcnt vmcnt(3)
	v_and_b32_e32 v4, 0xf0f0f0f, v31
	v_lshrrev_b32_e32 v31, 4, v31
	v_mov_b32_e32 v32, 0
	v_and_b32_e32 v31, 0xf0f0f0f, v31
	v_dot4c_i32_i8_e32 v32, v4, v5
	v_dot4c_i32_i8_e32 v32, v31, v6
	s_waitcnt vmcnt(2)
	v_and_b32_e32 v4, 0xf0f0f0f, v30
	v_lshrrev_b32_e32 v5, 4, v30
	v_and_b32_e32 v5, 0xf0f0f0f, v5
	v_dot4c_i32_i8_e32 v32, v4, v7
	v_dot4c_i32_i8_e32 v32, v5, v0
	s_waitcnt vmcnt(1)
	v_and_b32_e32 v0, 0xf0f0f0f, v29
	v_lshrrev_b32_e32 v4, 4, v29
	;; [unrolled: 6-line block ×3, first 2 shown]
	v_and_b32_e32 v2, 0x8000, v25
	v_and_b32_e32 v1, 0xf0f0f0f, v1
	v_dot4c_i32_i8_e32 v32, v0, v3
	v_cvt_f32_f16_e32 v0, v27
	v_cvt_f32_u32_e32 v2, v2
	v_dot4c_i32_i8_e32 v32, v1, v26
	v_lshrrev_b32_e32 v1, 11, v25
	v_and_or_b32 v1, v1, 14, 1
	v_cvt_f32_ubyte0_e32 v1, v1
	v_cvt_f32_i32_e32 v3, v32
	v_mul_f32_e32 v0, v1, v0
	v_fmamk_f32 v1, v2, 0xb7000000, v24
	v_mul_f32_e32 v1, v1, v14
	v_add_u32_e32 v23, 16, v23
	v_fmac_f32_e32 v1, v15, v3
	v_cmp_le_u32_e32 vcc, s3, v23
	v_fmac_f32_e32 v22, v0, v1
	s_or_b64 s[18:19], vcc, s[18:19]
	v_lshl_add_u64 v[10:11], v[10:11], 0, s[20:21]
	s_andn2_b64 exec, exec, s[18:19]
	s_cbranch_execz .LBB207_16
.LBB207_14:                             ; =>This Inner Loop Header: Depth=1
	v_add_u32_e32 v32, s5, v23
	v_mad_i64_i32 v[14:15], s[22:23], v32, 50, s[16:17]
	v_lshl_add_u64 v[0:1], v[14:15], 0, v[8:9]
	global_load_dword v28, v[0:1], off offset:2
	v_lshl_add_u64 v[0:1], v[14:15], 0, v[12:13]
	global_load_ushort v25, v[0:1], off offset:34
	global_load_dwordx4 v[4:7], v[10:11], off offset:-16
	s_nop 0
	global_load_dwordx4 v[0:3], v[10:11], off
	global_load_dword v26, v[10:11], off offset:16
	global_load_ushort v27, v[14:15], off
	s_getpc_b64 s[22:23]
	s_add_u32 s22, s22, _ZL13iq1s_grid_gpu@rel32@lo+4
	s_addc_u32 s23, s23, _ZL13iq1s_grid_gpu@rel32@hi+12
	s_and_b64 vcc, exec, s[8:9]
	s_waitcnt vmcnt(5)
	v_and_b32_e32 v29, 0xff, v28
	v_lshrrev_b16_e32 v14, 8, v28
	s_waitcnt vmcnt(4)
	v_lshlrev_b32_e32 v30, 8, v25
	v_lshrrev_b32_e32 v15, 24, v28
	v_lshlrev_b32_e32 v31, 5, v25
	v_bfe_u32 v28, v28, 16, 8
	v_lshlrev_b32_e32 v33, 2, v25
	v_lshrrev_b32_e32 v34, 1, v25
	v_and_or_b32 v29, v30, s15, v29
	v_and_or_b32 v14, v31, s15, v14
	;; [unrolled: 1-line block ×4, first 2 shown]
	v_lshlrev_b32_e32 v33, 2, v29
	v_lshlrev_b32_e32 v14, 2, v14
	;; [unrolled: 1-line block ×4, first 2 shown]
	global_load_dword v31, v33, s[22:23]
	global_load_dword v30, v14, s[22:23]
	global_load_dword v29, v34, s[22:23]
	global_load_dword v28, v15, s[22:23]
	s_waitcnt vmcnt(7)
	v_cvt_f32_f16_sdwa v14, v4 dst_sel:DWORD dst_unused:UNUSED_PAD src0_sel:WORD_1
	v_cvt_f32_f16_e32 v15, v4
	s_cbranch_vccnz .LBB207_13
; %bb.15:                               ;   in Loop: Header=BB207_14 Depth=1
	v_mad_i64_i32 v[32:33], s[24:25], v32, 50, s[36:37]
	v_lshl_add_u64 v[34:35], v[32:33], 0, v[8:9]
	global_load_dword v4, v[34:35], off offset:2
	v_lshl_add_u64 v[34:35], v[32:33], 0, v[12:13]
	global_load_ushort v36, v[34:35], off offset:34
	global_load_ushort v37, v[32:33], off
	s_waitcnt vmcnt(2)
	v_and_b32_e32 v34, 0xff, v4
	s_waitcnt vmcnt(1)
	v_lshlrev_b32_e32 v35, 8, v36
	v_and_or_b32 v34, v35, s15, v34
	v_lshrrev_b16_e32 v32, 8, v4
	v_lshlrev_b32_e32 v38, 5, v36
	v_lshlrev_b32_e32 v34, 2, v34
	v_and_or_b32 v32, v38, s15, v32
	global_load_dword v34, v34, s[22:23]
	v_lshrrev_b32_e32 v33, 24, v4
	v_bfe_u32 v4, v4, 16, 8
	v_lshlrev_b32_e32 v39, 2, v36
	v_lshrrev_b32_e32 v40, 1, v36
	v_lshlrev_b32_e32 v32, 2, v32
	v_and_or_b32 v4, v39, s15, v4
	v_and_or_b32 v33, v40, s15, v33
	global_load_dword v32, v32, s[22:23]
	v_lshlrev_b32_e32 v4, 2, v4
	v_lshlrev_b32_e32 v33, 2, v33
	global_load_dword v33, v33, s[22:23]
	v_mov_b32_e32 v35, 0
	global_load_dword v4, v4, s[22:23]
	v_lshrrev_b32_e32 v38, 11, v36
	v_and_b32_e32 v36, 0x8000, v36
	s_waitcnt vmcnt(4)
	v_cvt_f32_f16_e32 v37, v37
	v_and_or_b32 v38, v38, 14, 1
	s_waitcnt vmcnt(3)
	v_and_b32_e32 v39, 0xf0f0f0f, v34
	v_lshrrev_b32_e32 v34, 4, v34
	v_and_b32_e32 v34, 0xf0f0f0f, v34
	v_dot4c_i32_i8_e32 v35, v39, v5
	v_dot4c_i32_i8_e32 v35, v34, v6
	s_waitcnt vmcnt(2)
	v_and_b32_e32 v40, 0xf0f0f0f, v32
	v_lshrrev_b32_e32 v32, 4, v32
	v_and_b32_e32 v32, 0xf0f0f0f, v32
	v_dot4c_i32_i8_e32 v35, v40, v7
	v_dot4c_i32_i8_e32 v35, v32, v0
	s_waitcnt vmcnt(0)
	v_and_b32_e32 v41, 0xf0f0f0f, v4
	v_lshrrev_b32_e32 v4, 4, v4
	v_and_b32_e32 v4, 0xf0f0f0f, v4
	v_dot4c_i32_i8_e32 v35, v41, v1
	v_and_b32_e32 v42, 0xf0f0f0f, v33
	v_lshrrev_b32_e32 v33, 4, v33
	v_dot4c_i32_i8_e32 v35, v4, v2
	v_and_b32_e32 v33, 0xf0f0f0f, v33
	v_dot4c_i32_i8_e32 v35, v42, v3
	v_dot4c_i32_i8_e32 v35, v33, v26
	v_cvt_f32_u32_e32 v4, v36
	v_cvt_f32_ubyte0_e32 v32, v38
	v_mul_f32_e32 v34, v32, v37
	v_cvt_f32_i32_e32 v33, v35
	v_fmamk_f32 v32, v4, 0xb7000000, v24
	v_pk_mul_f32 v[32:33], v[32:33], v[14:15]
	s_nop 0
	v_add_f32_e32 v4, v32, v33
	v_fmac_f32_e32 v21, v34, v4
	s_branch .LBB207_13
.LBB207_16:
	s_or_b64 exec, exec, s[18:19]
.LBB207_17:
	s_or_b64 exec, exec, s[10:11]
	s_load_dword s3, s[0:1], 0x30
	v_cmp_eq_u32_e64 s[10:11], 0, v20
	v_cmp_ne_u32_e32 vcc, 0, v20
	s_and_saveexec_b64 s[16:17], vcc
	s_cbranch_execz .LBB207_20
; %bb.18:
	v_add_u32_e32 v0, -1, v20
	v_lshl_add_u32 v0, v0, 8, v16
	s_and_b64 vcc, exec, s[8:9]
	ds_write_b32 v0, v22
	s_cbranch_vccnz .LBB207_20
; %bb.19:
	ds_write_b32 v0, v21 offset:256
.LBB207_20:
	s_or_b64 exec, exec, s[16:17]
	s_waitcnt lgkmcnt(0)
	s_barrier
	s_and_saveexec_b64 s[16:17], s[10:11]
	s_cbranch_execz .LBB207_49
; %bb.21:
	ds_read_b32 v0, v16
	s_and_b64 vcc, exec, s[8:9]
	s_cbranch_vccnz .LBB207_23
; %bb.22:
	ds_read_b32 v1, v16 offset:256
	s_waitcnt lgkmcnt(0)
	v_add_f32_e32 v21, v21, v1
.LBB207_23:
	s_waitcnt lgkmcnt(0)
	v_add_f32_e32 v1, v22, v0
	v_mbcnt_lo_u32_b32 v0, -1, 0
	v_mbcnt_hi_u32_b32 v4, -1, v0
	v_and_b32_e32 v0, 64, v4
	v_add_u32_e32 v7, 64, v0
	v_xor_b32_e32 v0, 32, v4
	v_cmp_lt_i32_e32 vcc, v0, v7
	v_xor_b32_e32 v3, 16, v4
	v_xor_b32_e32 v5, 8, v4
	v_cndmask_b32_e32 v0, v4, v0, vcc
	v_lshlrev_b32_e32 v0, 2, v0
	ds_bpermute_b32 v2, v0, v1
	v_cmp_lt_i32_e32 vcc, v3, v7
	v_xor_b32_e32 v6, 4, v4
	v_xor_b32_e32 v8, 2, v4
	;; [unrolled: 1-line block ×3, first 2 shown]
	s_waitcnt lgkmcnt(0)
	v_add_f32_e32 v2, v1, v2
	v_cndmask_b32_e32 v1, v4, v3, vcc
	v_lshlrev_b32_e32 v1, 2, v1
	ds_bpermute_b32 v3, v1, v2
	v_cmp_lt_i32_e32 vcc, v5, v7
	s_waitcnt lgkmcnt(0)
	v_add_f32_e32 v2, v2, v3
	v_cndmask_b32_e32 v3, v4, v5, vcc
	v_lshlrev_b32_e32 v3, 2, v3
	ds_bpermute_b32 v5, v3, v2
	v_cmp_lt_i32_e32 vcc, v6, v7
	;; [unrolled: 6-line block ×4, first 2 shown]
	s_waitcnt lgkmcnt(0)
	v_add_f32_e32 v2, v2, v8
	v_cndmask_b32_e32 v4, v4, v9, vcc
	v_lshlrev_b32_e32 v7, 2, v4
	ds_bpermute_b32 v4, v7, v2
	s_and_b64 vcc, exec, s[8:9]
	s_cbranch_vccnz .LBB207_25
; %bb.24:
	ds_bpermute_b32 v0, v0, v21
	s_waitcnt lgkmcnt(0)
	v_add_f32_e32 v0, v21, v0
	ds_bpermute_b32 v1, v1, v0
	s_waitcnt lgkmcnt(0)
	v_add_f32_e32 v0, v0, v1
	;; [unrolled: 3-line block ×6, first 2 shown]
.LBB207_25:
	v_cmp_eq_u32_e32 vcc, 0, v17
	s_and_b64 exec, exec, vcc
	s_cbranch_execz .LBB207_49
; %bb.26:
	s_waitcnt lgkmcnt(0)
	v_add_f32_e32 v0, v2, v4
	s_waitcnt vmcnt(0)
	v_add_f32_e32 v1, v19, v0
	s_and_b64 vcc, exec, s[8:9]
	v_cndmask_b32_e64 v0, v0, v1, s[12:13]
	s_cbranch_vccnz .LBB207_48
; %bb.27:
	v_add_f32_e32 v1, v18, v21
	v_cndmask_b32_e64 v1, v21, v1, s[6:7]
	s_cmp_lt_i32 s3, 2
	s_mov_b64 s[6:7], 0
	s_cbranch_scc1 .LBB207_31
; %bb.28:
	s_cmp_gt_i32 s3, 2
	s_cbranch_scc0 .LBB207_32
; %bb.29:
	s_cmp_eq_u32 s3, 3
	s_cbranch_scc0 .LBB207_33
; %bb.30:
	v_max_f32_e32 v2, v1, v1
	v_min_f32_e32 v4, 0x40e00000, v2
	v_mul_f32_e32 v3, 0xbfd9db23, v4
	s_mov_b32 s5, 0x3fb8aa3b
	v_mul_f32_e32 v2, 0x3fb8aa3b, v3
	v_fma_f32 v5, v3, s5, -v2
	v_rndne_f32_e32 v6, v2
	v_fmamk_f32 v5, v3, 0x32a5705f, v5
	v_sub_f32_e32 v2, v2, v6
	v_add_f32_e32 v2, v2, v5
	v_exp_f32_e32 v5, v2
	v_cvt_i32_f32_e32 v6, v6
	s_mov_b32 s5, 0xc2ce8ed0
	v_max_f32_e32 v2, v0, v0
	v_cmp_ngt_f32_e32 vcc, s5, v3
	v_ldexp_f32 v5, v5, v6
	s_mov_b32 s5, 0x42b17218
	v_min_f32_e32 v2, 0x40e00000, v2
	v_cndmask_b32_e32 v5, 0, v5, vcc
	v_mov_b32_e32 v6, 0x7f800000
	v_cmp_nlt_f32_e32 vcc, s5, v3
	v_max_f32_e32 v2, 0xc0e00000, v2
	s_nop 0
	v_cndmask_b32_e32 v3, v6, v5, vcc
	v_pk_add_f32 v[2:3], v[2:3], 1.0 op_sel_hi:[1,0]
	s_nop 0
	v_div_scale_f32 v5, s[8:9], v3, v3, v4
	v_rcp_f32_e32 v6, v5
	s_mov_b64 s[8:9], 0
	v_fma_f32 v7, -v5, v6, 1.0
	v_fmac_f32_e32 v6, v7, v6
	v_div_scale_f32 v7, vcc, v4, v3, v4
	v_mul_f32_e32 v8, v7, v6
	v_fma_f32 v9, -v5, v8, v7
	v_fmac_f32_e32 v8, v9, v6
	v_fma_f32 v5, -v5, v8, v7
	v_div_fmas_f32 v5, v5, v6, v8
	v_div_fixup_f32 v3, v5, v3, v4
	v_mul_f32_e32 v2, v2, v3
	s_branch .LBB207_34
.LBB207_31:
                                        ; implicit-def: $vgpr2
	s_mov_b64 s[8:9], 0
	s_cbranch_execnz .LBB207_38
	s_branch .LBB207_39
.LBB207_32:
	s_mov_b64 s[10:11], -1
	s_mov_b64 s[8:9], 0
                                        ; implicit-def: $vgpr2
	s_branch .LBB207_35
.LBB207_33:
	s_mov_b64 s[8:9], -1
                                        ; implicit-def: $vgpr2
.LBB207_34:
	s_mov_b64 s[10:11], 0
.LBB207_35:
	s_and_b64 vcc, exec, s[10:11]
	s_cbranch_vccz .LBB207_37
; %bb.36:
	v_mul_f32_e32 v2, 0xbfb8aa3b, v1
	s_mov_b32 s5, 0xbfb8aa3b
	v_rndne_f32_e32 v3, v2
	v_sub_f32_e32 v4, v2, v3
	v_fma_f32 v2, v1, s5, -v2
	v_fmamk_f32 v2, v1, 0xb2a5705f, v2
	v_add_f32_e32 v2, v4, v2
	v_exp_f32_e32 v2, v2
	v_cvt_i32_f32_e32 v3, v3
	s_mov_b32 s5, 0x42ce8ed0
	v_cmp_nlt_f32_e32 vcc, s5, v1
	s_mov_b32 s5, 0xc2b17218
	v_ldexp_f32 v2, v2, v3
	v_cndmask_b32_e32 v2, 0, v2, vcc
	v_mov_b32_e32 v3, 0x7f800000
	v_cmp_ngt_f32_e32 vcc, s5, v1
	s_nop 1
	v_cndmask_b32_e32 v2, v3, v2, vcc
	v_add_f32_e32 v2, 1.0, v2
	v_div_scale_f32 v3, s[10:11], v2, v2, v1
	v_rcp_f32_e32 v4, v3
	s_nop 0
	v_fma_f32 v5, -v3, v4, 1.0
	v_fmac_f32_e32 v4, v5, v4
	v_div_scale_f32 v5, vcc, v1, v2, v1
	v_mul_f32_e32 v6, v5, v4
	v_fma_f32 v7, -v3, v6, v5
	v_fmac_f32_e32 v6, v7, v4
	v_fma_f32 v3, -v3, v6, v5
	v_div_fmas_f32 v3, v3, v4, v6
	v_div_fixup_f32 v2, v3, v2, v1
	v_mul_f32_e32 v2, v0, v2
.LBB207_37:
	s_branch .LBB207_39
.LBB207_38:
	s_cmp_lg_u32 s3, 1
	s_mov_b64 s[6:7], -1
	s_cselect_b64 s[8:9], -1, 0
                                        ; implicit-def: $vgpr2
.LBB207_39:
	s_andn2_b64 vcc, exec, s[8:9]
	s_cbranch_vccz .LBB207_41
; %bb.40:
	s_andn2_b64 vcc, exec, s[6:7]
	s_cbranch_vccz .LBB207_42
	s_branch .LBB207_47
.LBB207_41:
	v_mul_f32_e32 v2, v0, v1
	s_cbranch_execnz .LBB207_47
.LBB207_42:
	v_mul_f32_e32 v3, 0x3d372713, v1
	v_mul_f32_e32 v2, 0x3f4c422a, v1
	v_fma_f32 v3, v1, v3, 1.0
	v_mul_f32_e32 v2, v2, v3
	s_mov_b32 s3, 0x3f200000
	v_cmp_nlt_f32_e64 s[6:7], |v2|, s3
                                        ; implicit-def: $vgpr3
	s_and_saveexec_b64 s[8:9], s[6:7]
	s_xor_b64 s[6:7], exec, s[8:9]
	s_cbranch_execz .LBB207_44
; %bb.43:
	v_add_f32_e64 v3, |v2|, |v2|
	v_mul_f32_e32 v4, 0x3fb8aa3b, v3
	s_mov_b32 s3, 0x3fb8aa3b
	v_rndne_f32_e32 v5, v4
	v_sub_f32_e32 v6, v4, v5
	v_fma_f32 v4, v3, s3, -v4
	v_fmamk_f32 v4, v3, 0x32a5705f, v4
	v_add_f32_e32 v4, v6, v4
	v_exp_f32_e32 v4, v4
	v_cvt_i32_f32_e32 v5, v5
	s_mov_b32 s3, 0xc2ce8ed0
	v_cmp_ngt_f32_e32 vcc, s3, v3
	s_mov_b32 s3, 0x42b17218
	v_ldexp_f32 v4, v4, v5
	v_cndmask_b32_e32 v4, 0, v4, vcc
	v_mov_b32_e32 v5, 0x7f800000
	v_cmp_nlt_f32_e32 vcc, s3, v3
	s_nop 1
	v_cndmask_b32_e32 v3, v5, v4, vcc
	v_add_f32_e32 v3, 1.0, v3
	v_rcp_f32_e32 v3, v3
	s_nop 0
	v_fma_f32 v3, v3, -2.0, 1.0
.LBB207_44:
	s_andn2_saveexec_b64 s[6:7], s[6:7]
; %bb.45:
	v_mul_f32_e32 v3, v2, v2
	v_mov_b32_e32 v4, 0x3ca908c9
	v_fmac_f32_e32 v4, 0xbbbac73d, v3
	v_fmaak_f32 v4, v3, v4, 0xbd5c1c4e
	v_fmaak_f32 v4, v3, v4, 0x3e088382
	;; [unrolled: 1-line block ×3, first 2 shown]
	v_mul_f32_e64 v4, |v2|, v4
	v_fma_f32 v3, v3, v4, |v2|
; %bb.46:
	s_or_b64 exec, exec, s[6:7]
	s_brev_b32 s3, -2
	v_bfi_b32 v2, s3, v3, v2
	v_mul_f32_e32 v1, 0.5, v1
	v_add_f32_e32 v2, 1.0, v2
	v_mul_f32_e32 v1, v1, v2
	v_mul_f32_e32 v2, v0, v1
.LBB207_47:
	v_mov_b32_e32 v0, v2
.LBB207_48:
	s_load_dwordx2 s[0:1], s[0:1], 0x38
	s_mul_i32 s3, s14, s26
	s_mul_i32 s4, s4, s30
	s_add_i32 s2, s3, s2
	s_add_i32 s2, s2, s4
	s_mov_b32 s3, 0
	s_lshl_b64 s[2:3], s[2:3], 2
	s_waitcnt lgkmcnt(0)
	s_add_u32 s0, s0, s2
	s_addc_u32 s1, s1, s3
	global_store_dword v16, v0, s[0:1]
.LBB207_49:
	s_endpgm
	.section	.rodata,"a",@progbits
	.p2align	6, 0x0
	.amdhsa_kernel _ZL13mul_mat_vec_qIL9ggml_type19ELi1ELb1ELb0EEvPKvS2_PKi31ggml_cuda_mm_fusion_args_devicePfj15HIP_vector_typeIjLj3EEjjjS8_jjjS8_jjjj
		.amdhsa_group_segment_fixed_size 512
		.amdhsa_private_segment_fixed_size 0
		.amdhsa_kernarg_size 144
		.amdhsa_user_sgpr_count 2
		.amdhsa_user_sgpr_dispatch_ptr 0
		.amdhsa_user_sgpr_queue_ptr 0
		.amdhsa_user_sgpr_kernarg_segment_ptr 1
		.amdhsa_user_sgpr_dispatch_id 0
		.amdhsa_user_sgpr_kernarg_preload_length 0
		.amdhsa_user_sgpr_kernarg_preload_offset 0
		.amdhsa_user_sgpr_private_segment_size 0
		.amdhsa_uses_dynamic_stack 0
		.amdhsa_enable_private_segment 0
		.amdhsa_system_sgpr_workgroup_id_x 1
		.amdhsa_system_sgpr_workgroup_id_y 1
		.amdhsa_system_sgpr_workgroup_id_z 1
		.amdhsa_system_sgpr_workgroup_info 0
		.amdhsa_system_vgpr_workitem_id 1
		.amdhsa_next_free_vgpr 43
		.amdhsa_next_free_sgpr 44
		.amdhsa_accum_offset 44
		.amdhsa_reserve_vcc 1
		.amdhsa_float_round_mode_32 0
		.amdhsa_float_round_mode_16_64 0
		.amdhsa_float_denorm_mode_32 3
		.amdhsa_float_denorm_mode_16_64 3
		.amdhsa_dx10_clamp 1
		.amdhsa_ieee_mode 1
		.amdhsa_fp16_overflow 0
		.amdhsa_tg_split 0
		.amdhsa_exception_fp_ieee_invalid_op 0
		.amdhsa_exception_fp_denorm_src 0
		.amdhsa_exception_fp_ieee_div_zero 0
		.amdhsa_exception_fp_ieee_overflow 0
		.amdhsa_exception_fp_ieee_underflow 0
		.amdhsa_exception_fp_ieee_inexact 0
		.amdhsa_exception_int_div_zero 0
	.end_amdhsa_kernel
	.section	.text._ZL13mul_mat_vec_qIL9ggml_type19ELi1ELb1ELb0EEvPKvS2_PKi31ggml_cuda_mm_fusion_args_devicePfj15HIP_vector_typeIjLj3EEjjjS8_jjjS8_jjjj,"axG",@progbits,_ZL13mul_mat_vec_qIL9ggml_type19ELi1ELb1ELb0EEvPKvS2_PKi31ggml_cuda_mm_fusion_args_devicePfj15HIP_vector_typeIjLj3EEjjjS8_jjjS8_jjjj,comdat
.Lfunc_end207:
	.size	_ZL13mul_mat_vec_qIL9ggml_type19ELi1ELb1ELb0EEvPKvS2_PKi31ggml_cuda_mm_fusion_args_devicePfj15HIP_vector_typeIjLj3EEjjjS8_jjjS8_jjjj, .Lfunc_end207-_ZL13mul_mat_vec_qIL9ggml_type19ELi1ELb1ELb0EEvPKvS2_PKi31ggml_cuda_mm_fusion_args_devicePfj15HIP_vector_typeIjLj3EEjjjS8_jjjS8_jjjj
                                        ; -- End function
	.section	.AMDGPU.csdata,"",@progbits
; Kernel info:
; codeLenInByte = 2892
; NumSgprs: 50
; NumVgprs: 43
; NumAgprs: 0
; TotalNumVgprs: 43
; ScratchSize: 0
; MemoryBound: 0
; FloatMode: 240
; IeeeMode: 1
; LDSByteSize: 512 bytes/workgroup (compile time only)
; SGPRBlocks: 6
; VGPRBlocks: 5
; NumSGPRsForWavesPerEU: 50
; NumVGPRsForWavesPerEU: 43
; AccumOffset: 44
; Occupancy: 8
; WaveLimiterHint : 0
; COMPUTE_PGM_RSRC2:SCRATCH_EN: 0
; COMPUTE_PGM_RSRC2:USER_SGPR: 2
; COMPUTE_PGM_RSRC2:TRAP_HANDLER: 0
; COMPUTE_PGM_RSRC2:TGID_X_EN: 1
; COMPUTE_PGM_RSRC2:TGID_Y_EN: 1
; COMPUTE_PGM_RSRC2:TGID_Z_EN: 1
; COMPUTE_PGM_RSRC2:TIDIG_COMP_CNT: 1
; COMPUTE_PGM_RSRC3_GFX90A:ACCUM_OFFSET: 10
; COMPUTE_PGM_RSRC3_GFX90A:TG_SPLIT: 0
	.section	.text._ZL13mul_mat_vec_qIL9ggml_type19ELi1ELb0ELb0EEvPKvS2_PKi31ggml_cuda_mm_fusion_args_devicePfj15HIP_vector_typeIjLj3EEjjjS8_jjjS8_jjjj,"axG",@progbits,_ZL13mul_mat_vec_qIL9ggml_type19ELi1ELb0ELb0EEvPKvS2_PKi31ggml_cuda_mm_fusion_args_devicePfj15HIP_vector_typeIjLj3EEjjjS8_jjjS8_jjjj,comdat
	.globl	_ZL13mul_mat_vec_qIL9ggml_type19ELi1ELb0ELb0EEvPKvS2_PKi31ggml_cuda_mm_fusion_args_devicePfj15HIP_vector_typeIjLj3EEjjjS8_jjjS8_jjjj ; -- Begin function _ZL13mul_mat_vec_qIL9ggml_type19ELi1ELb0ELb0EEvPKvS2_PKi31ggml_cuda_mm_fusion_args_devicePfj15HIP_vector_typeIjLj3EEjjjS8_jjjS8_jjjj
	.p2align	8
	.type	_ZL13mul_mat_vec_qIL9ggml_type19ELi1ELb0ELb0EEvPKvS2_PKi31ggml_cuda_mm_fusion_args_devicePfj15HIP_vector_typeIjLj3EEjjjS8_jjjS8_jjjj,@function
_ZL13mul_mat_vec_qIL9ggml_type19ELi1ELb0ELb0EEvPKvS2_PKi31ggml_cuda_mm_fusion_args_devicePfj15HIP_vector_typeIjLj3EEjjjS8_jjjS8_jjjj: ; @_ZL13mul_mat_vec_qIL9ggml_type19ELi1ELb0ELb0EEvPKvS2_PKi31ggml_cuda_mm_fusion_args_devicePfj15HIP_vector_typeIjLj3EEjjjS8_jjjS8_jjjj
; %bb.0:
	s_load_dwordx2 s[8:9], s[0:1], 0x10
	s_load_dwordx4 s[16:19], s[0:1], 0x40
	s_mov_b32 s20, s3
	s_mov_b64 s[12:13], 0
	s_waitcnt lgkmcnt(0)
	s_cmp_lg_u64 s[8:9], 0
	s_cselect_b64 s[6:7], -1, 0
	s_cmp_eq_u64 s[8:9], 0
	s_cbranch_scc1 .LBB208_5
; %bb.1:
	s_mov_b32 s21, 0
	s_lshl_b64 s[10:11], s[20:21], 2
	s_add_u32 s8, s8, s10
	s_addc_u32 s9, s9, s11
	s_load_dword s5, s[8:9], 0x0
	s_nop 0
	s_load_dwordx4 s[8:11], s[0:1], 0x68
	s_load_dword s21, s[0:1], 0x50
	s_andn2_b64 vcc, exec, s[12:13]
	s_cbranch_vccnz .LBB208_3
.LBB208_2:
	s_load_dwordx2 s[12:13], s[0:1], 0x5c
	s_waitcnt lgkmcnt(0)
	s_mul_hi_u32 s3, s12, s20
	s_add_i32 s3, s20, s3
	s_lshr_b32 s5, s3, s13
.LBB208_3:
	s_load_dword s22, s[0:1], 0x78
	s_andn2_b64 vcc, exec, s[6:7]
	s_cbranch_vccnz .LBB208_6
; %bb.4:
	s_mul_hi_u32 s3, s17, s20
	s_add_i32 s3, s20, s3
	s_lshr_b32 s3, s3, s18
	s_mul_i32 s3, s3, s19
	s_sub_i32 s23, s20, s3
	s_branch .LBB208_7
.LBB208_5:
                                        ; implicit-def: $sgpr5
	s_load_dwordx4 s[8:11], s[0:1], 0x68
	s_load_dword s21, s[0:1], 0x50
	s_branch .LBB208_2
.LBB208_6:
	s_mov_b32 s23, s20
.LBB208_7:
	s_load_dwordx4 s[12:15], s[0:1], 0x80
	v_bfe_u32 v7, v0, 10, 10
	v_and_b32_e32 v6, 0x3ff, v0
	v_lshl_add_u32 v0, v7, 6, v6
	s_lshr_b32 s3, s16, 8
	v_lshrrev_b32_e32 v8, 3, v0
	v_cmp_gt_u32_e32 vcc, s3, v8
	v_mov_b32_e32 v9, 0
	s_and_saveexec_b64 s[6:7], vcc
	s_cbranch_execz .LBB208_11
; %bb.8:
	s_waitcnt lgkmcnt(0)
	s_mul_i32 s5, s5, s8
	s_mul_hi_u32 s8, s11, s4
	s_add_i32 s8, s4, s8
	s_lshr_b32 s8, s8, s22
	s_mul_i32 s9, s23, s9
	s_mul_i32 s8, s8, s12
	s_load_dwordx4 s[16:19], s[0:1], 0x0
	s_add_i32 s5, s8, s5
	s_mul_hi_u32 s8, s9, 36
	s_mul_i32 s9, s9, 36
	v_lshrrev_b32_e32 v0, 3, v0
	v_mov_b32_e32 v2, s9
	v_mov_b32_e32 v3, s8
	s_movk_i32 s8, 0x120
	s_mul_i32 s13, s4, s13
	v_mad_u64_u32 v[2:3], s[8:9], v0, s8, v[2:3]
	v_and_b32_e32 v4, 7, v6
	v_mad_u64_u32 v[2:3], s[8:9], s13, 36, v[2:3]
	v_mad_u64_u32 v[2:3], s[8:9], v4, 36, v[2:3]
	s_mul_i32 s15, s2, s21
	v_lshlrev_b32_e32 v10, 1, v4
	v_mov_b32_e32 v1, 0
	s_waitcnt lgkmcnt(0)
	v_lshl_add_u64 v[2:3], v[2:3], 0, s[18:19]
	s_add_i32 s5, s5, s15
	v_lshl_add_u64 v[2:3], v[2:3], 0, 16
	s_mov_b64 s[8:9], 0
	v_lshlrev_b32_e32 v0, 1, v10
	v_lshlrev_b32_e32 v4, 1, v4
	s_movk_i32 s11, 0x700
	v_mov_b32_e32 v10, 0xbf600000
	s_mov_b64 s[12:13], 0x1200
	v_mov_b32_e32 v5, v1
	v_mov_b32_e32 v9, v1
.LBB208_9:                              ; =>This Inner Loop Header: Depth=1
	v_add_u32_e32 v11, s5, v8
	v_mad_i64_i32 v[20:21], s[18:19], v11, 50, s[16:17]
	v_lshl_add_u64 v[12:13], v[20:21], 0, v[0:1]
	v_lshl_add_u64 v[14:15], v[20:21], 0, v[4:5]
	global_load_dword v11, v[12:13], off offset:2
	global_load_ushort v22, v[14:15], off offset:34
	s_nop 0
	global_load_dwordx4 v[12:15], v[2:3], off offset:-16
	global_load_dwordx4 v[16:19], v[2:3], off
	global_load_ushort v23, v[20:21], off
	s_getpc_b64 s[18:19]
	s_add_u32 s18, s18, _ZL13iq1s_grid_gpu@rel32@lo+4
	s_addc_u32 s19, s19, _ZL13iq1s_grid_gpu@rel32@hi+12
	v_add_u32_e32 v8, 16, v8
	v_cmp_le_u32_e32 vcc, s3, v8
	s_or_b64 s[8:9], vcc, s[8:9]
	s_waitcnt vmcnt(4)
	v_and_b32_e32 v24, 0xff, v11
	s_waitcnt vmcnt(3)
	v_lshlrev_b32_e32 v25, 8, v22
	v_lshrrev_b16_e32 v20, 8, v11
	v_lshrrev_b32_e32 v21, 24, v11
	v_lshlrev_b32_e32 v26, 5, v22
	v_bfe_u32 v11, v11, 16, 8
	v_lshlrev_b32_e32 v27, 2, v22
	v_lshrrev_b32_e32 v28, 1, v22
	v_and_or_b32 v24, v25, s11, v24
	v_and_or_b32 v20, v26, s11, v20
	;; [unrolled: 1-line block ×4, first 2 shown]
	v_lshlrev_b32_e32 v24, 2, v24
	v_lshlrev_b32_e32 v20, 2, v20
	;; [unrolled: 1-line block ×4, first 2 shown]
	global_load_dword v25, v24, s[18:19]
	global_load_dword v26, v20, s[18:19]
	;; [unrolled: 1-line block ×4, first 2 shown]
	global_load_dword v29, v[2:3], off offset:16
	s_waitcnt vmcnt(7)
	v_cvt_f32_f16_sdwa v21, v12 dst_sel:DWORD dst_unused:UNUSED_PAD src0_sel:WORD_1
	v_cvt_f32_f16_e32 v20, v12
	v_lshrrev_b32_e32 v12, 11, v22
	v_mov_b32_e32 v11, 0
	v_and_or_b32 v24, v12, 14, 1
	v_and_b32_e32 v22, 0x8000, v22
	v_cvt_f32_u32_e32 v22, v22
	s_waitcnt vmcnt(5)
	v_cvt_f32_f16_e32 v23, v23
	v_lshl_add_u64 v[2:3], v[2:3], 0, s[12:13]
	s_waitcnt vmcnt(4)
	v_and_b32_e32 v12, 0xf0f0f0f, v25
	v_lshrrev_b32_e32 v25, 4, v25
	v_and_b32_e32 v25, 0xf0f0f0f, v25
	v_dot4c_i32_i8_e32 v11, v12, v13
	s_waitcnt vmcnt(3)
	v_and_b32_e32 v30, 0xf0f0f0f, v26
	v_lshrrev_b32_e32 v26, 4, v26
	v_dot4c_i32_i8_e32 v11, v25, v14
	v_and_b32_e32 v12, 0xf0f0f0f, v26
	v_dot4c_i32_i8_e32 v11, v30, v15
	s_waitcnt vmcnt(2)
	v_and_b32_e32 v31, 0xf0f0f0f, v27
	v_lshrrev_b32_e32 v27, 4, v27
	v_dot4c_i32_i8_e32 v11, v12, v16
	;; [unrolled: 6-line block ×3, first 2 shown]
	v_and_b32_e32 v26, 0xf0f0f0f, v28
	v_dot4c_i32_i8_e32 v11, v32, v19
	s_waitcnt vmcnt(0)
	v_dot4c_i32_i8_e32 v11, v26, v29
	v_fmamk_f32 v13, v22, 0xb7000000, v10
	s_nop 1
	v_cvt_f32_i32_e32 v12, v11
	v_cvt_f32_ubyte0_e32 v11, v24
	v_mul_f32_e32 v11, v11, v23
	v_pk_mul_f32 v[12:13], v[12:13], v[20:21]
	s_nop 0
	v_add_f32_e32 v12, v12, v13
	v_fmac_f32_e32 v9, v11, v12
	s_andn2_b64 exec, exec, s[8:9]
	s_cbranch_execnz .LBB208_9
; %bb.10:
	s_or_b64 exec, exec, s[8:9]
.LBB208_11:
	s_or_b64 exec, exec, s[6:7]
	v_cmp_eq_u32_e32 vcc, 0, v7
	v_cmp_ne_u32_e64 s[6:7], 0, v7
	v_lshlrev_b32_e32 v0, 2, v6
	s_waitcnt lgkmcnt(0)
	s_and_saveexec_b64 s[8:9], s[6:7]
	s_cbranch_execz .LBB208_13
; %bb.12:
	v_lshlrev_b32_e32 v1, 8, v7
	s_movk_i32 s3, 0xff00
	v_add3_u32 v1, v1, v0, s3
	ds_write_b32 v1, v9
.LBB208_13:
	s_or_b64 exec, exec, s[8:9]
	s_waitcnt lgkmcnt(0)
	s_barrier
	s_and_saveexec_b64 s[6:7], vcc
	s_cbranch_execz .LBB208_16
; %bb.14:
	v_mbcnt_lo_u32_b32 v1, -1, 0
	ds_read_b32 v0, v0
	v_mbcnt_hi_u32_b32 v1, -1, v1
	v_and_b32_e32 v2, 64, v1
	v_add_u32_e32 v2, 64, v2
	v_xor_b32_e32 v3, 32, v1
	v_cmp_lt_i32_e32 vcc, v3, v2
	s_waitcnt lgkmcnt(0)
	v_add_f32_e32 v0, v9, v0
	s_mov_b32 s3, 0
	v_cndmask_b32_e32 v3, v1, v3, vcc
	v_lshlrev_b32_e32 v3, 2, v3
	ds_bpermute_b32 v3, v3, v0
	s_waitcnt lgkmcnt(0)
	v_add_f32_e32 v0, v0, v3
	v_xor_b32_e32 v3, 16, v1
	v_cmp_lt_i32_e32 vcc, v3, v2
	s_nop 1
	v_cndmask_b32_e32 v3, v1, v3, vcc
	v_lshlrev_b32_e32 v3, 2, v3
	ds_bpermute_b32 v3, v3, v0
	s_waitcnt lgkmcnt(0)
	v_add_f32_e32 v0, v0, v3
	v_xor_b32_e32 v3, 8, v1
	v_cmp_lt_i32_e32 vcc, v3, v2
	s_nop 1
	;; [unrolled: 8-line block ×5, first 2 shown]
	v_cndmask_b32_e32 v1, v1, v3, vcc
	v_lshlrev_b32_e32 v1, 2, v1
	ds_bpermute_b32 v1, v1, v0
	v_cmp_eq_u32_e32 vcc, 0, v6
	s_and_b64 exec, exec, vcc
	s_cbranch_execz .LBB208_16
; %bb.15:
	s_load_dwordx2 s[0:1], s[0:1], 0x38
	s_mul_i32 s5, s20, s10
	s_mul_i32 s4, s4, s14
	s_add_i32 s2, s5, s2
	s_add_i32 s2, s2, s4
	s_lshl_b64 s[2:3], s[2:3], 2
	s_waitcnt lgkmcnt(0)
	s_add_u32 s0, s0, s2
	s_addc_u32 s1, s1, s3
	v_mov_b32_e32 v2, 0
	v_add_f32_e32 v0, v0, v1
	global_store_dword v2, v0, s[0:1]
.LBB208_16:
	s_endpgm
	.section	.rodata,"a",@progbits
	.p2align	6, 0x0
	.amdhsa_kernel _ZL13mul_mat_vec_qIL9ggml_type19ELi1ELb0ELb0EEvPKvS2_PKi31ggml_cuda_mm_fusion_args_devicePfj15HIP_vector_typeIjLj3EEjjjS8_jjjS8_jjjj
		.amdhsa_group_segment_fixed_size 256
		.amdhsa_private_segment_fixed_size 0
		.amdhsa_kernarg_size 144
		.amdhsa_user_sgpr_count 2
		.amdhsa_user_sgpr_dispatch_ptr 0
		.amdhsa_user_sgpr_queue_ptr 0
		.amdhsa_user_sgpr_kernarg_segment_ptr 1
		.amdhsa_user_sgpr_dispatch_id 0
		.amdhsa_user_sgpr_kernarg_preload_length 0
		.amdhsa_user_sgpr_kernarg_preload_offset 0
		.amdhsa_user_sgpr_private_segment_size 0
		.amdhsa_uses_dynamic_stack 0
		.amdhsa_enable_private_segment 0
		.amdhsa_system_sgpr_workgroup_id_x 1
		.amdhsa_system_sgpr_workgroup_id_y 1
		.amdhsa_system_sgpr_workgroup_id_z 1
		.amdhsa_system_sgpr_workgroup_info 0
		.amdhsa_system_vgpr_workitem_id 1
		.amdhsa_next_free_vgpr 33
		.amdhsa_next_free_sgpr 24
		.amdhsa_accum_offset 36
		.amdhsa_reserve_vcc 1
		.amdhsa_float_round_mode_32 0
		.amdhsa_float_round_mode_16_64 0
		.amdhsa_float_denorm_mode_32 3
		.amdhsa_float_denorm_mode_16_64 3
		.amdhsa_dx10_clamp 1
		.amdhsa_ieee_mode 1
		.amdhsa_fp16_overflow 0
		.amdhsa_tg_split 0
		.amdhsa_exception_fp_ieee_invalid_op 0
		.amdhsa_exception_fp_denorm_src 0
		.amdhsa_exception_fp_ieee_div_zero 0
		.amdhsa_exception_fp_ieee_overflow 0
		.amdhsa_exception_fp_ieee_underflow 0
		.amdhsa_exception_fp_ieee_inexact 0
		.amdhsa_exception_int_div_zero 0
	.end_amdhsa_kernel
	.section	.text._ZL13mul_mat_vec_qIL9ggml_type19ELi1ELb0ELb0EEvPKvS2_PKi31ggml_cuda_mm_fusion_args_devicePfj15HIP_vector_typeIjLj3EEjjjS8_jjjS8_jjjj,"axG",@progbits,_ZL13mul_mat_vec_qIL9ggml_type19ELi1ELb0ELb0EEvPKvS2_PKi31ggml_cuda_mm_fusion_args_devicePfj15HIP_vector_typeIjLj3EEjjjS8_jjjS8_jjjj,comdat
.Lfunc_end208:
	.size	_ZL13mul_mat_vec_qIL9ggml_type19ELi1ELb0ELb0EEvPKvS2_PKi31ggml_cuda_mm_fusion_args_devicePfj15HIP_vector_typeIjLj3EEjjjS8_jjjS8_jjjj, .Lfunc_end208-_ZL13mul_mat_vec_qIL9ggml_type19ELi1ELb0ELb0EEvPKvS2_PKi31ggml_cuda_mm_fusion_args_devicePfj15HIP_vector_typeIjLj3EEjjjS8_jjjS8_jjjj
                                        ; -- End function
	.section	.AMDGPU.csdata,"",@progbits
; Kernel info:
; codeLenInByte = 1296
; NumSgprs: 30
; NumVgprs: 33
; NumAgprs: 0
; TotalNumVgprs: 33
; ScratchSize: 0
; MemoryBound: 0
; FloatMode: 240
; IeeeMode: 1
; LDSByteSize: 256 bytes/workgroup (compile time only)
; SGPRBlocks: 3
; VGPRBlocks: 4
; NumSGPRsForWavesPerEU: 30
; NumVGPRsForWavesPerEU: 33
; AccumOffset: 36
; Occupancy: 8
; WaveLimiterHint : 0
; COMPUTE_PGM_RSRC2:SCRATCH_EN: 0
; COMPUTE_PGM_RSRC2:USER_SGPR: 2
; COMPUTE_PGM_RSRC2:TRAP_HANDLER: 0
; COMPUTE_PGM_RSRC2:TGID_X_EN: 1
; COMPUTE_PGM_RSRC2:TGID_Y_EN: 1
; COMPUTE_PGM_RSRC2:TGID_Z_EN: 1
; COMPUTE_PGM_RSRC2:TIDIG_COMP_CNT: 1
; COMPUTE_PGM_RSRC3_GFX90A:ACCUM_OFFSET: 8
; COMPUTE_PGM_RSRC3_GFX90A:TG_SPLIT: 0
	.section	.text._ZL13mul_mat_vec_qIL9ggml_type19ELi2ELb0ELb0EEvPKvS2_PKi31ggml_cuda_mm_fusion_args_devicePfj15HIP_vector_typeIjLj3EEjjjS8_jjjS8_jjjj,"axG",@progbits,_ZL13mul_mat_vec_qIL9ggml_type19ELi2ELb0ELb0EEvPKvS2_PKi31ggml_cuda_mm_fusion_args_devicePfj15HIP_vector_typeIjLj3EEjjjS8_jjjS8_jjjj,comdat
	.globl	_ZL13mul_mat_vec_qIL9ggml_type19ELi2ELb0ELb0EEvPKvS2_PKi31ggml_cuda_mm_fusion_args_devicePfj15HIP_vector_typeIjLj3EEjjjS8_jjjS8_jjjj ; -- Begin function _ZL13mul_mat_vec_qIL9ggml_type19ELi2ELb0ELb0EEvPKvS2_PKi31ggml_cuda_mm_fusion_args_devicePfj15HIP_vector_typeIjLj3EEjjjS8_jjjS8_jjjj
	.p2align	8
	.type	_ZL13mul_mat_vec_qIL9ggml_type19ELi2ELb0ELb0EEvPKvS2_PKi31ggml_cuda_mm_fusion_args_devicePfj15HIP_vector_typeIjLj3EEjjjS8_jjjS8_jjjj,@function
_ZL13mul_mat_vec_qIL9ggml_type19ELi2ELb0ELb0EEvPKvS2_PKi31ggml_cuda_mm_fusion_args_devicePfj15HIP_vector_typeIjLj3EEjjjS8_jjjS8_jjjj: ; @_ZL13mul_mat_vec_qIL9ggml_type19ELi2ELb0ELb0EEvPKvS2_PKi31ggml_cuda_mm_fusion_args_devicePfj15HIP_vector_typeIjLj3EEjjjS8_jjjS8_jjjj
; %bb.0:
	s_load_dwordx2 s[20:21], s[0:1], 0x4
	s_load_dword s22, s[2:3], 0x40
	s_load_dwordx4 s[8:11], s[2:3], 0x50
	s_load_dword s27, s[2:3], 0x60
	s_load_dwordx4 s[12:15], s[2:3], 0x68
	;; [unrolled: 2-line block ×3, first 2 shown]
	s_waitcnt lgkmcnt(0)
	s_lshr_b32 s0, s20, 16
	v_bfe_u32 v19, v0, 10, 10
	v_and_b32_e32 v9, 0x3ff, v0
	s_mul_i32 s0, s0, s21
	v_mul_u32_u24_e32 v1, s21, v19
	v_mad_u32_u24 v1, s0, v9, v1
	v_bfe_u32 v0, v0, 20, 10
	v_lshl_add_u32 v5, v19, 6, v9
	v_add_lshl_u32 v4, v1, v0, 4
	s_lshr_b32 s19, s22, 8
	v_mov_b32_e32 v0, 0
	v_lshrrev_b32_e32 v20, 3, v5
	v_add_u32_e32 v18, 0x400, v4
	s_lshl_b32 s7, s4, 1
	v_mov_b32_e32 v1, v0
	v_mov_b32_e32 v2, v0
	;; [unrolled: 1-line block ×3, first 2 shown]
	v_cmp_gt_u32_e32 vcc, s19, v20
	ds_write_b128 v4, v[0:3] offset:1024
	s_and_saveexec_b64 s[0:1], vcc
	s_cbranch_execz .LBB209_4
; %bb.1:
	s_load_dwordx4 s[20:23], s[2:3], 0x0
	s_mul_i32 s4, s6, s17
	s_mul_i32 s24, s4, 36
	s_mul_i32 s13, s5, s13
	s_mul_hi_u32 s17, s4, 36
	s_waitcnt lgkmcnt(0)
	s_add_u32 s24, s22, s24
	s_addc_u32 s17, s23, s17
	s_mul_i32 s28, s13, 36
	s_mul_hi_u32 s29, s13, 36
	s_add_u32 s24, s24, s28
	s_mul_hi_u32 s11, s11, s5
	s_addc_u32 s25, s17, s29
	s_add_i32 s11, s5, s11
	s_lshr_b32 s11, s11, s27
	s_mul_i32 s11, s11, s12
	s_mul_hi_u32 s12, s15, s6
	s_add_i32 s12, s6, s12
	s_lshr_b32 s12, s12, s26
	s_mul_i32 s12, s12, s16
	s_add_i32 s15, s12, s11
	s_add_i32 s12, s7, 1
	s_mul_i32 s13, s7, s8
	s_mul_i32 s8, s8, s12
	s_add_i32 s11, s15, s13
	s_add_i32 s15, s15, s8
	s_movk_i32 s8, 0x120
	v_mov_b64_e32 v[2:3], s[28:29]
	v_lshl_add_u32 v21, v20, 3, s9
	v_mad_u64_u32 v[2:3], s[8:9], v20, s8, v[2:3]
	v_and_b32_e32 v8, 7, v9
	v_mad_u64_u32 v[2:3], s[8:9], s4, 36, v[2:3]
	v_mad_u64_u32 v[2:3], s[8:9], v8, 36, v[2:3]
	v_lshlrev_b32_e32 v0, 1, v8
	v_mov_b32_e32 v11, 0
	v_lshl_add_u64 v[2:3], v[2:3], 0, s[22:23]
	s_mov_b32 s12, 0xbf600000
	v_lshl_add_u64 v[12:13], v[2:3], 0, 16
	s_mov_b64 s[8:9], 0
	v_lshlrev_b32_e32 v10, 1, v0
	v_lshlrev_b32_e32 v14, 1, v8
	s_mov_b32 s22, 0x5040100
	s_movk_i32 s23, 0x700
	s_mov_b32 s26, 0x8000
	s_mov_b32 s4, 0x37000000
	v_mov_b64_e32 v[16:17], s[12:13]
	s_mov_b64 s[12:13], 0x1200
	v_mov_b32_e32 v15, v11
	v_mov_b32_e32 v22, 8
	;; [unrolled: 1-line block ×10, first 2 shown]
.LBB209_2:                              ; =>This Inner Loop Header: Depth=1
	v_add_u32_e32 v27, s11, v20
	global_load_dwordx4 v[4:7], v[12:13], off
	global_load_dwordx4 v[28:31], v[12:13], off offset:-16
	v_add_u32_e32 v36, s15, v20
	v_mad_i64_i32 v[34:35], s[28:29], v27, 50, s[20:21]
	v_mad_i64_i32 v[36:37], s[28:29], v36, 50, s[20:21]
	v_lshl_add_u64 v[38:39], v[34:35], 0, v[10:11]
	v_lshl_add_u64 v[40:41], v[34:35], 0, v[14:15]
	;; [unrolled: 1-line block ×4, first 2 shown]
	global_load_dword v27, v[38:39], off offset:2
	global_load_dword v50, v[42:43], off offset:2
	global_load_ushort v51, v[40:41], off offset:34
	global_load_ushort v52, v[44:45], off offset:34
	global_load_ushort v53, v[36:37], off
	global_load_ushort v54, v[34:35], off
	s_getpc_b64 s[16:17]
	s_add_u32 s16, s16, _ZL13iq1s_grid_gpu@rel32@lo+4
	s_addc_u32 s17, s17, _ZL13iq1s_grid_gpu@rel32@hi+12
	v_mov_b32_e32 v46, 0
	v_mov_b32_e32 v47, 0
	v_mad_u64_u32 v[32:33], s[28:29], v21, 36, s[24:25]
	v_mad_u64_u32 v[32:33], s[28:29], v8, 36, v[32:33]
	v_mov_b32_e32 v48, 0
	v_mov_b32_e32 v49, 0
	v_add_u32_e32 v20, 16, v20
	v_cmp_le_u32_e32 vcc, s19, v20
	v_add_u32_e32 v21, 0x80, v21
	s_or_b64 s[8:9], vcc, s[8:9]
	s_waitcnt vmcnt(6)
	v_cvt_f32_f16_e32 v34, v28
	v_cvt_f32_f16_sdwa v36, v28 dst_sel:DWORD dst_unused:UNUSED_PAD src0_sel:WORD_1
	s_waitcnt vmcnt(5)
	v_lshrrev_b16_e32 v28, 8, v27
	v_lshrrev_b32_e32 v35, 24, v27
	v_and_b32_e32 v37, 0xff, v27
	v_bfe_u32 v27, v27, 16, 8
	s_waitcnt vmcnt(3)
	v_lshlrev_b32_sdwa v42, v22, v51 dst_sel:DWORD dst_unused:UNUSED_PAD src0_sel:DWORD src1_sel:WORD_0
	v_lshlrev_b32_sdwa v43, v23, v51 dst_sel:DWORD dst_unused:UNUSED_PAD src0_sel:DWORD src1_sel:WORD_0
	;; [unrolled: 1-line block ×3, first 2 shown]
	v_lshrrev_b16_e32 v38, 8, v50
	v_lshrrev_b32_e32 v39, 24, v50
	v_and_b32_e32 v40, 0xff, v50
	v_bfe_u32 v41, v50, 16, 8
	v_lshrrev_b32_sdwa v45, v25, v51 dst_sel:DWORD dst_unused:UNUSED_PAD src0_sel:DWORD src1_sel:WORD_0
	s_waitcnt vmcnt(2)
	v_lshlrev_b32_sdwa v50, v22, v52 dst_sel:DWORD dst_unused:UNUSED_PAD src0_sel:DWORD src1_sel:WORD_0
	v_and_or_b32 v37, v42, s23, v37
	v_lshlrev_b32_sdwa v42, v23, v52 dst_sel:DWORD dst_unused:UNUSED_PAD src0_sel:DWORD src1_sel:WORD_0
	v_and_or_b32 v28, v43, s23, v28
	;; [unrolled: 2-line block ×3, first 2 shown]
	v_lshrrev_b32_sdwa v44, v25, v52 dst_sel:DWORD dst_unused:UNUSED_PAD src0_sel:DWORD src1_sel:WORD_0
	v_and_or_b32 v35, v45, s23, v35
	v_and_or_b32 v40, v50, s23, v40
	;; [unrolled: 1-line block ×5, first 2 shown]
	v_lshlrev_b32_e32 v37, 2, v37
	v_lshlrev_b32_e32 v28, 2, v28
	;; [unrolled: 1-line block ×8, first 2 shown]
	global_load_dword v42, v37, s[16:17]
	global_load_dword v43, v28, s[16:17]
	;; [unrolled: 1-line block ×8, first 2 shown]
	s_waitcnt vmcnt(9)
	v_cvt_f32_f16_e32 v39, v53
	s_waitcnt vmcnt(7)
	v_and_b32_e32 v27, 0xf0f0f0f, v42
	v_lshrrev_b32_e32 v28, 4, v42
	s_waitcnt vmcnt(5)
	v_and_b32_e32 v37, 0xf0f0f0f, v44
	v_lshrrev_b32_e32 v38, 4, v44
	v_dot4c_i32_i8_e32 v46, v27, v29
	v_and_b32_e32 v42, 0xf0f0f0f, v28
	v_dot4c_i32_i8_e32 v47, v37, v29
	v_and_b32_e32 v44, 0xf0f0f0f, v38
	v_and_b32_e32 v35, 0xf0f0f0f, v43
	s_waitcnt vmcnt(4)
	v_and_b32_e32 v41, 0xf0f0f0f, v50
	v_dot4c_i32_i8_e32 v46, v42, v30
	v_dot4c_i32_i8_e32 v47, v44, v30
	;; [unrolled: 1-line block ×4, first 2 shown]
	global_load_dwordx4 v[28:31], v[32:33], off
	v_cvt_f32_f16_e32 v38, v54
	v_lshrrev_b32_e32 v50, 4, v50
	v_and_b32_e32 v50, 0xf0f0f0f, v50
	v_dot4c_i32_i8_e32 v47, v50, v4
	s_waitcnt vmcnt(0)
	v_dot4c_i32_i8_e32 v48, v27, v29
	v_dot4c_i32_i8_e32 v49, v37, v29
	v_cvt_f32_f16_e32 v40, v28
	v_dot4c_i32_i8_e32 v48, v42, v30
	v_cvt_f32_f16_sdwa v42, v28 dst_sel:DWORD dst_unused:UNUSED_PAD src0_sel:WORD_1
	v_dot4c_i32_i8_e32 v49, v44, v30
	v_perm_b32 v27, v52, v51, s22
	v_lshrrev_b32_sdwa v28, v26, v52 dst_sel:DWORD dst_unused:UNUSED_PAD src0_sel:DWORD src1_sel:WORD_0
	v_lshrrev_b32_sdwa v29, v26, v51 dst_sel:DWORD dst_unused:UNUSED_PAD src0_sel:DWORD src1_sel:WORD_0
	v_dot4c_i32_i8_e32 v48, v35, v31
	v_dot4c_i32_i8_e32 v49, v41, v31
	v_and_or_b32 v30, v29, 14, 1
	v_and_or_b32 v28, v28, 14, 1
	v_pk_lshrrev_b16 v31, 11, v27 op_sel_hi:[0,1]
	v_cvt_f32_ubyte0_e32 v29, v28
	v_cvt_f32_ubyte0_e32 v28, v30
	v_and_b32_e32 v30, 0xe000e, v31
	v_or_b32_e32 v30, 0x10001, v30
	v_pk_mul_f32 v[44:45], v[28:29], v[38:39]
	v_cvt_f32_ubyte2_e32 v29, v30
	v_cvt_f32_ubyte0_e32 v28, v30
	v_pk_mul_f32 v[38:39], v[28:29], v[38:39]
	global_load_dwordx4 v[28:31], v[32:33], off offset:16
	global_load_dword v35, v[32:33], off offset:32
	global_load_dword v41, v[12:13], off offset:16
	v_and_b32_sdwa v32, v51, s26 dst_sel:DWORD dst_unused:UNUSED_PAD src0_sel:WORD_0 src1_sel:DWORD
	v_and_b32_sdwa v33, v52, s26 dst_sel:DWORD dst_unused:UNUSED_PAD src0_sel:WORD_0 src1_sel:DWORD
	v_cvt_f32_u32_e32 v33, v33
	v_cvt_f32_u32_e32 v32, v32
	v_and_b32_e32 v27, 0x80008000, v27
	v_lshrrev_b32_e32 v51, 4, v55
	v_and_b32_e32 v51, 0xf0f0f0f, v51
	v_pk_fma_f32 v[32:33], v[32:33], s[4:5], v[16:17] op_sel_hi:[1,0,0] neg_lo:[1,0,0] neg_hi:[1,0,0]
	v_lshrrev_b32_e32 v52, 4, v56
	v_pk_mul_f32 v[32:33], v[32:33], v[36:37] op_sel_hi:[1,0]
	v_cvt_f32_u32_sdwa v37, v27 dst_sel:DWORD dst_unused:UNUSED_PAD src0_sel:WORD_1
	v_and_b32_e32 v27, 0x8000, v27
	v_cvt_f32_u32_e32 v36, v27
	v_lshrrev_b32_e32 v27, 4, v43
	v_and_b32_e32 v27, 0xf0f0f0f, v27
	v_and_b32_e32 v43, 0xf0f0f0f, v55
	v_dot4c_i32_i8_e32 v46, v27, v4
	v_and_b32_e32 v4, 0xf0f0f0f, v57
	v_dot4c_i32_i8_e32 v46, v43, v5
	v_dot4c_i32_i8_e32 v47, v4, v5
	;; [unrolled: 1-line block ×3, first 2 shown]
	v_and_b32_e32 v52, 0xf0f0f0f, v52
	v_pk_fma_f32 v[36:37], v[36:37], s[4:5], v[16:17] op_sel_hi:[1,0,0] neg_lo:[1,0,0] neg_hi:[1,0,0]
	v_lshl_add_u64 v[12:13], v[12:13], 0, s[12:13]
	s_waitcnt vmcnt(2)
	v_dot4c_i32_i8_e32 v48, v27, v28
	v_dot4c_i32_i8_e32 v49, v50, v28
	v_lshrrev_b32_e32 v28, 4, v57
	v_dot4c_i32_i8_e32 v48, v43, v29
	v_and_b32_e32 v28, 0xf0f0f0f, v28
	v_dot4c_i32_i8_e32 v49, v4, v29
	v_and_b32_e32 v27, 0xf0f0f0f, v56
	v_and_b32_e32 v43, 0xf0f0f0f, v58
	v_lshrrev_b32_e32 v50, 4, v58
	v_dot4c_i32_i8_e32 v47, v28, v6
	v_dot4c_i32_i8_e32 v48, v51, v30
	;; [unrolled: 1-line block ×3, first 2 shown]
	v_and_b32_e32 v50, 0xf0f0f0f, v50
	v_dot4c_i32_i8_e32 v46, v27, v7
	v_dot4c_i32_i8_e32 v47, v43, v7
	;; [unrolled: 1-line block ×4, first 2 shown]
	s_waitcnt vmcnt(0)
	v_dot4c_i32_i8_e32 v46, v52, v41
	v_dot4c_i32_i8_e32 v47, v50, v41
	;; [unrolled: 1-line block ×4, first 2 shown]
	v_cvt_f32_i32_e32 v4, v46
	v_cvt_f32_i32_e32 v5, v47
	;; [unrolled: 1-line block ×4, first 2 shown]
	v_pk_mul_f32 v[28:29], v[36:37], v[42:43] op_sel_hi:[1,0]
	v_pk_fma_f32 v[4:5], v[34:35], v[4:5], v[32:33] op_sel_hi:[0,1,1]
	v_pk_fma_f32 v[2:3], v[44:45], v[4:5], v[2:3]
	v_pk_fma_f32 v[6:7], v[40:41], v[6:7], v[28:29] op_sel_hi:[0,1,1]
	v_pk_fma_f32 v[0:1], v[38:39], v[6:7], v[0:1]
	s_andn2_b64 exec, exec, s[8:9]
	s_cbranch_execnz .LBB209_2
; %bb.3:
	s_or_b64 exec, exec, s[8:9]
	v_mov_b32_e32 v4, v0
	v_mov_b32_e32 v5, v1
	ds_write_b128 v18, v[2:5]
.LBB209_4:
	s_or_b64 exec, exec, s[0:1]
	v_cmp_eq_u32_e32 vcc, 0, v19
	v_cmp_ne_u32_e64 s[0:1], 0, v19
	v_lshlrev_b32_e32 v4, 2, v9
	s_and_saveexec_b64 s[8:9], s[0:1]
	s_cbranch_execz .LBB209_6
; %bb.5:
	v_lshl_or_b32 v5, v19, 10, v4
	v_add_u32_e32 v5, 0xfffffc00, v5
	ds_write2st64_b32 v5, v2, v3 offset1:1
	ds_write2st64_b32 v5, v0, v1 offset0:2 offset1:3
.LBB209_6:
	s_or_b64 exec, exec, s[8:9]
	s_waitcnt lgkmcnt(0)
	s_barrier
	s_and_saveexec_b64 s[0:1], vcc
	s_cbranch_execz .LBB209_11
; %bb.7:
	v_mbcnt_lo_u32_b32 v0, -1, 0
	v_mbcnt_hi_u32_b32 v8, -1, v0
	ds_read2st64_b32 v[2:3], v4 offset1:1
	ds_read_b64 v[6:7], v18
	v_and_b32_e32 v0, 64, v8
	v_add_u32_e32 v14, 64, v0
	v_xor_b32_e32 v0, 32, v8
	v_cmp_lt_i32_e32 vcc, v0, v14
	s_waitcnt lgkmcnt(0)
	v_pk_add_f32 v[2:3], v[2:3], v[6:7]
	v_xor_b32_e32 v1, 16, v8
	v_cndmask_b32_e32 v0, v8, v0, vcc
	v_lshlrev_b32_e32 v0, 2, v0
	ds_bpermute_b32 v6, v0, v2
	ds_bpermute_b32 v7, v0, v3
	v_cmp_lt_i32_e32 vcc, v1, v14
	v_xor_b32_e32 v5, 2, v8
	s_load_dwordx2 s[0:1], s[2:3], 0x38
	v_cndmask_b32_e32 v1, v8, v1, vcc
	v_lshlrev_b32_e32 v1, 2, v1
	s_waitcnt lgkmcnt(0)
	v_pk_add_f32 v[6:7], v[2:3], v[6:7]
	ds_bpermute_b32 v10, v1, v6
	ds_bpermute_b32 v11, v1, v7
	v_xor_b32_e32 v2, 8, v8
	v_cmp_lt_i32_e32 vcc, v2, v14
	v_xor_b32_e32 v3, 4, v8
	s_mul_i32 s2, s5, s14
	v_cndmask_b32_e32 v2, v8, v2, vcc
	v_lshlrev_b32_e32 v2, 2, v2
	s_waitcnt lgkmcnt(0)
	v_pk_add_f32 v[6:7], v[6:7], v[10:11]
	ds_bpermute_b32 v10, v2, v6
	ds_bpermute_b32 v11, v2, v7
	v_cmp_lt_i32_e32 vcc, v3, v14
	s_mul_i32 s6, s6, s18
	s_add_i32 s2, s2, s7
	v_cndmask_b32_e32 v3, v8, v3, vcc
	v_lshlrev_b32_e32 v3, 2, v3
	s_waitcnt lgkmcnt(0)
	v_pk_add_f32 v[6:7], v[6:7], v[10:11]
	ds_bpermute_b32 v10, v3, v6
	ds_bpermute_b32 v11, v3, v7
	v_cmp_lt_i32_e32 vcc, v5, v14
	s_add_i32 s2, s2, s6
	s_mov_b32 s3, 0
	v_cndmask_b32_e32 v5, v8, v5, vcc
	v_lshlrev_b32_e32 v5, 2, v5
	s_waitcnt lgkmcnt(0)
	v_pk_add_f32 v[10:11], v[6:7], v[10:11]
	ds_bpermute_b32 v12, v5, v10
	ds_bpermute_b32 v13, v5, v11
	v_xor_b32_e32 v6, 1, v8
	v_cmp_lt_i32_e32 vcc, v6, v14
	s_lshl_b64 s[2:3], s[2:3], 2
	s_add_u32 s2, s0, s2
	v_cndmask_b32_e32 v6, v8, v6, vcc
	v_lshlrev_b32_e32 v6, 2, v6
	s_waitcnt lgkmcnt(0)
	v_pk_add_f32 v[10:11], v[10:11], v[12:13]
	ds_bpermute_b32 v12, v6, v10
	ds_bpermute_b32 v13, v6, v11
	v_or_b32_e32 v7, s7, v9
	s_addc_u32 s3, s1, s3
	v_cmp_gt_u32_e32 vcc, 2, v9
	v_cmp_gt_u32_e64 s[0:1], s10, v7
	s_and_b64 s[0:1], vcc, s[0:1]
	s_waitcnt lgkmcnt(0)
	v_pk_add_f32 v[10:11], v[10:11], v[12:13]
	ds_write_b64 v18, v[10:11]
	s_and_saveexec_b64 s[4:5], s[0:1]
	s_cbranch_execz .LBB209_9
; %bb.8:
	v_add_u32_e32 v7, v18, v4
	ds_read_b32 v7, v7
	s_waitcnt lgkmcnt(0)
	global_store_dword v4, v7, s[2:3]
.LBB209_9:
	s_or_b64 exec, exec, s[4:5]
	ds_read2st64_b32 v[10:11], v4 offset0:2 offset1:3
	ds_read_b64 v[12:13], v18 offset:8
	s_waitcnt lgkmcnt(0)
	v_pk_add_f32 v[10:11], v[10:11], v[12:13]
	ds_bpermute_b32 v12, v0, v10
	ds_bpermute_b32 v13, v0, v11
	s_waitcnt lgkmcnt(0)
	v_pk_add_f32 v[10:11], v[10:11], v[12:13]
	ds_bpermute_b32 v0, v1, v10
	ds_bpermute_b32 v1, v1, v11
	;; [unrolled: 4-line block ×6, first 2 shown]
	s_waitcnt lgkmcnt(0)
	v_pk_add_f32 v[0:1], v[0:1], v[2:3]
	ds_write_b64 v18, v[0:1] offset:8
	s_and_b64 exec, exec, s[0:1]
	s_cbranch_execz .LBB209_11
; %bb.10:
	v_lshl_add_u32 v0, v9, 2, v18
	ds_read_b32 v2, v0 offset:8
	v_add_u32_e32 v0, s10, v9
	v_mov_b32_e32 v1, 0
	v_lshl_add_u64 v[0:1], v[0:1], 2, s[2:3]
	s_waitcnt lgkmcnt(0)
	global_store_dword v[0:1], v2, off
.LBB209_11:
	s_endpgm
	.section	.rodata,"a",@progbits
	.p2align	6, 0x0
	.amdhsa_kernel _ZL13mul_mat_vec_qIL9ggml_type19ELi2ELb0ELb0EEvPKvS2_PKi31ggml_cuda_mm_fusion_args_devicePfj15HIP_vector_typeIjLj3EEjjjS8_jjjS8_jjjj
		.amdhsa_group_segment_fixed_size 3072
		.amdhsa_private_segment_fixed_size 0
		.amdhsa_kernarg_size 144
		.amdhsa_user_sgpr_count 4
		.amdhsa_user_sgpr_dispatch_ptr 1
		.amdhsa_user_sgpr_queue_ptr 0
		.amdhsa_user_sgpr_kernarg_segment_ptr 1
		.amdhsa_user_sgpr_dispatch_id 0
		.amdhsa_user_sgpr_kernarg_preload_length 0
		.amdhsa_user_sgpr_kernarg_preload_offset 0
		.amdhsa_user_sgpr_private_segment_size 0
		.amdhsa_uses_dynamic_stack 0
		.amdhsa_enable_private_segment 0
		.amdhsa_system_sgpr_workgroup_id_x 1
		.amdhsa_system_sgpr_workgroup_id_y 1
		.amdhsa_system_sgpr_workgroup_id_z 1
		.amdhsa_system_sgpr_workgroup_info 0
		.amdhsa_system_vgpr_workitem_id 2
		.amdhsa_next_free_vgpr 59
		.amdhsa_next_free_sgpr 30
		.amdhsa_accum_offset 60
		.amdhsa_reserve_vcc 1
		.amdhsa_float_round_mode_32 0
		.amdhsa_float_round_mode_16_64 0
		.amdhsa_float_denorm_mode_32 3
		.amdhsa_float_denorm_mode_16_64 3
		.amdhsa_dx10_clamp 1
		.amdhsa_ieee_mode 1
		.amdhsa_fp16_overflow 0
		.amdhsa_tg_split 0
		.amdhsa_exception_fp_ieee_invalid_op 0
		.amdhsa_exception_fp_denorm_src 0
		.amdhsa_exception_fp_ieee_div_zero 0
		.amdhsa_exception_fp_ieee_overflow 0
		.amdhsa_exception_fp_ieee_underflow 0
		.amdhsa_exception_fp_ieee_inexact 0
		.amdhsa_exception_int_div_zero 0
	.end_amdhsa_kernel
	.section	.text._ZL13mul_mat_vec_qIL9ggml_type19ELi2ELb0ELb0EEvPKvS2_PKi31ggml_cuda_mm_fusion_args_devicePfj15HIP_vector_typeIjLj3EEjjjS8_jjjS8_jjjj,"axG",@progbits,_ZL13mul_mat_vec_qIL9ggml_type19ELi2ELb0ELb0EEvPKvS2_PKi31ggml_cuda_mm_fusion_args_devicePfj15HIP_vector_typeIjLj3EEjjjS8_jjjS8_jjjj,comdat
.Lfunc_end209:
	.size	_ZL13mul_mat_vec_qIL9ggml_type19ELi2ELb0ELb0EEvPKvS2_PKi31ggml_cuda_mm_fusion_args_devicePfj15HIP_vector_typeIjLj3EEjjjS8_jjjS8_jjjj, .Lfunc_end209-_ZL13mul_mat_vec_qIL9ggml_type19ELi2ELb0ELb0EEvPKvS2_PKi31ggml_cuda_mm_fusion_args_devicePfj15HIP_vector_typeIjLj3EEjjjS8_jjjS8_jjjj
                                        ; -- End function
	.section	.AMDGPU.csdata,"",@progbits
; Kernel info:
; codeLenInByte = 2336
; NumSgprs: 36
; NumVgprs: 59
; NumAgprs: 0
; TotalNumVgprs: 59
; ScratchSize: 0
; MemoryBound: 0
; FloatMode: 240
; IeeeMode: 1
; LDSByteSize: 3072 bytes/workgroup (compile time only)
; SGPRBlocks: 4
; VGPRBlocks: 7
; NumSGPRsForWavesPerEU: 36
; NumVGPRsForWavesPerEU: 59
; AccumOffset: 60
; Occupancy: 8
; WaveLimiterHint : 0
; COMPUTE_PGM_RSRC2:SCRATCH_EN: 0
; COMPUTE_PGM_RSRC2:USER_SGPR: 4
; COMPUTE_PGM_RSRC2:TRAP_HANDLER: 0
; COMPUTE_PGM_RSRC2:TGID_X_EN: 1
; COMPUTE_PGM_RSRC2:TGID_Y_EN: 1
; COMPUTE_PGM_RSRC2:TGID_Z_EN: 1
; COMPUTE_PGM_RSRC2:TIDIG_COMP_CNT: 2
; COMPUTE_PGM_RSRC3_GFX90A:ACCUM_OFFSET: 14
; COMPUTE_PGM_RSRC3_GFX90A:TG_SPLIT: 0
	.section	.text._ZL13mul_mat_vec_qIL9ggml_type19ELi3ELb0ELb0EEvPKvS2_PKi31ggml_cuda_mm_fusion_args_devicePfj15HIP_vector_typeIjLj3EEjjjS8_jjjS8_jjjj,"axG",@progbits,_ZL13mul_mat_vec_qIL9ggml_type19ELi3ELb0ELb0EEvPKvS2_PKi31ggml_cuda_mm_fusion_args_devicePfj15HIP_vector_typeIjLj3EEjjjS8_jjjS8_jjjj,comdat
	.globl	_ZL13mul_mat_vec_qIL9ggml_type19ELi3ELb0ELb0EEvPKvS2_PKi31ggml_cuda_mm_fusion_args_devicePfj15HIP_vector_typeIjLj3EEjjjS8_jjjS8_jjjj ; -- Begin function _ZL13mul_mat_vec_qIL9ggml_type19ELi3ELb0ELb0EEvPKvS2_PKi31ggml_cuda_mm_fusion_args_devicePfj15HIP_vector_typeIjLj3EEjjjS8_jjjS8_jjjj
	.p2align	8
	.type	_ZL13mul_mat_vec_qIL9ggml_type19ELi3ELb0ELb0EEvPKvS2_PKi31ggml_cuda_mm_fusion_args_devicePfj15HIP_vector_typeIjLj3EEjjjS8_jjjS8_jjjj,@function
_ZL13mul_mat_vec_qIL9ggml_type19ELi3ELb0ELb0EEvPKvS2_PKi31ggml_cuda_mm_fusion_args_devicePfj15HIP_vector_typeIjLj3EEjjjS8_jjjS8_jjjj: ; @_ZL13mul_mat_vec_qIL9ggml_type19ELi3ELb0ELb0EEvPKvS2_PKi31ggml_cuda_mm_fusion_args_devicePfj15HIP_vector_typeIjLj3EEjjjS8_jjjS8_jjjj
; %bb.0:
	v_bfe_u32 v24, v0, 10, 10
	v_and_b32_e32 v15, 0x3ff, v0
	s_load_dword s6, s[0:1], 0x40
	s_load_dwordx4 s[8:11], s[0:1], 0x50
	s_load_dword s27, s[0:1], 0x60
	s_load_dwordx4 s[12:15], s[0:1], 0x68
	;; [unrolled: 2-line block ×3, first 2 shown]
	v_lshl_add_u32 v4, v24, 6, v15
	s_waitcnt lgkmcnt(0)
	s_lshr_b32 s19, s6, 8
	v_mov_b32_e32 v0, 0
	v_lshrrev_b32_e32 v25, 3, v4
	s_lshl_b32 s5, s2, 1
	v_mov_b32_e32 v1, v0
	v_mov_b32_e32 v2, v0
	;; [unrolled: 1-line block ×3, first 2 shown]
	v_cmp_gt_u32_e32 vcc, s19, v25
	v_mov_b32_e32 v4, v0
	v_mov_b32_e32 v5, v0
	scratch_store_dwordx2 off, v[0:1], off offset:16
	scratch_store_dwordx4 off, v[0:3], off
	s_and_saveexec_b64 s[6:7], vcc
	s_cbranch_execz .LBB210_4
; %bb.1:
	s_load_dwordx4 s[20:23], s[0:1], 0x0
	s_mul_i32 s2, s4, s17
	s_mul_i32 s24, s2, 36
	;; [unrolled: 1-line block ×3, first 2 shown]
	s_mul_hi_u32 s17, s2, 36
	s_waitcnt lgkmcnt(0)
	s_add_u32 s24, s22, s24
	s_addc_u32 s17, s23, s17
	s_mul_i32 s28, s13, 36
	s_mul_hi_u32 s29, s13, 36
	s_add_u32 s24, s24, s28
	s_mul_hi_u32 s11, s11, s3
	s_addc_u32 s25, s17, s29
	s_add_i32 s11, s3, s11
	s_lshr_b32 s11, s11, s27
	s_mul_i32 s11, s11, s12
	s_mul_hi_u32 s12, s15, s4
	s_add_i32 s12, s4, s12
	s_lshr_b32 s12, s12, s26
	s_mul_i32 s12, s12, s16
	s_add_i32 s15, s12, s11
	s_add_i32 s12, s5, 1
	s_mul_i32 s13, s5, s8
	s_mul_i32 s8, s8, s12
	s_add_i32 s11, s15, s13
	s_add_i32 s15, s15, s8
	v_lshlrev_b32_e32 v1, 3, v25
	s_movk_i32 s8, 0x120
	v_mov_b64_e32 v[2:3], s[28:29]
	v_add_u32_e32 v26, s9, v1
	v_lshl_add_u32 v27, s9, 1, v1
	v_mad_u64_u32 v[2:3], s[8:9], v25, s8, v[2:3]
	v_and_b32_e32 v14, 7, v15
	v_mad_u64_u32 v[2:3], s[8:9], s2, 36, v[2:3]
	v_mad_u64_u32 v[2:3], s[8:9], v14, 36, v[2:3]
	v_lshlrev_b32_e32 v0, 1, v14
	v_mov_b32_e32 v17, 0
	v_lshl_add_u64 v[2:3], v[2:3], 0, s[22:23]
	s_mov_b32 s12, 0xbf600000
	v_lshl_add_u64 v[18:19], v[2:3], 0, 32
	s_mov_b64 s[8:9], 0
	v_lshlrev_b32_e32 v16, 1, v0
	v_lshlrev_b32_e32 v20, 1, v14
	s_mov_b32 s22, 0x5040100
	s_movk_i32 s23, 0x700
	s_mov_b32 s26, 0x8000
	s_mov_b32 s2, 0x37000000
	v_mov_b64_e32 v[22:23], s[12:13]
	s_mov_b64 s[12:13], 0x1200
	v_mov_b32_e32 v21, v17
	v_mov_b32_e32 v28, 8
	;; [unrolled: 1-line block ×12, first 2 shown]
.LBB210_2:                              ; =>This Inner Loop Header: Depth=1
	v_add_u32_e32 v33, s11, v25
	v_add_u32_e32 v38, s15, v25
	v_mad_i64_i32 v[36:37], s[28:29], v33, 50, s[20:21]
	v_mad_i64_i32 v[38:39], s[28:29], v38, 50, s[20:21]
	v_lshl_add_u64 v[40:41], v[36:37], 0, v[16:17]
	global_load_dwordx4 v[10:13], v[18:19], off offset:-16
	global_load_dwordx4 v[6:9], v[18:19], off offset:-32
	v_lshl_add_u64 v[42:43], v[36:37], 0, v[20:21]
	v_lshl_add_u64 v[44:45], v[38:39], 0, v[16:17]
	;; [unrolled: 1-line block ×3, first 2 shown]
	global_load_dword v33, v[40:41], off offset:2
	global_load_dword v48, v[44:45], off offset:2
	global_load_ushort v49, v[42:43], off offset:34
	global_load_ushort v54, v[46:47], off offset:34
	global_load_ushort v55, v[38:39], off
	global_load_ushort v56, v[36:37], off
	s_getpc_b64 s[16:17]
	s_add_u32 s16, s16, _ZL13iq1s_grid_gpu@rel32@lo+4
	s_addc_u32 s17, s17, _ZL13iq1s_grid_gpu@rel32@hi+12
	v_mov_b32_e32 v50, 0
	v_mov_b32_e32 v51, 0
	v_mad_u64_u32 v[34:35], s[28:29], v26, 36, s[24:25]
	v_mad_u64_u32 v[34:35], s[28:29], v14, 36, v[34:35]
	v_mov_b32_e32 v52, 0
	v_mov_b32_e32 v53, 0
	v_add_u32_e32 v25, 16, v25
	v_cmp_le_u32_e32 vcc, s19, v25
	v_add_u32_e32 v26, 0x80, v26
	s_or_b64 s[8:9], vcc, s[8:9]
	s_waitcnt vmcnt(5)
	v_and_b32_e32 v38, 0xff, v33
	v_lshrrev_b16_e32 v36, 8, v33
	s_waitcnt vmcnt(3)
	v_lshlrev_b32_sdwa v43, v28, v49 dst_sel:DWORD dst_unused:UNUSED_PAD src0_sel:DWORD src1_sel:WORD_0
	v_lshrrev_b32_e32 v37, 24, v33
	v_bfe_u32 v33, v33, 16, 8
	v_lshrrev_b16_e32 v39, 8, v48
	v_lshrrev_b32_e32 v40, 24, v48
	v_and_b32_e32 v41, 0xff, v48
	v_bfe_u32 v42, v48, 16, 8
	v_lshlrev_b32_sdwa v44, v29, v49 dst_sel:DWORD dst_unused:UNUSED_PAD src0_sel:DWORD src1_sel:WORD_0
	v_lshlrev_b32_sdwa v45, v30, v49 dst_sel:DWORD dst_unused:UNUSED_PAD src0_sel:DWORD src1_sel:WORD_0
	v_lshrrev_b32_sdwa v46, v31, v49 dst_sel:DWORD dst_unused:UNUSED_PAD src0_sel:DWORD src1_sel:WORD_0
	s_waitcnt vmcnt(2)
	v_lshlrev_b32_sdwa v47, v28, v54 dst_sel:DWORD dst_unused:UNUSED_PAD src0_sel:DWORD src1_sel:WORD_0
	v_lshlrev_b32_sdwa v48, v29, v54 dst_sel:DWORD dst_unused:UNUSED_PAD src0_sel:DWORD src1_sel:WORD_0
	;; [unrolled: 1-line block ×3, first 2 shown]
	v_lshrrev_b32_sdwa v58, v31, v54 dst_sel:DWORD dst_unused:UNUSED_PAD src0_sel:DWORD src1_sel:WORD_0
	v_and_or_b32 v38, v43, s23, v38
	v_and_or_b32 v36, v44, s23, v36
	;; [unrolled: 1-line block ×8, first 2 shown]
	v_lshlrev_b32_e32 v38, 2, v38
	v_lshlrev_b32_e32 v36, 2, v36
	;; [unrolled: 1-line block ×8, first 2 shown]
	global_load_dword v43, v38, s[16:17]
	global_load_dword v44, v36, s[16:17]
	;; [unrolled: 1-line block ×8, first 2 shown]
	s_waitcnt vmcnt(7)
	v_and_b32_e32 v33, 0xf0f0f0f, v43
	v_lshrrev_b32_e32 v36, 4, v43
	s_waitcnt vmcnt(5)
	v_lshrrev_b32_e32 v39, 4, v45
	v_dot4c_i32_i8_e32 v50, v33, v7
	s_waitcnt vmcnt(3)
	v_and_b32_e32 v42, 0xf0f0f0f, v46
	v_lshrrev_b32_e32 v40, 4, v46
	v_and_b32_e32 v46, 0xf0f0f0f, v36
	v_and_b32_e32 v63, 0xf0f0f0f, v39
	v_dot4c_i32_i8_e32 v51, v42, v7
	v_and_b32_e32 v39, 0xf0f0f0f, v40
	v_and_b32_e32 v37, 0xf0f0f0f, v44
	v_lshrrev_b32_e32 v38, 4, v44
	s_waitcnt vmcnt(2)
	v_and_b32_e32 v44, 0xf0f0f0f, v47
	v_lshrrev_b32_e32 v41, 4, v47
	v_dot4c_i32_i8_e32 v50, v46, v8
	v_dot4c_i32_i8_e32 v51, v39, v8
	v_and_b32_e32 v62, 0xf0f0f0f, v38
	v_and_b32_e32 v64, 0xf0f0f0f, v41
	v_dot4c_i32_i8_e32 v50, v37, v9
	v_dot4c_i32_i8_e32 v51, v44, v9
	v_and_b32_e32 v43, 0xf0f0f0f, v45
	s_waitcnt vmcnt(1)
	v_and_b32_e32 v60, 0xf0f0f0f, v48
	v_dot4c_i32_i8_e32 v50, v62, v10
	v_dot4c_i32_i8_e32 v51, v64, v10
	;; [unrolled: 1-line block ×4, first 2 shown]
	global_load_dwordx4 v[8:11], v[34:35], off
	v_lshrrev_b32_e32 v45, 4, v48
	v_and_b32_e32 v65, 0xf0f0f0f, v45
	v_and_b32_e32 v59, 0xf0f0f0f, v57
	s_waitcnt vmcnt(1)
	v_and_b32_e32 v61, 0xf0f0f0f, v58
	v_dot4c_i32_i8_e32 v50, v63, v12
	v_dot4c_i32_i8_e32 v51, v65, v12
	;; [unrolled: 1-line block ×4, first 2 shown]
	s_waitcnt vmcnt(0)
	v_dot4c_i32_i8_e32 v52, v33, v9
	v_dot4c_i32_i8_e32 v53, v42, v9
	;; [unrolled: 1-line block ×6, first 2 shown]
	global_load_dwordx4 v[10:13], v[34:35], off offset:16
	v_cvt_f32_f16_e32 v36, v8
	v_cvt_f32_f16_sdwa v38, v8 dst_sel:DWORD dst_unused:UNUSED_PAD src0_sel:WORD_1
	s_waitcnt vmcnt(0)
	v_dot4c_i32_i8_e32 v52, v62, v10
	v_dot4c_i32_i8_e32 v53, v64, v10
	;; [unrolled: 1-line block ×6, first 2 shown]
	v_cvt_f32_f16_e32 v10, v6
	v_cvt_f32_f16_sdwa v12, v6 dst_sel:DWORD dst_unused:UNUSED_PAD src0_sel:WORD_1
	v_mad_u64_u32 v[6:7], s[16:17], v27, 36, s[24:25]
	v_mad_u64_u32 v[40:41], s[16:17], v14, 36, v[6:7]
	global_load_dwordx4 v[6:9], v[40:41], off
	v_mov_b32_e32 v11, 0
	v_dot4c_i32_i8_e32 v52, v59, v13
	v_dot4c_i32_i8_e32 v53, v61, v13
	v_lshrrev_b32_sdwa v13, v32, v54 dst_sel:DWORD dst_unused:UNUSED_PAD src0_sel:DWORD src1_sel:WORD_0
	v_and_or_b32 v13, v13, 14, 1
	v_cvt_f32_ubyte0_e32 v45, v13
	v_add_u32_e32 v27, 0x80, v27
	s_waitcnt vmcnt(0)
	v_dot4c_i32_i8_e32 v11, v33, v7
	v_mov_b32_e32 v33, 0
	v_dot4c_i32_i8_e32 v33, v42, v7
	v_lshrrev_b32_sdwa v7, v32, v49 dst_sel:DWORD dst_unused:UNUSED_PAD src0_sel:DWORD src1_sel:WORD_0
	v_dot4c_i32_i8_e32 v33, v39, v8
	v_and_or_b32 v7, v7, 14, 1
	v_dot4c_i32_i8_e32 v11, v46, v8
	v_dot4c_i32_i8_e32 v33, v44, v9
	v_cvt_f32_ubyte0_e32 v44, v7
	v_perm_b32 v7, v54, v49, s22
	v_dot4c_i32_i8_e32 v11, v37, v9
	v_cvt_f32_f16_e32 v9, v55
	v_cvt_f32_f16_e32 v8, v56
	v_pk_lshrrev_b16 v13, 11, v7 op_sel_hi:[0,1]
	v_and_b32_e32 v13, 0xe000e, v13
	v_or_b32_e32 v13, 0x10001, v13
	v_cvt_f32_ubyte2_e32 v47, v13
	v_cvt_f32_ubyte0_e32 v46, v13
	v_pk_mul_f32 v[44:45], v[44:45], v[8:9]
	v_pk_mul_f32 v[46:47], v[46:47], v[8:9]
	v_and_b32_sdwa v8, v49, s26 dst_sel:DWORD dst_unused:UNUSED_PAD src0_sel:WORD_0 src1_sel:DWORD
	v_and_b32_sdwa v9, v54, s26 dst_sel:DWORD dst_unused:UNUSED_PAD src0_sel:WORD_0 src1_sel:DWORD
	v_cvt_f32_u32_e32 v9, v9
	v_cvt_f32_u32_e32 v8, v8
	v_and_b32_e32 v7, 0x80008000, v7
	v_cvt_f32_f16_e32 v42, v6
	v_cvt_f32_f16_sdwa v6, v6 dst_sel:DWORD dst_unused:UNUSED_PAD src0_sel:WORD_1
	v_pk_fma_f32 v[8:9], v[8:9], s[2:3], v[22:23] op_sel_hi:[1,0,0] neg_lo:[1,0,0] neg_hi:[1,0,0]
	s_nop 0
	v_pk_mul_f32 v[12:13], v[8:9], v[12:13] op_sel_hi:[1,0]
	v_pk_mul_f32 v[38:39], v[8:9], v[38:39] op_sel_hi:[1,0]
	v_and_b32_e32 v8, 0x8000, v7
	v_cvt_f32_u32_sdwa v9, v7 dst_sel:DWORD dst_unused:UNUSED_PAD src0_sel:WORD_1
	v_cvt_f32_u32_e32 v8, v8
	v_pk_fma_f32 v[8:9], v[8:9], s[2:3], v[22:23] op_sel_hi:[1,0,0] neg_lo:[1,0,0] neg_hi:[1,0,0]
	s_nop 0
	v_pk_mul_f32 v[48:49], v[8:9], v[6:7] op_sel_hi:[1,0]
	global_load_dword v37, v[34:35], off offset:32
	global_load_dword v54, v[40:41], off offset:32
	global_load_dwordx4 v[6:9], v[40:41], off offset:16
	v_lshrrev_b32_e32 v34, 4, v58
	v_and_b32_e32 v34, 0xf0f0f0f, v34
	s_waitcnt vmcnt(2)
	v_dot4c_i32_i8_e32 v53, v34, v37
	s_waitcnt vmcnt(0)
	v_dot4c_i32_i8_e32 v11, v62, v6
	v_dot4c_i32_i8_e32 v33, v64, v6
	global_load_dword v6, v[18:19], off
	v_dot4c_i32_i8_e32 v11, v43, v7
	v_dot4c_i32_i8_e32 v33, v60, v7
	;; [unrolled: 1-line block ×3, first 2 shown]
	v_lshrrev_b32_e32 v7, 4, v57
	v_dot4c_i32_i8_e32 v33, v65, v8
	v_and_b32_e32 v7, 0xf0f0f0f, v7
	v_dot4c_i32_i8_e32 v11, v59, v9
	v_dot4c_i32_i8_e32 v33, v61, v9
	;; [unrolled: 1-line block ×5, first 2 shown]
	v_cvt_f32_i32_e32 v9, v53
	v_cvt_f32_i32_e32 v8, v52
	v_lshl_add_u64 v[18:19], v[18:19], 0, s[12:13]
	v_cvt_f32_i32_e32 v35, v33
	v_pk_fma_f32 v[8:9], v[36:37], v[8:9], v[38:39] op_sel_hi:[0,1,1]
	v_pk_fma_f32 v[4:5], v[44:45], v[8:9], v[4:5]
	s_waitcnt vmcnt(0)
	v_dot4c_i32_i8_e32 v50, v7, v6
	v_dot4c_i32_i8_e32 v51, v34, v6
	s_nop 1
	v_cvt_f32_i32_e32 v6, v50
	v_cvt_f32_i32_e32 v34, v11
	;; [unrolled: 1-line block ×3, first 2 shown]
	v_pk_fma_f32 v[6:7], v[10:11], v[6:7], v[12:13] op_sel_hi:[0,1,1]
	v_pk_fma_f32 v[10:11], v[42:43], v[34:35], v[48:49] op_sel_hi:[0,1,1]
	v_pk_fma_f32 v[2:3], v[44:45], v[6:7], v[2:3]
	v_pk_fma_f32 v[0:1], v[46:47], v[10:11], v[0:1]
	s_andn2_b64 exec, exec, s[8:9]
	s_cbranch_execnz .LBB210_2
; %bb.3:
	s_or_b64 exec, exec, s[8:9]
	scratch_store_dwordx4 off, v[2:5], off
	scratch_store_dwordx2 off, v[0:1], off offset:16
.LBB210_4:
	s_or_b64 exec, exec, s[6:7]
	v_cmp_eq_u32_e32 vcc, 0, v24
	v_cmp_ne_u32_e64 s[6:7], 0, v24
	v_lshlrev_b32_e32 v6, 2, v15
	s_and_saveexec_b64 s[8:9], s[6:7]
	s_cbranch_execz .LBB210_6
; %bb.5:
	v_mul_u32_u24_e32 v7, 0x600, v24
	s_movk_i32 s2, 0xfa00
	v_add3_u32 v7, v7, v6, s2
	ds_write2st64_b32 v7, v2, v3 offset1:1
	ds_write2st64_b32 v7, v4, v5 offset0:2 offset1:3
	ds_write2st64_b32 v7, v0, v1 offset0:4 offset1:5
.LBB210_6:
	s_or_b64 exec, exec, s[8:9]
	s_waitcnt lgkmcnt(0)
	s_barrier
	s_and_saveexec_b64 s[6:7], vcc
	s_cbranch_execz .LBB210_13
; %bb.7:
	scratch_load_dwordx2 v[2:3], off, off
	v_mbcnt_lo_u32_b32 v0, -1, 0
	ds_read2st64_b32 v[4:5], v6 offset1:1
	v_mbcnt_hi_u32_b32 v7, -1, v0
	v_and_b32_e32 v0, 64, v7
	v_xor_b32_e32 v1, 32, v7
	v_add_u32_e32 v12, 64, v0
	v_cmp_lt_i32_e32 vcc, v1, v12
	v_xor_b32_e32 v8, 16, v7
	v_xor_b32_e32 v10, 8, v7
	v_cndmask_b32_e32 v0, v7, v1, vcc
	v_lshlrev_b32_e32 v0, 2, v0
	v_cmp_lt_i32_e32 vcc, v8, v12
	v_xor_b32_e32 v11, 4, v7
	v_xor_b32_e32 v13, 2, v7
	v_cndmask_b32_e32 v1, v7, v8, vcc
	v_lshlrev_b32_e32 v1, 2, v1
	v_cmp_lt_i32_e32 vcc, v10, v12
	v_xor_b32_e32 v14, 1, v7
	s_load_dwordx2 s[0:1], s[0:1], 0x38
	s_mul_i32 s2, s3, s14
	s_mul_i32 s4, s4, s18
	s_add_i32 s2, s2, s5
	s_mov_b32 s3, 0
	s_add_i32 s2, s2, s4
	s_lshl_b64 s[2:3], s[2:3], 2
	s_waitcnt lgkmcnt(0)
	s_add_u32 s2, s0, s2
	s_addc_u32 s3, s1, s3
	s_waitcnt vmcnt(0)
	v_pk_add_f32 v[2:3], v[4:5], v[2:3]
	ds_bpermute_b32 v4, v0, v2
	ds_bpermute_b32 v5, v0, v3
	s_waitcnt lgkmcnt(0)
	v_pk_add_f32 v[4:5], v[2:3], v[4:5]
	ds_bpermute_b32 v8, v1, v4
	ds_bpermute_b32 v9, v1, v5
	v_cndmask_b32_e32 v2, v7, v10, vcc
	v_lshlrev_b32_e32 v2, 2, v2
	v_cmp_lt_i32_e32 vcc, v11, v12
	s_waitcnt lgkmcnt(0)
	v_pk_add_f32 v[4:5], v[4:5], v[8:9]
	ds_bpermute_b32 v8, v2, v4
	ds_bpermute_b32 v9, v2, v5
	v_cndmask_b32_e32 v3, v7, v11, vcc
	v_lshlrev_b32_e32 v3, 2, v3
	v_cmp_lt_i32_e32 vcc, v13, v12
	;; [unrolled: 7-line block ×3, first 2 shown]
	s_waitcnt lgkmcnt(0)
	v_pk_add_f32 v[8:9], v[8:9], v[10:11]
	ds_bpermute_b32 v10, v4, v8
	ds_bpermute_b32 v11, v4, v9
	v_cndmask_b32_e32 v5, v7, v14, vcc
	v_lshlrev_b32_e32 v5, 2, v5
	v_or_b32_e32 v7, s5, v15
	v_cmp_gt_u32_e32 vcc, 2, v15
	s_waitcnt lgkmcnt(0)
	v_pk_add_f32 v[8:9], v[8:9], v[10:11]
	ds_bpermute_b32 v10, v5, v8
	ds_bpermute_b32 v11, v5, v9
	v_cmp_gt_u32_e64 s[0:1], s10, v7
	s_and_b64 s[0:1], vcc, s[0:1]
	s_waitcnt lgkmcnt(0)
	v_pk_add_f32 v[8:9], v[8:9], v[10:11]
	scratch_store_dwordx2 off, v[8:9], off
	s_and_saveexec_b64 s[4:5], s[0:1]
	s_cbranch_execz .LBB210_9
; %bb.8:
	scratch_load_dword v7, v6, off
	s_waitcnt vmcnt(0)
	global_store_dword v6, v7, s[2:3]
.LBB210_9:
	s_or_b64 exec, exec, s[4:5]
	scratch_load_dwordx2 v[8:9], off, off offset:8
	ds_read2st64_b32 v[10:11], v6 offset0:2 offset1:3
	s_waitcnt vmcnt(0) lgkmcnt(0)
	v_pk_add_f32 v[8:9], v[10:11], v[8:9]
	ds_bpermute_b32 v10, v0, v8
	ds_bpermute_b32 v11, v0, v9
	s_waitcnt lgkmcnt(0)
	v_pk_add_f32 v[8:9], v[8:9], v[10:11]
	ds_bpermute_b32 v10, v1, v8
	ds_bpermute_b32 v11, v1, v9
	s_waitcnt lgkmcnt(0)
	;; [unrolled: 4-line block ×6, first 2 shown]
	v_pk_add_f32 v[8:9], v[8:9], v[10:11]
	scratch_store_dwordx2 off, v[8:9], off offset:8
	s_and_saveexec_b64 s[4:5], s[0:1]
	s_cbranch_execz .LBB210_11
; %bb.10:
	scratch_load_dword v7, v6, off offset:8
	v_add_u32_e32 v8, s10, v15
	v_mov_b32_e32 v9, 0
	v_lshl_add_u64 v[8:9], v[8:9], 2, s[2:3]
	s_waitcnt vmcnt(0)
	global_store_dword v[8:9], v7, off
.LBB210_11:
	s_or_b64 exec, exec, s[4:5]
	scratch_load_dwordx2 v[8:9], off, off offset:16
	ds_read2st64_b32 v[10:11], v6 offset0:4 offset1:5
	s_waitcnt vmcnt(0) lgkmcnt(0)
	v_pk_add_f32 v[8:9], v[10:11], v[8:9]
	ds_bpermute_b32 v10, v0, v8
	ds_bpermute_b32 v11, v0, v9
	s_waitcnt lgkmcnt(0)
	v_pk_add_f32 v[8:9], v[8:9], v[10:11]
	ds_bpermute_b32 v0, v1, v8
	ds_bpermute_b32 v1, v1, v9
	s_waitcnt lgkmcnt(0)
	;; [unrolled: 4-line block ×6, first 2 shown]
	v_pk_add_f32 v[0:1], v[0:1], v[2:3]
	scratch_store_dwordx2 off, v[0:1], off offset:16
	s_and_b64 exec, exec, s[0:1]
	s_cbranch_execz .LBB210_13
; %bb.12:
	scratch_load_dword v2, v6, off offset:16
	v_lshl_or_b32 v0, s10, 1, v15
	v_mov_b32_e32 v1, 0
	v_lshl_add_u64 v[0:1], v[0:1], 2, s[2:3]
	s_waitcnt vmcnt(0)
	global_store_dword v[0:1], v2, off
.LBB210_13:
	s_endpgm
	.section	.rodata,"a",@progbits
	.p2align	6, 0x0
	.amdhsa_kernel _ZL13mul_mat_vec_qIL9ggml_type19ELi3ELb0ELb0EEvPKvS2_PKi31ggml_cuda_mm_fusion_args_devicePfj15HIP_vector_typeIjLj3EEjjjS8_jjjS8_jjjj
		.amdhsa_group_segment_fixed_size 1536
		.amdhsa_private_segment_fixed_size 32
		.amdhsa_kernarg_size 144
		.amdhsa_user_sgpr_count 2
		.amdhsa_user_sgpr_dispatch_ptr 0
		.amdhsa_user_sgpr_queue_ptr 0
		.amdhsa_user_sgpr_kernarg_segment_ptr 1
		.amdhsa_user_sgpr_dispatch_id 0
		.amdhsa_user_sgpr_kernarg_preload_length 0
		.amdhsa_user_sgpr_kernarg_preload_offset 0
		.amdhsa_user_sgpr_private_segment_size 0
		.amdhsa_uses_dynamic_stack 0
		.amdhsa_enable_private_segment 1
		.amdhsa_system_sgpr_workgroup_id_x 1
		.amdhsa_system_sgpr_workgroup_id_y 1
		.amdhsa_system_sgpr_workgroup_id_z 1
		.amdhsa_system_sgpr_workgroup_info 0
		.amdhsa_system_vgpr_workitem_id 1
		.amdhsa_next_free_vgpr 66
		.amdhsa_next_free_sgpr 30
		.amdhsa_accum_offset 68
		.amdhsa_reserve_vcc 1
		.amdhsa_float_round_mode_32 0
		.amdhsa_float_round_mode_16_64 0
		.amdhsa_float_denorm_mode_32 3
		.amdhsa_float_denorm_mode_16_64 3
		.amdhsa_dx10_clamp 1
		.amdhsa_ieee_mode 1
		.amdhsa_fp16_overflow 0
		.amdhsa_tg_split 0
		.amdhsa_exception_fp_ieee_invalid_op 0
		.amdhsa_exception_fp_denorm_src 0
		.amdhsa_exception_fp_ieee_div_zero 0
		.amdhsa_exception_fp_ieee_overflow 0
		.amdhsa_exception_fp_ieee_underflow 0
		.amdhsa_exception_fp_ieee_inexact 0
		.amdhsa_exception_int_div_zero 0
	.end_amdhsa_kernel
	.section	.text._ZL13mul_mat_vec_qIL9ggml_type19ELi3ELb0ELb0EEvPKvS2_PKi31ggml_cuda_mm_fusion_args_devicePfj15HIP_vector_typeIjLj3EEjjjS8_jjjS8_jjjj,"axG",@progbits,_ZL13mul_mat_vec_qIL9ggml_type19ELi3ELb0ELb0EEvPKvS2_PKi31ggml_cuda_mm_fusion_args_devicePfj15HIP_vector_typeIjLj3EEjjjS8_jjjS8_jjjj,comdat
.Lfunc_end210:
	.size	_ZL13mul_mat_vec_qIL9ggml_type19ELi3ELb0ELb0EEvPKvS2_PKi31ggml_cuda_mm_fusion_args_devicePfj15HIP_vector_typeIjLj3EEjjjS8_jjjS8_jjjj, .Lfunc_end210-_ZL13mul_mat_vec_qIL9ggml_type19ELi3ELb0ELb0EEvPKvS2_PKi31ggml_cuda_mm_fusion_args_devicePfj15HIP_vector_typeIjLj3EEjjjS8_jjjS8_jjjj
                                        ; -- End function
	.section	.AMDGPU.csdata,"",@progbits
; Kernel info:
; codeLenInByte = 2768
; NumSgprs: 36
; NumVgprs: 66
; NumAgprs: 0
; TotalNumVgprs: 66
; ScratchSize: 32
; MemoryBound: 0
; FloatMode: 240
; IeeeMode: 1
; LDSByteSize: 1536 bytes/workgroup (compile time only)
; SGPRBlocks: 4
; VGPRBlocks: 8
; NumSGPRsForWavesPerEU: 36
; NumVGPRsForWavesPerEU: 66
; AccumOffset: 68
; Occupancy: 7
; WaveLimiterHint : 0
; COMPUTE_PGM_RSRC2:SCRATCH_EN: 1
; COMPUTE_PGM_RSRC2:USER_SGPR: 2
; COMPUTE_PGM_RSRC2:TRAP_HANDLER: 0
; COMPUTE_PGM_RSRC2:TGID_X_EN: 1
; COMPUTE_PGM_RSRC2:TGID_Y_EN: 1
; COMPUTE_PGM_RSRC2:TGID_Z_EN: 1
; COMPUTE_PGM_RSRC2:TIDIG_COMP_CNT: 1
; COMPUTE_PGM_RSRC3_GFX90A:ACCUM_OFFSET: 16
; COMPUTE_PGM_RSRC3_GFX90A:TG_SPLIT: 0
	.section	.text._ZL13mul_mat_vec_qIL9ggml_type19ELi4ELb0ELb0EEvPKvS2_PKi31ggml_cuda_mm_fusion_args_devicePfj15HIP_vector_typeIjLj3EEjjjS8_jjjS8_jjjj,"axG",@progbits,_ZL13mul_mat_vec_qIL9ggml_type19ELi4ELb0ELb0EEvPKvS2_PKi31ggml_cuda_mm_fusion_args_devicePfj15HIP_vector_typeIjLj3EEjjjS8_jjjS8_jjjj,comdat
	.globl	_ZL13mul_mat_vec_qIL9ggml_type19ELi4ELb0ELb0EEvPKvS2_PKi31ggml_cuda_mm_fusion_args_devicePfj15HIP_vector_typeIjLj3EEjjjS8_jjjS8_jjjj ; -- Begin function _ZL13mul_mat_vec_qIL9ggml_type19ELi4ELb0ELb0EEvPKvS2_PKi31ggml_cuda_mm_fusion_args_devicePfj15HIP_vector_typeIjLj3EEjjjS8_jjjS8_jjjj
	.p2align	8
	.type	_ZL13mul_mat_vec_qIL9ggml_type19ELi4ELb0ELb0EEvPKvS2_PKi31ggml_cuda_mm_fusion_args_devicePfj15HIP_vector_typeIjLj3EEjjjS8_jjjS8_jjjj,@function
_ZL13mul_mat_vec_qIL9ggml_type19ELi4ELb0ELb0EEvPKvS2_PKi31ggml_cuda_mm_fusion_args_devicePfj15HIP_vector_typeIjLj3EEjjjS8_jjjS8_jjjj: ; @_ZL13mul_mat_vec_qIL9ggml_type19ELi4ELb0ELb0EEvPKvS2_PKi31ggml_cuda_mm_fusion_args_devicePfj15HIP_vector_typeIjLj3EEjjjS8_jjjS8_jjjj
; %bb.0:
	s_mov_b32 s20, 0
	s_mov_b32 s21, s20
	v_bfe_u32 v9, v0, 10, 10
	v_and_b32_e32 v8, 0x3ff, v0
	s_mov_b32 s22, s20
	s_mov_b32 s23, s20
	v_mov_b64_e32 v[0:1], s[20:21]
	s_load_dword s6, s[0:1], 0x40
	s_load_dwordx4 s[8:11], s[0:1], 0x50
	s_load_dword s27, s[0:1], 0x60
	s_load_dwordx4 s[12:15], s[0:1], 0x68
	;; [unrolled: 2-line block ×3, first 2 shown]
	v_lshl_add_u32 v4, v9, 6, v8
	v_mov_b64_e32 v[2:3], s[22:23]
	s_waitcnt lgkmcnt(0)
	s_lshr_b32 s19, s6, 8
	scratch_store_dwordx4 off, v[0:3], off offset:16
	scratch_store_dwordx4 off, v[0:3], off
	v_lshrrev_b32_e32 v11, 3, v4
	s_lshl_b32 s5, s2, 1
	v_mov_b32_e32 v3, 0
	v_cmp_gt_u32_e32 vcc, s19, v11
	v_mov_b32_e32 v4, 0
	v_mov_b32_e32 v2, v3
	;; [unrolled: 1-line block ×7, first 2 shown]
	s_and_saveexec_b64 s[6:7], vcc
	s_cbranch_execz .LBB211_4
; %bb.1:
	s_load_dwordx4 s[20:23], s[0:1], 0x0
	s_mul_i32 s2, s4, s17
	s_mul_i32 s24, s2, 36
	;; [unrolled: 1-line block ×3, first 2 shown]
	s_mul_hi_u32 s17, s2, 36
	s_waitcnt lgkmcnt(0)
	s_add_u32 s24, s22, s24
	s_addc_u32 s17, s23, s17
	s_mul_i32 s28, s13, 36
	s_mul_hi_u32 s29, s13, 36
	s_add_u32 s24, s24, s28
	s_mul_hi_u32 s11, s11, s3
	s_addc_u32 s25, s17, s29
	s_add_i32 s11, s3, s11
	s_lshr_b32 s11, s11, s27
	s_mul_i32 s11, s11, s12
	s_mul_hi_u32 s12, s15, s4
	s_add_i32 s12, s4, s12
	s_lshr_b32 s12, s12, s26
	s_mul_i32 s12, s12, s16
	s_mul_i32 s13, s5, s8
	s_add_i32 s15, s12, s11
	s_add_i32 s12, s5, 1
	v_lshlrev_b32_e32 v2, 3, v11
	s_add_i32 s11, s15, s13
	s_mul_i32 s8, s8, s12
	v_mad_u64_u32 v[14:15], s[12:13], s9, 3, v[2:3]
	s_add_i32 s15, s15, s8
	v_add_u32_e32 v28, s9, v2
	v_lshl_add_u32 v15, s9, 1, v2
	s_movk_i32 s8, 0x120
	v_mov_b64_e32 v[2:3], s[28:29]
	v_mad_u64_u32 v[2:3], s[8:9], v11, s8, v[2:3]
	v_and_b32_e32 v10, 7, v8
	v_mad_u64_u32 v[2:3], s[8:9], s2, 36, v[2:3]
	v_mad_u64_u32 v[2:3], s[8:9], v10, 36, v[2:3]
	v_lshlrev_b32_e32 v0, 1, v10
	v_mov_b32_e32 v13, 0
	v_lshl_add_u64 v[2:3], v[2:3], 0, s[22:23]
	s_mov_b32 s12, 0xbf600000
	v_lshl_add_u64 v[16:17], v[2:3], 0, 32
	s_mov_b64 s[8:9], 0
	v_lshlrev_b32_e32 v12, 1, v0
	v_lshlrev_b32_e32 v18, 1, v10
	s_mov_b32 s22, 0x5040100
	s_movk_i32 s23, 0x700
	s_mov_b32 s26, 0x8000
	s_mov_b32 s2, 0x37000000
	v_mov_b64_e32 v[20:21], s[12:13]
	s_mov_b64 s[12:13], 0x1200
	v_mov_b32_e32 v19, v13
	v_mov_b32_e32 v29, 8
	;; [unrolled: 1-line block ×14, first 2 shown]
.LBB211_2:                              ; =>This Inner Loop Header: Depth=1
	global_load_dword v39, v[16:17], off
	global_load_dwordx4 v[22:25], v[16:17], off offset:-16
	global_load_dwordx4 v[34:37], v[16:17], off offset:-32
	v_add_u32_e32 v26, s11, v11
	v_mad_i64_i32 v[26:27], s[16:17], v26, 50, s[20:21]
	v_lshl_add_u64 v[42:43], v[26:27], 0, v[12:13]
	v_mov_b32_e32 v52, 0
	v_lshl_add_u64 v[16:17], v[16:17], 0, s[12:13]
	global_load_ushort v48, v[26:27], off
	s_waitcnt vmcnt(1)
	v_cvt_f32_f16_e32 v38, v34
	v_cvt_f32_f16_sdwa v40, v34 dst_sel:DWORD dst_unused:UNUSED_PAD src0_sel:WORD_1
	global_load_dword v34, v[42:43], off offset:2
	v_lshl_add_u64 v[42:43], v[26:27], 0, v[18:19]
	global_load_ushort v45, v[42:43], off offset:34
	v_add_u32_e32 v26, s15, v11
	v_mad_i64_i32 v[26:27], s[16:17], v26, 50, s[20:21]
	v_lshl_add_u64 v[42:43], v[26:27], 0, v[12:13]
	s_getpc_b64 s[16:17]
	s_add_u32 s16, s16, _ZL13iq1s_grid_gpu@rel32@lo+4
	s_addc_u32 s17, s17, _ZL13iq1s_grid_gpu@rel32@hi+12
	v_add_u32_e32 v11, 16, v11
	v_cmp_le_u32_e32 vcc, s19, v11
	s_or_b64 s[8:9], vcc, s[8:9]
	s_waitcnt vmcnt(1)
	v_lshrrev_b16_e32 v41, 8, v34
	v_lshrrev_b32_e32 v44, 24, v34
	v_and_b32_e32 v46, 0xff, v34
	v_bfe_u32 v47, v34, 16, 8
	global_load_dword v34, v[42:43], off offset:2
	v_lshl_add_u64 v[42:43], v[26:27], 0, v[18:19]
	global_load_ushort v42, v[42:43], off offset:34
	s_waitcnt vmcnt(1)
	v_lshrrev_b16_e32 v49, 8, v34
	global_load_ushort v26, v[26:27], off
	v_lshlrev_b32_sdwa v27, v29, v45 dst_sel:DWORD dst_unused:UNUSED_PAD src0_sel:DWORD src1_sel:WORD_0
	v_and_or_b32 v27, v27, s23, v46
	v_lshlrev_b32_e32 v27, 2, v27
	global_load_dword v27, v27, s[16:17]
	v_and_b32_e32 v43, 0xff, v34
	v_bfe_u32 v51, v34, 16, 8
	v_lshrrev_b32_e32 v50, 24, v34
	s_waitcnt vmcnt(2)
	v_perm_b32 v34, v42, v45, s22
	s_waitcnt vmcnt(0)
	v_and_b32_e32 v46, 0xf0f0f0f, v27
	v_lshrrev_b32_e32 v27, 4, v27
	v_and_b32_e32 v53, 0xf0f0f0f, v27
	v_lshlrev_b32_sdwa v27, v30, v45 dst_sel:DWORD dst_unused:UNUSED_PAD src0_sel:DWORD src1_sel:WORD_0
	v_and_or_b32 v27, v27, s23, v41
	v_lshlrev_b32_e32 v27, 2, v27
	global_load_dword v27, v27, s[16:17]
	v_mov_b32_e32 v41, 0
	v_dot4c_i32_i8_e32 v52, v46, v35
	v_dot4c_i32_i8_e32 v52, v53, v36
	s_waitcnt vmcnt(0)
	v_and_b32_e32 v54, 0xf0f0f0f, v27
	v_lshrrev_b32_e32 v27, 4, v27
	v_and_b32_e32 v55, 0xf0f0f0f, v27
	v_lshlrev_b32_sdwa v27, v31, v45 dst_sel:DWORD dst_unused:UNUSED_PAD src0_sel:DWORD src1_sel:WORD_0
	v_and_or_b32 v27, v27, s23, v47
	v_lshlrev_b32_e32 v27, 2, v27
	global_load_dword v27, v27, s[16:17]
	v_dot4c_i32_i8_e32 v52, v54, v37
	v_dot4c_i32_i8_e32 v52, v55, v22
	s_waitcnt vmcnt(0)
	v_and_b32_e32 v47, 0xf0f0f0f, v27
	v_lshrrev_b32_e32 v27, 4, v27
	v_and_b32_e32 v56, 0xf0f0f0f, v27
	v_lshrrev_b32_sdwa v27, v32, v45 dst_sel:DWORD dst_unused:UNUSED_PAD src0_sel:DWORD src1_sel:WORD_0
	v_and_or_b32 v27, v27, s23, v44
	v_lshlrev_b32_e32 v27, 2, v27
	global_load_dword v27, v27, s[16:17]
	v_dot4c_i32_i8_e32 v52, v47, v23
	v_dot4c_i32_i8_e32 v52, v56, v24
	s_waitcnt vmcnt(0)
	v_and_b32_e32 v57, 0xf0f0f0f, v27
	v_lshrrev_b32_e32 v27, 4, v27
	v_and_b32_e32 v58, 0xf0f0f0f, v27
	v_lshlrev_b32_sdwa v27, v29, v42 dst_sel:DWORD dst_unused:UNUSED_PAD src0_sel:DWORD src1_sel:WORD_0
	v_and_or_b32 v27, v27, s23, v43
	v_lshlrev_b32_e32 v27, 2, v27
	global_load_dword v27, v27, s[16:17]
	v_dot4c_i32_i8_e32 v52, v57, v25
	v_dot4c_i32_i8_e32 v52, v58, v39
	s_waitcnt vmcnt(0)
	v_and_b32_e32 v59, 0xf0f0f0f, v27
	v_lshrrev_b32_e32 v27, 4, v27
	v_dot4c_i32_i8_e32 v41, v59, v35
	v_and_b32_e32 v35, 0xf0f0f0f, v27
	v_lshlrev_b32_sdwa v27, v30, v42 dst_sel:DWORD dst_unused:UNUSED_PAD src0_sel:DWORD src1_sel:WORD_0
	v_and_or_b32 v27, v27, s23, v49
	v_lshlrev_b32_e32 v27, 2, v27
	global_load_dword v27, v27, s[16:17]
	v_dot4c_i32_i8_e32 v41, v35, v36
	v_cvt_f32_i32_e32 v36, v52
	v_mov_b32_e32 v52, 0
	s_waitcnt vmcnt(0)
	v_and_b32_e32 v49, 0xf0f0f0f, v27
	v_lshrrev_b32_e32 v27, 4, v27
	v_dot4c_i32_i8_e32 v41, v49, v37
	v_and_b32_e32 v60, 0xf0f0f0f, v27
	v_dot4c_i32_i8_e32 v41, v60, v22
	v_lshlrev_b32_sdwa v22, v31, v42 dst_sel:DWORD dst_unused:UNUSED_PAD src0_sel:DWORD src1_sel:WORD_0
	v_and_or_b32 v22, v22, s23, v51
	v_lshlrev_b32_e32 v22, 2, v22
	global_load_dword v22, v22, s[16:17]
	v_and_b32_sdwa v27, v42, s26 dst_sel:DWORD dst_unused:UNUSED_PAD src0_sel:WORD_0 src1_sel:DWORD
	v_cvt_f32_u32_e32 v27, v27
	s_waitcnt vmcnt(0)
	v_and_b32_e32 v51, 0xf0f0f0f, v22
	v_lshrrev_b32_e32 v22, 4, v22
	v_and_b32_e32 v61, 0xf0f0f0f, v22
	v_lshrrev_b32_sdwa v22, v32, v42 dst_sel:DWORD dst_unused:UNUSED_PAD src0_sel:DWORD src1_sel:WORD_0
	v_and_or_b32 v22, v22, s23, v50
	v_lshlrev_b32_e32 v22, 2, v22
	global_load_dword v22, v22, s[16:17]
	v_dot4c_i32_i8_e32 v41, v51, v23
	v_dot4c_i32_i8_e32 v41, v61, v24
	v_lshrrev_b32_sdwa v24, v33, v42 dst_sel:DWORD dst_unused:UNUSED_PAD src0_sel:DWORD src1_sel:WORD_0
	v_cvt_f32_f16_e32 v23, v26
	v_and_or_b32 v24, v24, 14, 1
	s_waitcnt vmcnt(0)
	v_and_b32_e32 v50, 0xf0f0f0f, v22
	v_dot4c_i32_i8_e32 v41, v50, v25
	v_lshrrev_b32_sdwa v25, v33, v45 dst_sel:DWORD dst_unused:UNUSED_PAD src0_sel:DWORD src1_sel:WORD_0
	v_and_or_b32 v26, v25, 14, 1
	v_lshrrev_b32_e32 v22, 4, v22
	v_cvt_f32_ubyte0_e32 v25, v24
	v_cvt_f32_ubyte0_e32 v24, v26
	v_and_b32_sdwa v26, v45, s26 dst_sel:DWORD dst_unused:UNUSED_PAD src0_sel:WORD_0 src1_sel:DWORD
	v_and_b32_e32 v62, 0xf0f0f0f, v22
	v_cvt_f32_u32_e32 v26, v26
	v_dot4c_i32_i8_e32 v41, v62, v39
	v_cvt_f32_f16_e32 v22, v48
	v_pk_fma_f32 v[26:27], v[26:27], s[2:3], v[20:21] op_sel_hi:[1,0,0] neg_lo:[1,0,0] neg_hi:[1,0,0]
	s_nop 0
	v_cvt_f32_i32_e32 v37, v41
	v_pk_mul_f32 v[40:41], v[26:27], v[40:41] op_sel_hi:[1,0]
	v_pk_mul_f32 v[24:25], v[24:25], v[22:23]
	v_pk_fma_f32 v[36:37], v[38:39], v[36:37], v[40:41] op_sel_hi:[0,1,1]
	v_pk_fma_f32 v[4:5], v[24:25], v[36:37], v[4:5]
	v_mad_u64_u32 v[36:37], s[16:17], v28, 36, s[24:25]
	v_mad_u64_u32 v[44:45], s[16:17], v10, 36, v[36:37]
	global_load_dword v48, v[44:45], off offset:32
	global_load_dwordx4 v[36:39], v[44:45], off offset:16
	global_load_dwordx4 v[40:43], v[44:45], off
	v_mov_b32_e32 v45, 0
	v_add_u32_e32 v28, 0x80, v28
	s_waitcnt vmcnt(0)
	v_dot4c_i32_i8_e32 v45, v46, v41
	v_dot4c_i32_i8_e32 v52, v59, v41
	v_dot4c_i32_i8_e32 v45, v53, v42
	v_dot4c_i32_i8_e32 v52, v35, v42
	v_dot4c_i32_i8_e32 v45, v54, v43
	v_dot4c_i32_i8_e32 v52, v49, v43
	v_dot4c_i32_i8_e32 v45, v55, v36
	v_dot4c_i32_i8_e32 v52, v60, v36
	v_dot4c_i32_i8_e32 v45, v47, v37
	v_dot4c_i32_i8_e32 v52, v51, v37
	v_dot4c_i32_i8_e32 v45, v56, v38
	v_dot4c_i32_i8_e32 v52, v61, v38
	v_dot4c_i32_i8_e32 v45, v57, v39
	v_dot4c_i32_i8_e32 v52, v50, v39
	v_cvt_f32_f16_e32 v44, v40
	v_cvt_f32_f16_sdwa v40, v40 dst_sel:DWORD dst_unused:UNUSED_PAD src0_sel:WORD_1
	v_dot4c_i32_i8_e32 v45, v58, v48
	v_dot4c_i32_i8_e32 v52, v62, v48
	v_pk_mul_f32 v[38:39], v[26:27], v[40:41] op_sel_hi:[1,0]
	s_nop 0
	v_cvt_f32_i32_e32 v36, v45
	v_cvt_f32_i32_e32 v37, v52
	v_mov_b32_e32 v52, 0
	v_pk_fma_f32 v[36:37], v[44:45], v[36:37], v[38:39] op_sel_hi:[0,1,1]
	v_pk_fma_f32 v[6:7], v[24:25], v[36:37], v[6:7]
	v_mad_u64_u32 v[36:37], s[16:17], v15, 36, s[24:25]
	v_mad_u64_u32 v[44:45], s[16:17], v10, 36, v[36:37]
	global_load_dword v48, v[44:45], off offset:32
	global_load_dwordx4 v[36:39], v[44:45], off offset:16
	global_load_dwordx4 v[40:43], v[44:45], off
	v_mov_b32_e32 v45, 0
	v_add_u32_e32 v15, 0x80, v15
	s_waitcnt vmcnt(0)
	v_dot4c_i32_i8_e32 v45, v46, v41
	v_dot4c_i32_i8_e32 v52, v59, v41
	;; [unrolled: 1-line block ×14, first 2 shown]
	v_cvt_f32_f16_e32 v44, v40
	v_cvt_f32_f16_sdwa v40, v40 dst_sel:DWORD dst_unused:UNUSED_PAD src0_sel:WORD_1
	v_dot4c_i32_i8_e32 v45, v58, v48
	v_dot4c_i32_i8_e32 v52, v62, v48
	v_mov_b32_e32 v43, 0
	v_pk_mul_f32 v[26:27], v[26:27], v[40:41] op_sel_hi:[1,0]
	v_cvt_f32_i32_e32 v36, v45
	v_cvt_f32_i32_e32 v37, v52
	v_pk_fma_f32 v[26:27], v[44:45], v[36:37], v[26:27] op_sel_hi:[0,1,1]
	v_pk_fma_f32 v[0:1], v[24:25], v[26:27], v[0:1]
	v_mad_u64_u32 v[24:25], s[16:17], v14, 36, s[24:25]
	v_mad_u64_u32 v[40:41], s[16:17], v10, 36, v[24:25]
	global_load_dword v42, v[40:41], off offset:32
	global_load_dwordx4 v[24:27], v[40:41], off offset:16
	global_load_dwordx4 v[36:39], v[40:41], off
	v_mov_b32_e32 v41, 0
	v_add_u32_e32 v14, 0x80, v14
	s_waitcnt vmcnt(0)
	v_dot4c_i32_i8_e32 v41, v46, v37
	v_dot4c_i32_i8_e32 v43, v59, v37
	;; [unrolled: 1-line block ×8, first 2 shown]
	v_pk_lshrrev_b16 v24, 11, v34 op_sel_hi:[0,1]
	v_and_b32_e32 v24, 0xe000e, v24
	v_or_b32_e32 v24, 0x10001, v24
	v_dot4c_i32_i8_e32 v41, v47, v25
	v_dot4c_i32_i8_e32 v43, v51, v25
	v_cvt_f32_ubyte2_e32 v25, v24
	v_cvt_f32_ubyte0_e32 v24, v24
	v_pk_mul_f32 v[22:23], v[24:25], v[22:23]
	v_and_b32_e32 v24, 0x80008000, v34
	v_dot4c_i32_i8_e32 v41, v56, v26
	v_dot4c_i32_i8_e32 v43, v61, v26
	v_cvt_f32_u32_sdwa v25, v24 dst_sel:DWORD dst_unused:UNUSED_PAD src0_sel:WORD_1
	v_and_b32_e32 v24, 0x8000, v24
	v_dot4c_i32_i8_e32 v41, v57, v27
	v_dot4c_i32_i8_e32 v43, v50, v27
	v_cvt_f32_u32_e32 v24, v24
	v_cvt_f32_f16_e32 v40, v36
	v_cvt_f32_f16_sdwa v36, v36 dst_sel:DWORD dst_unused:UNUSED_PAD src0_sel:WORD_1
	v_dot4c_i32_i8_e32 v41, v58, v42
	v_dot4c_i32_i8_e32 v43, v62, v42
	v_pk_fma_f32 v[24:25], v[24:25], s[2:3], v[20:21] op_sel_hi:[1,0,0] neg_lo:[1,0,0] neg_hi:[1,0,0]
	s_nop 0
	v_cvt_f32_i32_e32 v26, v41
	v_cvt_f32_i32_e32 v27, v43
	v_pk_mul_f32 v[24:25], v[24:25], v[36:37] op_sel_hi:[1,0]
	s_nop 0
	v_pk_fma_f32 v[24:25], v[40:41], v[26:27], v[24:25] op_sel_hi:[0,1,1]
	v_pk_fma_f32 v[2:3], v[22:23], v[24:25], v[2:3]
	s_andn2_b64 exec, exec, s[8:9]
	s_cbranch_execnz .LBB211_2
; %bb.3:
	s_or_b64 exec, exec, s[8:9]
	scratch_store_dwordx4 off, v[4:7], off
	scratch_store_dwordx4 off, v[0:3], off offset:16
.LBB211_4:
	s_or_b64 exec, exec, s[6:7]
	v_cmp_eq_u32_e32 vcc, 0, v9
	v_cmp_ne_u32_e64 s[6:7], 0, v9
	v_lshlrev_b32_e32 v10, 2, v8
	s_and_saveexec_b64 s[8:9], s[6:7]
	s_cbranch_execz .LBB211_6
; %bb.5:
	v_lshlrev_b32_e32 v9, 11, v9
	s_movk_i32 s2, 0xf800
	v_add3_u32 v9, v9, v10, s2
	ds_write2st64_b32 v9, v4, v5 offset1:1
	ds_write2st64_b32 v9, v6, v7 offset0:2 offset1:3
	ds_write2st64_b32 v9, v0, v1 offset0:4 offset1:5
	;; [unrolled: 1-line block ×3, first 2 shown]
.LBB211_6:
	s_or_b64 exec, exec, s[8:9]
	s_waitcnt lgkmcnt(0)
	s_barrier
	s_and_saveexec_b64 s[6:7], vcc
	s_cbranch_execz .LBB211_15
; %bb.7:
	scratch_load_dwordx2 v[2:3], off, off
	v_mbcnt_lo_u32_b32 v0, -1, 0
	ds_read2st64_b32 v[4:5], v10 offset1:1
	v_mbcnt_hi_u32_b32 v9, -1, v0
	v_and_b32_e32 v0, 64, v9
	v_xor_b32_e32 v1, 32, v9
	v_add_u32_e32 v14, 64, v0
	v_cmp_lt_i32_e32 vcc, v1, v14
	v_xor_b32_e32 v6, 16, v9
	v_xor_b32_e32 v11, 8, v9
	v_cndmask_b32_e32 v0, v9, v1, vcc
	v_lshlrev_b32_e32 v0, 2, v0
	v_cmp_lt_i32_e32 vcc, v6, v14
	v_xor_b32_e32 v12, 4, v9
	v_xor_b32_e32 v15, 2, v9
	v_cndmask_b32_e32 v1, v9, v6, vcc
	v_lshlrev_b32_e32 v1, 2, v1
	v_cmp_lt_i32_e32 vcc, v11, v14
	s_load_dwordx2 s[0:1], s[0:1], 0x38
	s_mul_i32 s2, s3, s14
	s_mul_i32 s4, s4, s18
	s_add_i32 s2, s2, s5
	s_mov_b32 s3, 0
	s_add_i32 s2, s2, s4
	s_lshl_b64 s[2:3], s[2:3], 2
	s_waitcnt lgkmcnt(0)
	s_add_u32 s2, s0, s2
	s_addc_u32 s3, s1, s3
	s_waitcnt vmcnt(0)
	v_pk_add_f32 v[2:3], v[4:5], v[2:3]
	ds_bpermute_b32 v4, v0, v2
	ds_bpermute_b32 v5, v0, v3
	s_waitcnt lgkmcnt(0)
	v_pk_add_f32 v[4:5], v[2:3], v[4:5]
	ds_bpermute_b32 v6, v1, v4
	ds_bpermute_b32 v7, v1, v5
	v_cndmask_b32_e32 v2, v9, v11, vcc
	v_lshlrev_b32_e32 v2, 2, v2
	v_cmp_lt_i32_e32 vcc, v12, v14
	v_xor_b32_e32 v11, 1, v9
	s_waitcnt lgkmcnt(0)
	v_pk_add_f32 v[4:5], v[4:5], v[6:7]
	ds_bpermute_b32 v6, v2, v4
	ds_bpermute_b32 v7, v2, v5
	v_cndmask_b32_e32 v3, v9, v12, vcc
	v_lshlrev_b32_e32 v3, 2, v3
	v_cmp_lt_i32_e32 vcc, v15, v14
	s_waitcnt lgkmcnt(0)
	v_pk_add_f32 v[6:7], v[4:5], v[6:7]
	ds_bpermute_b32 v12, v3, v6
	ds_bpermute_b32 v13, v3, v7
	v_cndmask_b32_e32 v4, v9, v15, vcc
	v_lshlrev_b32_e32 v4, 2, v4
	v_cmp_lt_i32_e32 vcc, v11, v14
	s_waitcnt lgkmcnt(0)
	v_pk_add_f32 v[6:7], v[6:7], v[12:13]
	ds_bpermute_b32 v12, v4, v6
	ds_bpermute_b32 v13, v4, v7
	v_cndmask_b32_e32 v5, v9, v11, vcc
	v_lshlrev_b32_e32 v5, 2, v5
	v_or_b32_e32 v9, s5, v8
	v_cmp_gt_u32_e32 vcc, 2, v8
	s_waitcnt lgkmcnt(0)
	v_pk_add_f32 v[6:7], v[6:7], v[12:13]
	ds_bpermute_b32 v12, v5, v6
	ds_bpermute_b32 v13, v5, v7
	v_cmp_gt_u32_e64 s[0:1], s10, v9
	s_and_b64 s[0:1], vcc, s[0:1]
	s_waitcnt lgkmcnt(0)
	v_pk_add_f32 v[6:7], v[6:7], v[12:13]
	scratch_store_dwordx2 off, v[6:7], off
	s_and_saveexec_b64 s[4:5], s[0:1]
	s_cbranch_execz .LBB211_9
; %bb.8:
	scratch_load_dword v6, v10, off
	s_waitcnt vmcnt(0)
	global_store_dword v10, v6, s[2:3]
.LBB211_9:
	s_or_b64 exec, exec, s[4:5]
	scratch_load_dwordx2 v[6:7], off, off offset:8
	ds_read2st64_b32 v[12:13], v10 offset0:2 offset1:3
	s_waitcnt vmcnt(0) lgkmcnt(0)
	v_pk_add_f32 v[6:7], v[12:13], v[6:7]
	ds_bpermute_b32 v12, v0, v6
	ds_bpermute_b32 v13, v0, v7
	s_waitcnt lgkmcnt(0)
	v_pk_add_f32 v[6:7], v[6:7], v[12:13]
	ds_bpermute_b32 v12, v1, v6
	ds_bpermute_b32 v13, v1, v7
	s_waitcnt lgkmcnt(0)
	;; [unrolled: 4-line block ×6, first 2 shown]
	v_pk_add_f32 v[6:7], v[6:7], v[12:13]
	scratch_store_dwordx2 off, v[6:7], off offset:8
	s_and_saveexec_b64 s[4:5], s[0:1]
	s_cbranch_execz .LBB211_11
; %bb.10:
	scratch_load_dword v9, v10, off offset:8
	v_add_u32_e32 v6, s10, v8
	v_mov_b32_e32 v7, 0
	v_lshl_add_u64 v[6:7], v[6:7], 2, s[2:3]
	s_waitcnt vmcnt(0)
	global_store_dword v[6:7], v9, off
.LBB211_11:
	s_or_b64 exec, exec, s[4:5]
	scratch_load_dwordx2 v[6:7], off, off offset:16
	ds_read2st64_b32 v[12:13], v10 offset0:4 offset1:5
	s_waitcnt vmcnt(0) lgkmcnt(0)
	v_pk_add_f32 v[6:7], v[12:13], v[6:7]
	ds_bpermute_b32 v12, v0, v6
	ds_bpermute_b32 v13, v0, v7
	s_waitcnt lgkmcnt(0)
	v_pk_add_f32 v[6:7], v[6:7], v[12:13]
	ds_bpermute_b32 v12, v1, v6
	ds_bpermute_b32 v13, v1, v7
	s_waitcnt lgkmcnt(0)
	;; [unrolled: 4-line block ×6, first 2 shown]
	v_pk_add_f32 v[6:7], v[6:7], v[12:13]
	scratch_store_dwordx2 off, v[6:7], off offset:16
	s_and_saveexec_b64 s[4:5], s[0:1]
	s_cbranch_execz .LBB211_13
; %bb.12:
	scratch_load_dword v9, v10, off offset:16
	v_lshl_or_b32 v6, s10, 1, v8
	v_mov_b32_e32 v7, 0
	v_lshl_add_u64 v[6:7], v[6:7], 2, s[2:3]
	s_waitcnt vmcnt(0)
	global_store_dword v[6:7], v9, off
.LBB211_13:
	s_or_b64 exec, exec, s[4:5]
	scratch_load_dwordx2 v[6:7], off, off offset:24
	ds_read2st64_b32 v[12:13], v10 offset0:6 offset1:7
	s_waitcnt vmcnt(0) lgkmcnt(0)
	v_pk_add_f32 v[6:7], v[12:13], v[6:7]
	ds_bpermute_b32 v12, v0, v6
	ds_bpermute_b32 v13, v0, v7
	s_waitcnt lgkmcnt(0)
	v_pk_add_f32 v[6:7], v[6:7], v[12:13]
	ds_bpermute_b32 v0, v1, v6
	ds_bpermute_b32 v1, v1, v7
	s_waitcnt lgkmcnt(0)
	;; [unrolled: 4-line block ×6, first 2 shown]
	v_pk_add_f32 v[0:1], v[0:1], v[2:3]
	scratch_store_dwordx2 off, v[0:1], off offset:24
	s_and_b64 exec, exec, s[0:1]
	s_cbranch_execz .LBB211_15
; %bb.14:
	scratch_load_dword v2, v10, off offset:24
	v_mad_u64_u32 v[0:1], s[0:1], s10, 3, v[8:9]
	v_mov_b32_e32 v1, 0
	v_lshl_add_u64 v[0:1], v[0:1], 2, s[2:3]
	s_waitcnt vmcnt(0)
	global_store_dword v[0:1], v2, off
.LBB211_15:
	s_endpgm
	.section	.rodata,"a",@progbits
	.p2align	6, 0x0
	.amdhsa_kernel _ZL13mul_mat_vec_qIL9ggml_type19ELi4ELb0ELb0EEvPKvS2_PKi31ggml_cuda_mm_fusion_args_devicePfj15HIP_vector_typeIjLj3EEjjjS8_jjjS8_jjjj
		.amdhsa_group_segment_fixed_size 2048
		.amdhsa_private_segment_fixed_size 48
		.amdhsa_kernarg_size 144
		.amdhsa_user_sgpr_count 2
		.amdhsa_user_sgpr_dispatch_ptr 0
		.amdhsa_user_sgpr_queue_ptr 0
		.amdhsa_user_sgpr_kernarg_segment_ptr 1
		.amdhsa_user_sgpr_dispatch_id 0
		.amdhsa_user_sgpr_kernarg_preload_length 0
		.amdhsa_user_sgpr_kernarg_preload_offset 0
		.amdhsa_user_sgpr_private_segment_size 0
		.amdhsa_uses_dynamic_stack 0
		.amdhsa_enable_private_segment 1
		.amdhsa_system_sgpr_workgroup_id_x 1
		.amdhsa_system_sgpr_workgroup_id_y 1
		.amdhsa_system_sgpr_workgroup_id_z 1
		.amdhsa_system_sgpr_workgroup_info 0
		.amdhsa_system_vgpr_workitem_id 1
		.amdhsa_next_free_vgpr 63
		.amdhsa_next_free_sgpr 30
		.amdhsa_accum_offset 64
		.amdhsa_reserve_vcc 1
		.amdhsa_float_round_mode_32 0
		.amdhsa_float_round_mode_16_64 0
		.amdhsa_float_denorm_mode_32 3
		.amdhsa_float_denorm_mode_16_64 3
		.amdhsa_dx10_clamp 1
		.amdhsa_ieee_mode 1
		.amdhsa_fp16_overflow 0
		.amdhsa_tg_split 0
		.amdhsa_exception_fp_ieee_invalid_op 0
		.amdhsa_exception_fp_denorm_src 0
		.amdhsa_exception_fp_ieee_div_zero 0
		.amdhsa_exception_fp_ieee_overflow 0
		.amdhsa_exception_fp_ieee_underflow 0
		.amdhsa_exception_fp_ieee_inexact 0
		.amdhsa_exception_int_div_zero 0
	.end_amdhsa_kernel
	.section	.text._ZL13mul_mat_vec_qIL9ggml_type19ELi4ELb0ELb0EEvPKvS2_PKi31ggml_cuda_mm_fusion_args_devicePfj15HIP_vector_typeIjLj3EEjjjS8_jjjS8_jjjj,"axG",@progbits,_ZL13mul_mat_vec_qIL9ggml_type19ELi4ELb0ELb0EEvPKvS2_PKi31ggml_cuda_mm_fusion_args_devicePfj15HIP_vector_typeIjLj3EEjjjS8_jjjS8_jjjj,comdat
.Lfunc_end211:
	.size	_ZL13mul_mat_vec_qIL9ggml_type19ELi4ELb0ELb0EEvPKvS2_PKi31ggml_cuda_mm_fusion_args_devicePfj15HIP_vector_typeIjLj3EEjjjS8_jjjS8_jjjj, .Lfunc_end211-_ZL13mul_mat_vec_qIL9ggml_type19ELi4ELb0ELb0EEvPKvS2_PKi31ggml_cuda_mm_fusion_args_devicePfj15HIP_vector_typeIjLj3EEjjjS8_jjjS8_jjjj
                                        ; -- End function
	.section	.AMDGPU.csdata,"",@progbits
; Kernel info:
; codeLenInByte = 3244
; NumSgprs: 36
; NumVgprs: 63
; NumAgprs: 0
; TotalNumVgprs: 63
; ScratchSize: 48
; MemoryBound: 0
; FloatMode: 240
; IeeeMode: 1
; LDSByteSize: 2048 bytes/workgroup (compile time only)
; SGPRBlocks: 4
; VGPRBlocks: 7
; NumSGPRsForWavesPerEU: 36
; NumVGPRsForWavesPerEU: 63
; AccumOffset: 64
; Occupancy: 8
; WaveLimiterHint : 0
; COMPUTE_PGM_RSRC2:SCRATCH_EN: 1
; COMPUTE_PGM_RSRC2:USER_SGPR: 2
; COMPUTE_PGM_RSRC2:TRAP_HANDLER: 0
; COMPUTE_PGM_RSRC2:TGID_X_EN: 1
; COMPUTE_PGM_RSRC2:TGID_Y_EN: 1
; COMPUTE_PGM_RSRC2:TGID_Z_EN: 1
; COMPUTE_PGM_RSRC2:TIDIG_COMP_CNT: 1
; COMPUTE_PGM_RSRC3_GFX90A:ACCUM_OFFSET: 15
; COMPUTE_PGM_RSRC3_GFX90A:TG_SPLIT: 0
	.section	.text._ZL13mul_mat_vec_qIL9ggml_type19ELi5ELb0ELb0EEvPKvS2_PKi31ggml_cuda_mm_fusion_args_devicePfj15HIP_vector_typeIjLj3EEjjjS8_jjjS8_jjjj,"axG",@progbits,_ZL13mul_mat_vec_qIL9ggml_type19ELi5ELb0ELb0EEvPKvS2_PKi31ggml_cuda_mm_fusion_args_devicePfj15HIP_vector_typeIjLj3EEjjjS8_jjjS8_jjjj,comdat
	.globl	_ZL13mul_mat_vec_qIL9ggml_type19ELi5ELb0ELb0EEvPKvS2_PKi31ggml_cuda_mm_fusion_args_devicePfj15HIP_vector_typeIjLj3EEjjjS8_jjjS8_jjjj ; -- Begin function _ZL13mul_mat_vec_qIL9ggml_type19ELi5ELb0ELb0EEvPKvS2_PKi31ggml_cuda_mm_fusion_args_devicePfj15HIP_vector_typeIjLj3EEjjjS8_jjjS8_jjjj
	.p2align	8
	.type	_ZL13mul_mat_vec_qIL9ggml_type19ELi5ELb0ELb0EEvPKvS2_PKi31ggml_cuda_mm_fusion_args_devicePfj15HIP_vector_typeIjLj3EEjjjS8_jjjS8_jjjj,@function
_ZL13mul_mat_vec_qIL9ggml_type19ELi5ELb0ELb0EEvPKvS2_PKi31ggml_cuda_mm_fusion_args_devicePfj15HIP_vector_typeIjLj3EEjjjS8_jjjS8_jjjj: ; @_ZL13mul_mat_vec_qIL9ggml_type19ELi5ELb0ELb0EEvPKvS2_PKi31ggml_cuda_mm_fusion_args_devicePfj15HIP_vector_typeIjLj3EEjjjS8_jjjS8_jjjj
; %bb.0:
	v_bfe_u32 v9, v0, 10, 10
	v_and_b32_e32 v8, 0x3ff, v0
	s_mov_b32 s20, 0
	s_load_dword s5, s[0:1], 0x40
	s_load_dwordx4 s[8:11], s[0:1], 0x50
	s_load_dword s27, s[0:1], 0x60
	s_load_dwordx4 s[12:15], s[0:1], 0x68
	s_load_dword s26, s[0:1], 0x78
	s_load_dwordx4 s[16:19], s[0:1], 0x80
	v_lshl_or_b32 v4, v9, 6, v8
	s_mov_b32 s21, s20
	s_waitcnt lgkmcnt(0)
	s_lshr_b32 s5, s5, 8
	v_mov_b32_e32 v11, 0
	s_mov_b32 s22, s20
	s_mov_b32 s23, s20
	v_mov_b64_e32 v[0:1], s[20:21]
	v_lshrrev_b32_e32 v13, 3, v4
	s_lshl_b32 s19, s2, 1
	v_mov_b32_e32 v10, v11
	v_mov_b64_e32 v[2:3], s[22:23]
	v_cmp_gt_u32_e32 vcc, s5, v13
	scratch_store_dwordx2 off, v[10:11], off offset:32
	scratch_store_dwordx4 off, v[0:3], off offset:16
	scratch_store_dwordx4 off, v[0:3], off
	s_and_saveexec_b64 s[6:7], vcc
	s_cbranch_execz .LBB212_4
; %bb.1:
	s_load_dwordx4 s[20:23], s[0:1], 0x0
	s_mul_i32 s2, s4, s17
	s_mul_i32 s24, s2, 36
	;; [unrolled: 1-line block ×3, first 2 shown]
	s_mul_hi_u32 s17, s2, 36
	s_waitcnt lgkmcnt(0)
	s_add_u32 s24, s22, s24
	s_addc_u32 s17, s23, s17
	s_mul_i32 s28, s13, 36
	s_mul_hi_u32 s29, s13, 36
	s_add_u32 s24, s24, s28
	s_mul_hi_u32 s11, s11, s3
	s_addc_u32 s25, s17, s29
	s_add_i32 s11, s3, s11
	s_lshr_b32 s11, s11, s27
	s_mul_i32 s11, s11, s12
	s_mul_hi_u32 s12, s15, s4
	s_add_i32 s12, s4, s12
	s_lshr_b32 s12, s12, s26
	s_mul_i32 s12, s12, s16
	s_mul_i32 s13, s19, s8
	s_add_i32 s12, s12, s11
	s_add_i32 s11, s12, s13
	;; [unrolled: 1-line block ×3, first 2 shown]
	s_mul_i32 s8, s8, s13
	v_lshl_add_u32 v1, v9, 6, v8
	s_add_i32 s8, s12, s8
	v_lshrrev_b32_e32 v1, 3, v1
	s_movk_i32 s12, 0x120
	v_mov_b64_e32 v[2:3], s[28:29]
	v_mad_u64_u32 v[2:3], s[12:13], v1, s12, v[2:3]
	v_and_b32_e32 v12, 7, v8
	v_mad_u64_u32 v[2:3], s[12:13], s2, 36, v[2:3]
	v_mad_u64_u32 v[2:3], s[12:13], v12, 36, v[2:3]
	v_lshlrev_b32_e32 v0, 1, v12
	v_lshl_add_u64 v[2:3], v[2:3], 0, s[22:23]
	v_lshlrev_b32_e32 v21, 3, v13
	s_lshl_b32 s15, s9, 2
	s_mul_i32 s26, s9, 3
	s_lshl_b32 s27, s9, 1
	v_lshl_add_u64 v[14:15], v[2:3], 0, 16
	s_mov_b64 s[12:13], 0
	v_lshlrev_b32_e32 v10, 1, v0
	v_lshlrev_b32_e32 v16, 1, v12
	s_movk_i32 s28, 0x700
	s_mov_b32 s2, 0xb7000000
	v_mov_b32_e32 v20, 0xbf600000
	s_mov_b64 s[16:17], 0x900
	v_mov_b32_e32 v17, v11
	v_mov_b32_e32 v4, v11
	;; [unrolled: 1-line block ×11, first 2 shown]
.LBB212_2:                              ; =>This Inner Loop Header: Depth=1
	v_add_u32_e32 v26, s11, v13
	v_mad_i64_i32 v[26:27], s[22:23], v26, 50, s[20:21]
	v_lshl_add_u64 v[28:29], v[26:27], 0, v[10:11]
	global_load_dword v41, v[14:15], off offset:16
	global_load_dwordx4 v[22:25], v[14:15], off
	global_load_dwordx4 v[36:39], v[14:15], off offset:-16
	global_load_dword v30, v[28:29], off offset:2
	global_load_ushort v43, v[26:27], off
	v_lshl_add_u64 v[28:29], v[26:27], 0, v[16:17]
	global_load_ushort v42, v[28:29], off offset:34
	v_add_u32_e32 v26, s8, v13
	v_mad_i64_i32 v[26:27], s[22:23], v26, 50, s[20:21]
	v_lshl_add_u64 v[28:29], v[26:27], 0, v[10:11]
	global_load_dword v33, v[28:29], off offset:2
	global_load_ushort v49, v[26:27], off
	v_lshl_add_u64 v[28:29], v[26:27], 0, v[16:17]
	global_load_ushort v46, v[28:29], off offset:34
	s_getpc_b64 s[22:23]
	s_add_u32 s22, s22, _ZL13iq1s_grid_gpu@rel32@lo+4
	s_addc_u32 s23, s23, _ZL13iq1s_grid_gpu@rel32@hi+12
	v_mov_b32_e32 v50, 0
	v_add_u32_e32 v13, 8, v13
	v_cmp_le_u32_e32 vcc, s5, v13
	v_lshl_add_u64 v[14:15], v[14:15], 0, s[16:17]
	s_or_b64 s[12:13], vcc, s[12:13]
	s_waitcnt vmcnt(6)
	v_cvt_f32_f16_e32 v40, v36
	s_waitcnt vmcnt(5)
	v_lshrrev_b16_e32 v31, 8, v30
	v_lshrrev_b32_e32 v34, 24, v30
	v_and_b32_e32 v32, 0xff, v30
	s_waitcnt vmcnt(3)
	v_lshlrev_b32_e32 v28, 5, v42
	v_bfe_u32 v30, v30, 16, 8
	v_lshlrev_b32_e32 v26, 8, v42
	v_and_or_b32 v28, v28, s28, v31
	v_lshlrev_b32_e32 v31, 2, v42
	v_and_or_b32 v26, v26, s28, v32
	v_and_or_b32 v30, v31, s28, v30
	v_lshlrev_b32_e32 v26, 2, v26
	v_lshlrev_b32_e32 v28, 2, v28
	;; [unrolled: 1-line block ×3, first 2 shown]
	global_load_dword v27, v26, s[22:23]
	global_load_dword v29, v28, s[22:23]
	s_waitcnt vmcnt(4)
	v_lshrrev_b16_e32 v44, 8, v33
	global_load_dword v30, v30, s[22:23]
	v_lshrrev_b32_e32 v45, 24, v33
	v_and_b32_e32 v47, 0xff, v33
	v_bfe_u32 v48, v33, 16, 8
	v_cvt_f32_f16_sdwa v36, v36 dst_sel:DWORD dst_unused:UNUSED_PAD src0_sel:WORD_1
	s_waitcnt vmcnt(2)
	v_and_b32_e32 v26, 0xf0f0f0f, v27
	v_dot4c_i32_i8_e32 v50, v26, v37
	v_lshrrev_b32_e32 v27, 4, v27
	s_waitcnt vmcnt(0)
	v_and_b32_e32 v32, 0xf0f0f0f, v30
	v_lshrrev_b32_e32 v30, 4, v30
	v_and_b32_e32 v33, 0xf0f0f0f, v30
	v_lshrrev_b32_e32 v30, 1, v42
	v_and_or_b32 v30, v30, s28, v34
	v_lshlrev_b32_e32 v30, 2, v30
	global_load_dword v30, v30, s[22:23]
	v_and_b32_e32 v27, 0xf0f0f0f, v27
	v_dot4c_i32_i8_e32 v50, v27, v38
	v_and_b32_e32 v28, 0xf0f0f0f, v29
	v_lshrrev_b32_e32 v29, 4, v29
	v_and_b32_e32 v29, 0xf0f0f0f, v29
	v_dot4c_i32_i8_e32 v50, v28, v39
	v_dot4c_i32_i8_e32 v50, v29, v22
	;; [unrolled: 1-line block ×4, first 2 shown]
	s_waitcnt vmcnt(0)
	v_and_b32_e32 v34, 0xf0f0f0f, v30
	v_lshrrev_b32_e32 v30, 4, v30
	v_and_b32_e32 v35, 0xf0f0f0f, v30
	v_lshlrev_b32_e32 v30, 8, v46
	v_and_or_b32 v30, v30, s28, v47
	v_lshlrev_b32_e32 v30, 2, v30
	global_load_dword v30, v30, s[22:23]
	v_mov_b32_e32 v47, 0
	v_dot4c_i32_i8_e32 v50, v34, v25
	v_dot4c_i32_i8_e32 v50, v35, v41
	s_waitcnt vmcnt(0)
	v_and_b32_e32 v31, 0xf0f0f0f, v30
	v_dot4c_i32_i8_e32 v47, v31, v37
	v_lshlrev_b32_e32 v37, 5, v46
	v_and_or_b32 v37, v37, s28, v44
	v_lshlrev_b32_e32 v37, 2, v37
	global_load_dword v37, v37, s[22:23]
	v_lshrrev_b32_e32 v30, 4, v30
	v_and_b32_e32 v30, 0xf0f0f0f, v30
	v_dot4c_i32_i8_e32 v47, v30, v38
	v_cvt_f32_i32_e32 v38, v50
	s_waitcnt vmcnt(0)
	v_and_b32_e32 v51, 0xf0f0f0f, v37
	v_lshrrev_b32_e32 v37, 4, v37
	v_and_b32_e32 v52, 0xf0f0f0f, v37
	v_dot4c_i32_i8_e32 v47, v51, v39
	v_dot4c_i32_i8_e32 v47, v52, v22
	v_lshlrev_b32_e32 v22, 2, v46
	v_and_or_b32 v22, v22, s28, v48
	v_lshlrev_b32_e32 v22, 2, v22
	global_load_dword v22, v22, s[22:23]
	s_waitcnt vmcnt(0)
	v_and_b32_e32 v48, 0xf0f0f0f, v22
	v_lshrrev_b32_e32 v22, 4, v22
	v_and_b32_e32 v53, 0xf0f0f0f, v22
	v_lshrrev_b32_e32 v22, 1, v46
	v_and_or_b32 v22, v22, s28, v45
	v_lshlrev_b32_e32 v22, 2, v22
	global_load_dword v22, v22, s[22:23]
	v_dot4c_i32_i8_e32 v47, v48, v23
	v_dot4c_i32_i8_e32 v47, v53, v24
	v_cvt_f32_f16_e32 v23, v49
	v_lshrrev_b32_e32 v24, 11, v46
	v_and_or_b32 v24, v24, 14, 1
	s_waitcnt vmcnt(0)
	v_and_b32_e32 v54, 0xf0f0f0f, v22
	v_lshrrev_b32_e32 v22, 4, v22
	v_and_b32_e32 v55, 0xf0f0f0f, v22
	v_cvt_f32_f16_e32 v22, v43
	v_dot4c_i32_i8_e32 v47, v54, v25
	v_lshrrev_b32_e32 v25, 11, v42
	v_and_or_b32 v37, v25, 14, 1
	v_cvt_f32_ubyte0_e32 v25, v24
	v_cvt_f32_ubyte0_e32 v24, v37
	v_pk_mul_f32 v[22:23], v[24:25], v[22:23]
	v_and_b32_e32 v24, 0x8000, v42
	v_and_b32_e32 v25, 0x8000, v46
	v_cvt_f32_u32_e32 v25, v25
	v_cvt_f32_u32_e32 v24, v24
	v_dot4c_i32_i8_e32 v47, v55, v41
	v_pk_fma_f32 v[24:25], v[24:25], s[2:3], v[20:21] op_sel_hi:[1,0,0]
	s_nop 1
	v_cvt_f32_i32_e32 v39, v47
	v_pk_mul_f32 v[36:37], v[24:25], v[36:37] op_sel_hi:[1,0]
	v_mov_b32_e32 v47, 0
	v_pk_fma_f32 v[36:37], v[40:41], v[38:39], v[36:37] op_sel_hi:[0,1,1]
	v_pk_fma_f32 v[4:5], v[22:23], v[36:37], v[4:5]
	v_add_u32_e32 v36, s9, v21
	v_mad_u64_u32 v[36:37], s[22:23], v36, 36, s[24:25]
	v_mad_u64_u32 v[44:45], s[22:23], v12, 36, v[36:37]
	global_load_dword v46, v[44:45], off offset:32
	global_load_dwordx4 v[36:39], v[44:45], off offset:16
	global_load_dwordx4 v[40:43], v[44:45], off
	v_mov_b32_e32 v45, 0
	s_waitcnt vmcnt(0)
	v_dot4c_i32_i8_e32 v45, v26, v41
	v_dot4c_i32_i8_e32 v47, v31, v41
	v_dot4c_i32_i8_e32 v45, v27, v42
	v_dot4c_i32_i8_e32 v47, v30, v42
	v_dot4c_i32_i8_e32 v45, v28, v43
	v_dot4c_i32_i8_e32 v47, v51, v43
	v_dot4c_i32_i8_e32 v45, v29, v36
	v_dot4c_i32_i8_e32 v47, v52, v36
	v_dot4c_i32_i8_e32 v45, v32, v37
	v_dot4c_i32_i8_e32 v47, v48, v37
	v_dot4c_i32_i8_e32 v45, v33, v38
	v_dot4c_i32_i8_e32 v47, v53, v38
	v_dot4c_i32_i8_e32 v45, v34, v39
	v_dot4c_i32_i8_e32 v47, v54, v39
	v_cvt_f32_f16_e32 v44, v40
	v_cvt_f32_f16_sdwa v40, v40 dst_sel:DWORD dst_unused:UNUSED_PAD src0_sel:WORD_1
	v_dot4c_i32_i8_e32 v45, v35, v46
	v_dot4c_i32_i8_e32 v47, v55, v46
	v_pk_mul_f32 v[38:39], v[24:25], v[40:41] op_sel_hi:[1,0]
	s_nop 0
	v_cvt_f32_i32_e32 v36, v45
	v_cvt_f32_i32_e32 v37, v47
	v_mov_b32_e32 v47, 0
	v_pk_fma_f32 v[36:37], v[44:45], v[36:37], v[38:39] op_sel_hi:[0,1,1]
	v_pk_fma_f32 v[6:7], v[22:23], v[36:37], v[6:7]
	v_add_u32_e32 v36, s27, v21
	v_mad_u64_u32 v[36:37], s[22:23], v36, 36, s[24:25]
	v_mad_u64_u32 v[44:45], s[22:23], v12, 36, v[36:37]
	global_load_dword v46, v[44:45], off offset:32
	global_load_dwordx4 v[36:39], v[44:45], off offset:16
	global_load_dwordx4 v[40:43], v[44:45], off
	v_mov_b32_e32 v45, 0
	s_waitcnt vmcnt(0)
	v_dot4c_i32_i8_e32 v45, v26, v41
	v_dot4c_i32_i8_e32 v47, v31, v41
	v_dot4c_i32_i8_e32 v45, v27, v42
	v_dot4c_i32_i8_e32 v47, v30, v42
	v_dot4c_i32_i8_e32 v45, v28, v43
	v_dot4c_i32_i8_e32 v47, v51, v43
	v_dot4c_i32_i8_e32 v45, v29, v36
	v_dot4c_i32_i8_e32 v47, v52, v36
	v_dot4c_i32_i8_e32 v45, v32, v37
	v_dot4c_i32_i8_e32 v47, v48, v37
	v_dot4c_i32_i8_e32 v45, v33, v38
	v_dot4c_i32_i8_e32 v47, v53, v38
	v_dot4c_i32_i8_e32 v45, v34, v39
	v_dot4c_i32_i8_e32 v47, v54, v39
	v_cvt_f32_f16_e32 v44, v40
	v_cvt_f32_f16_sdwa v40, v40 dst_sel:DWORD dst_unused:UNUSED_PAD src0_sel:WORD_1
	v_dot4c_i32_i8_e32 v45, v35, v46
	v_dot4c_i32_i8_e32 v47, v55, v46
	v_pk_mul_f32 v[38:39], v[24:25], v[40:41] op_sel_hi:[1,0]
	s_nop 0
	v_cvt_f32_i32_e32 v36, v45
	v_cvt_f32_i32_e32 v37, v47
	;; [unrolled: 33-line block ×3, first 2 shown]
	v_pk_fma_f32 v[36:37], v[44:45], v[36:37], v[38:39] op_sel_hi:[0,1,1]
	v_pk_fma_f32 v[2:3], v[22:23], v[36:37], v[2:3]
	v_add_u32_e32 v36, s15, v21
	v_mad_u64_u32 v[36:37], s[22:23], v36, 36, s[24:25]
	v_mad_u64_u32 v[44:45], s[22:23], v12, 36, v[36:37]
	global_load_dword v46, v[44:45], off offset:32
	global_load_dwordx4 v[36:39], v[44:45], off offset:16
	global_load_dwordx4 v[40:43], v[44:45], off
	v_mov_b32_e32 v45, 0
	v_add_u32_e32 v21, 64, v21
	s_waitcnt vmcnt(0)
	v_dot4c_i32_i8_e32 v45, v26, v41
	v_mov_b32_e32 v26, 0
	v_dot4c_i32_i8_e32 v26, v31, v41
	v_dot4c_i32_i8_e32 v45, v27, v42
	;; [unrolled: 1-line block ×13, first 2 shown]
	v_cvt_f32_f16_e32 v44, v40
	v_cvt_f32_f16_sdwa v40, v40 dst_sel:DWORD dst_unused:UNUSED_PAD src0_sel:WORD_1
	v_dot4c_i32_i8_e32 v45, v35, v46
	v_dot4c_i32_i8_e32 v26, v55, v46
	v_pk_mul_f32 v[24:25], v[24:25], v[40:41] op_sel_hi:[1,0]
	s_nop 1
	v_cvt_f32_i32_e32 v27, v26
	v_cvt_f32_i32_e32 v26, v45
	v_pk_fma_f32 v[24:25], v[44:45], v[26:27], v[24:25] op_sel_hi:[0,1,1]
	v_pk_fma_f32 v[18:19], v[22:23], v[24:25], v[18:19]
	s_andn2_b64 exec, exec, s[12:13]
	s_cbranch_execnz .LBB212_2
; %bb.3:
	s_or_b64 exec, exec, s[12:13]
	scratch_store_dwordx4 off, v[4:7], off
	scratch_store_dwordx4 off, v[0:3], off offset:16
	scratch_store_dwordx2 off, v[18:19], off offset:32
.LBB212_4:
	s_or_b64 exec, exec, s[6:7]
	s_mov_b32 s5, 0
	v_cmp_eq_u32_e32 vcc, 0, v9
	s_waitcnt lgkmcnt(0)
	; wave barrier
	s_and_saveexec_b64 s[6:7], vcc
	s_cbranch_execz .LBB212_15
; %bb.5:
	scratch_load_dwordx2 v[2:3], off, off
	v_mbcnt_lo_u32_b32 v0, -1, 0
	v_mbcnt_hi_u32_b32 v9, -1, v0
	s_load_dwordx2 s[6:7], s[0:1], 0x38
	s_mul_i32 s0, s3, s14
	v_or_b32_e32 v1, s19, v8
	v_and_b32_e32 v0, 64, v9
	s_mul_i32 s4, s4, s18
	s_add_i32 s2, s0, s19
	v_cmp_gt_u32_e64 s[0:1], s10, v1
	v_xor_b32_e32 v1, 32, v9
	v_add_u32_e32 v14, 64, v0
	s_add_i32 s4, s2, s4
	v_cmp_lt_i32_e64 s[2:3], v1, v14
	v_cmp_gt_u32_e32 vcc, 2, v8
	s_nop 0
	v_cndmask_b32_e64 v0, v9, v1, s[2:3]
	v_lshlrev_b32_e32 v0, 2, v0
	v_xor_b32_e32 v1, 16, v9
	v_cmp_lt_i32_e64 s[2:3], v1, v14
	s_waitcnt vmcnt(0)
	ds_bpermute_b32 v4, v0, v2
	ds_bpermute_b32 v5, v0, v3
	v_cndmask_b32_e64 v1, v9, v1, s[2:3]
	v_lshlrev_b32_e32 v1, 2, v1
	s_waitcnt lgkmcnt(0)
	v_pk_add_f32 v[4:5], v[2:3], v[4:5]
	ds_bpermute_b32 v6, v1, v4
	ds_bpermute_b32 v7, v1, v5
	v_xor_b32_e32 v2, 8, v9
	v_cmp_lt_i32_e64 s[2:3], v2, v14
	v_xor_b32_e32 v3, 4, v9
	s_waitcnt lgkmcnt(0)
	v_pk_add_f32 v[4:5], v[4:5], v[6:7]
	v_cndmask_b32_e64 v2, v9, v2, s[2:3]
	v_lshlrev_b32_e32 v2, 2, v2
	ds_bpermute_b32 v6, v2, v4
	ds_bpermute_b32 v7, v2, v5
	v_cmp_lt_i32_e64 s[2:3], v3, v14
	s_waitcnt lgkmcnt(0)
	v_pk_add_f32 v[6:7], v[4:5], v[6:7]
	v_cndmask_b32_e64 v3, v9, v3, s[2:3]
	v_lshlrev_b32_e32 v3, 2, v3
	ds_bpermute_b32 v10, v3, v6
	ds_bpermute_b32 v11, v3, v7
	v_xor_b32_e32 v4, 2, v9
	v_cmp_lt_i32_e64 s[2:3], v4, v14
	v_xor_b32_e32 v5, 1, v9
	s_waitcnt lgkmcnt(0)
	v_pk_add_f32 v[10:11], v[6:7], v[10:11]
	v_cndmask_b32_e64 v4, v9, v4, s[2:3]
	v_lshlrev_b32_e32 v4, 2, v4
	ds_bpermute_b32 v12, v4, v10
	ds_bpermute_b32 v13, v4, v11
	v_cmp_lt_i32_e64 s[2:3], v5, v14
	s_waitcnt lgkmcnt(0)
	v_pk_add_f32 v[10:11], v[10:11], v[12:13]
	v_cndmask_b32_e64 v5, v9, v5, s[2:3]
	v_lshlrev_b32_e32 v6, 2, v5
	ds_bpermute_b32 v12, v6, v10
	ds_bpermute_b32 v13, v6, v11
	s_lshl_b64 s[2:3], s[4:5], 2
	s_add_u32 s2, s6, s2
	s_addc_u32 s3, s7, s3
	s_and_b64 s[0:1], vcc, s[0:1]
	s_waitcnt lgkmcnt(0)
	v_pk_add_f32 v[10:11], v[10:11], v[12:13]
	v_lshlrev_b32_e32 v5, 2, v8
	scratch_store_dwordx2 off, v[10:11], off
	s_and_saveexec_b64 s[4:5], s[0:1]
	s_cbranch_execz .LBB212_7
; %bb.6:
	scratch_load_dword v7, v5, off
	s_waitcnt vmcnt(0)
	global_store_dword v5, v7, s[2:3]
.LBB212_7:
	s_or_b64 exec, exec, s[4:5]
	scratch_load_dwordx2 v[10:11], off, off offset:8
	s_waitcnt vmcnt(0)
	ds_bpermute_b32 v12, v0, v10
	ds_bpermute_b32 v13, v0, v11
	s_waitcnt lgkmcnt(0)
	v_pk_add_f32 v[10:11], v[10:11], v[12:13]
	ds_bpermute_b32 v12, v1, v10
	ds_bpermute_b32 v13, v1, v11
	s_waitcnt lgkmcnt(0)
	v_pk_add_f32 v[10:11], v[10:11], v[12:13]
	;; [unrolled: 4-line block ×6, first 2 shown]
	scratch_store_dwordx2 off, v[10:11], off offset:8
	s_and_saveexec_b64 s[4:5], s[0:1]
	s_cbranch_execz .LBB212_9
; %bb.8:
	scratch_load_dword v7, v5, off offset:8
	v_add_u32_e32 v10, s10, v8
	v_mov_b32_e32 v11, 0
	v_lshl_add_u64 v[10:11], v[10:11], 2, s[2:3]
	s_waitcnt vmcnt(0)
	global_store_dword v[10:11], v7, off
.LBB212_9:
	s_or_b64 exec, exec, s[4:5]
	scratch_load_dwordx2 v[10:11], off, off offset:16
	s_waitcnt vmcnt(0)
	ds_bpermute_b32 v12, v0, v10
	ds_bpermute_b32 v13, v0, v11
	s_waitcnt lgkmcnt(0)
	v_pk_add_f32 v[10:11], v[10:11], v[12:13]
	ds_bpermute_b32 v12, v1, v10
	ds_bpermute_b32 v13, v1, v11
	s_waitcnt lgkmcnt(0)
	v_pk_add_f32 v[10:11], v[10:11], v[12:13]
	;; [unrolled: 4-line block ×6, first 2 shown]
	scratch_store_dwordx2 off, v[10:11], off offset:16
	s_and_saveexec_b64 s[4:5], s[0:1]
	s_cbranch_execz .LBB212_11
; %bb.10:
	scratch_load_dword v7, v5, off offset:16
	v_lshl_or_b32 v10, s10, 1, v8
	v_mov_b32_e32 v11, 0
	v_lshl_add_u64 v[10:11], v[10:11], 2, s[2:3]
	s_waitcnt vmcnt(0)
	global_store_dword v[10:11], v7, off
.LBB212_11:
	s_or_b64 exec, exec, s[4:5]
	scratch_load_dwordx2 v[10:11], off, off offset:24
	s_waitcnt vmcnt(0)
	ds_bpermute_b32 v12, v0, v10
	ds_bpermute_b32 v13, v0, v11
	s_waitcnt lgkmcnt(0)
	v_pk_add_f32 v[10:11], v[10:11], v[12:13]
	ds_bpermute_b32 v12, v1, v10
	ds_bpermute_b32 v13, v1, v11
	s_waitcnt lgkmcnt(0)
	v_pk_add_f32 v[10:11], v[10:11], v[12:13]
	;; [unrolled: 4-line block ×6, first 2 shown]
	scratch_store_dwordx2 off, v[10:11], off offset:24
	s_and_saveexec_b64 s[4:5], s[0:1]
	s_cbranch_execz .LBB212_13
; %bb.12:
	scratch_load_dword v7, v5, off offset:24
	v_mad_u64_u32 v[10:11], s[6:7], s10, 3, v[8:9]
	v_mov_b32_e32 v11, 0
	v_lshl_add_u64 v[10:11], v[10:11], 2, s[2:3]
	s_waitcnt vmcnt(0)
	global_store_dword v[10:11], v7, off
.LBB212_13:
	s_or_b64 exec, exec, s[4:5]
	scratch_load_dwordx2 v[10:11], off, off offset:32
	s_waitcnt vmcnt(0)
	ds_bpermute_b32 v12, v0, v10
	ds_bpermute_b32 v13, v0, v11
	s_waitcnt lgkmcnt(0)
	v_pk_add_f32 v[10:11], v[10:11], v[12:13]
	ds_bpermute_b32 v0, v1, v10
	ds_bpermute_b32 v1, v1, v11
	s_waitcnt lgkmcnt(0)
	v_pk_add_f32 v[0:1], v[10:11], v[0:1]
	;; [unrolled: 4-line block ×6, first 2 shown]
	scratch_store_dwordx2 off, v[0:1], off offset:32
	s_and_b64 exec, exec, s[0:1]
	s_cbranch_execz .LBB212_15
; %bb.14:
	scratch_load_dword v2, v5, off offset:32
	v_lshl_or_b32 v0, s10, 2, v8
	v_mov_b32_e32 v1, 0
	v_lshl_add_u64 v[0:1], v[0:1], 2, s[2:3]
	s_waitcnt vmcnt(0)
	global_store_dword v[0:1], v2, off
.LBB212_15:
	s_endpgm
	.section	.rodata,"a",@progbits
	.p2align	6, 0x0
	.amdhsa_kernel _ZL13mul_mat_vec_qIL9ggml_type19ELi5ELb0ELb0EEvPKvS2_PKi31ggml_cuda_mm_fusion_args_devicePfj15HIP_vector_typeIjLj3EEjjjS8_jjjS8_jjjj
		.amdhsa_group_segment_fixed_size 0
		.amdhsa_private_segment_fixed_size 48
		.amdhsa_kernarg_size 144
		.amdhsa_user_sgpr_count 2
		.amdhsa_user_sgpr_dispatch_ptr 0
		.amdhsa_user_sgpr_queue_ptr 0
		.amdhsa_user_sgpr_kernarg_segment_ptr 1
		.amdhsa_user_sgpr_dispatch_id 0
		.amdhsa_user_sgpr_kernarg_preload_length 0
		.amdhsa_user_sgpr_kernarg_preload_offset 0
		.amdhsa_user_sgpr_private_segment_size 0
		.amdhsa_uses_dynamic_stack 0
		.amdhsa_enable_private_segment 1
		.amdhsa_system_sgpr_workgroup_id_x 1
		.amdhsa_system_sgpr_workgroup_id_y 1
		.amdhsa_system_sgpr_workgroup_id_z 1
		.amdhsa_system_sgpr_workgroup_info 0
		.amdhsa_system_vgpr_workitem_id 1
		.amdhsa_next_free_vgpr 56
		.amdhsa_next_free_sgpr 30
		.amdhsa_accum_offset 56
		.amdhsa_reserve_vcc 1
		.amdhsa_float_round_mode_32 0
		.amdhsa_float_round_mode_16_64 0
		.amdhsa_float_denorm_mode_32 3
		.amdhsa_float_denorm_mode_16_64 3
		.amdhsa_dx10_clamp 1
		.amdhsa_ieee_mode 1
		.amdhsa_fp16_overflow 0
		.amdhsa_tg_split 0
		.amdhsa_exception_fp_ieee_invalid_op 0
		.amdhsa_exception_fp_denorm_src 0
		.amdhsa_exception_fp_ieee_div_zero 0
		.amdhsa_exception_fp_ieee_overflow 0
		.amdhsa_exception_fp_ieee_underflow 0
		.amdhsa_exception_fp_ieee_inexact 0
		.amdhsa_exception_int_div_zero 0
	.end_amdhsa_kernel
	.section	.text._ZL13mul_mat_vec_qIL9ggml_type19ELi5ELb0ELb0EEvPKvS2_PKi31ggml_cuda_mm_fusion_args_devicePfj15HIP_vector_typeIjLj3EEjjjS8_jjjS8_jjjj,"axG",@progbits,_ZL13mul_mat_vec_qIL9ggml_type19ELi5ELb0ELb0EEvPKvS2_PKi31ggml_cuda_mm_fusion_args_devicePfj15HIP_vector_typeIjLj3EEjjjS8_jjjS8_jjjj,comdat
.Lfunc_end212:
	.size	_ZL13mul_mat_vec_qIL9ggml_type19ELi5ELb0ELb0EEvPKvS2_PKi31ggml_cuda_mm_fusion_args_devicePfj15HIP_vector_typeIjLj3EEjjjS8_jjjS8_jjjj, .Lfunc_end212-_ZL13mul_mat_vec_qIL9ggml_type19ELi5ELb0ELb0EEvPKvS2_PKi31ggml_cuda_mm_fusion_args_devicePfj15HIP_vector_typeIjLj3EEjjjS8_jjjS8_jjjj
                                        ; -- End function
	.section	.AMDGPU.csdata,"",@progbits
; Kernel info:
; codeLenInByte = 3388
; NumSgprs: 36
; NumVgprs: 56
; NumAgprs: 0
; TotalNumVgprs: 56
; ScratchSize: 48
; MemoryBound: 0
; FloatMode: 240
; IeeeMode: 1
; LDSByteSize: 0 bytes/workgroup (compile time only)
; SGPRBlocks: 4
; VGPRBlocks: 6
; NumSGPRsForWavesPerEU: 36
; NumVGPRsForWavesPerEU: 56
; AccumOffset: 56
; Occupancy: 8
; WaveLimiterHint : 0
; COMPUTE_PGM_RSRC2:SCRATCH_EN: 1
; COMPUTE_PGM_RSRC2:USER_SGPR: 2
; COMPUTE_PGM_RSRC2:TRAP_HANDLER: 0
; COMPUTE_PGM_RSRC2:TGID_X_EN: 1
; COMPUTE_PGM_RSRC2:TGID_Y_EN: 1
; COMPUTE_PGM_RSRC2:TGID_Z_EN: 1
; COMPUTE_PGM_RSRC2:TIDIG_COMP_CNT: 1
; COMPUTE_PGM_RSRC3_GFX90A:ACCUM_OFFSET: 13
; COMPUTE_PGM_RSRC3_GFX90A:TG_SPLIT: 0
	.section	.text._ZL13mul_mat_vec_qIL9ggml_type19ELi6ELb0ELb0EEvPKvS2_PKi31ggml_cuda_mm_fusion_args_devicePfj15HIP_vector_typeIjLj3EEjjjS8_jjjS8_jjjj,"axG",@progbits,_ZL13mul_mat_vec_qIL9ggml_type19ELi6ELb0ELb0EEvPKvS2_PKi31ggml_cuda_mm_fusion_args_devicePfj15HIP_vector_typeIjLj3EEjjjS8_jjjS8_jjjj,comdat
	.globl	_ZL13mul_mat_vec_qIL9ggml_type19ELi6ELb0ELb0EEvPKvS2_PKi31ggml_cuda_mm_fusion_args_devicePfj15HIP_vector_typeIjLj3EEjjjS8_jjjS8_jjjj ; -- Begin function _ZL13mul_mat_vec_qIL9ggml_type19ELi6ELb0ELb0EEvPKvS2_PKi31ggml_cuda_mm_fusion_args_devicePfj15HIP_vector_typeIjLj3EEjjjS8_jjjS8_jjjj
	.p2align	8
	.type	_ZL13mul_mat_vec_qIL9ggml_type19ELi6ELb0ELb0EEvPKvS2_PKi31ggml_cuda_mm_fusion_args_devicePfj15HIP_vector_typeIjLj3EEjjjS8_jjjS8_jjjj,@function
_ZL13mul_mat_vec_qIL9ggml_type19ELi6ELb0ELb0EEvPKvS2_PKi31ggml_cuda_mm_fusion_args_devicePfj15HIP_vector_typeIjLj3EEjjjS8_jjjS8_jjjj: ; @_ZL13mul_mat_vec_qIL9ggml_type19ELi6ELb0ELb0EEvPKvS2_PKi31ggml_cuda_mm_fusion_args_devicePfj15HIP_vector_typeIjLj3EEjjjS8_jjjS8_jjjj
; %bb.0:
	v_bfe_u32 v13, v0, 10, 10
	v_and_b32_e32 v12, 0x3ff, v0
	s_mov_b32 s20, 0
	s_load_dword s5, s[0:1], 0x40
	s_load_dwordx4 s[8:11], s[0:1], 0x50
	s_load_dword s27, s[0:1], 0x60
	s_load_dwordx4 s[12:15], s[0:1], 0x68
	;; [unrolled: 2-line block ×3, first 2 shown]
	v_lshl_or_b32 v4, v13, 6, v12
	s_mov_b32 s21, s20
	s_waitcnt lgkmcnt(0)
	s_lshr_b32 s5, s5, 8
	s_mov_b32 s22, s20
	s_mov_b32 s23, s20
	v_mov_b64_e32 v[0:1], s[20:21]
	v_lshrrev_b32_e32 v15, 3, v4
	s_lshl_b32 s19, s2, 1
	v_mov_b64_e32 v[2:3], s[22:23]
	v_cmp_gt_u32_e32 vcc, s5, v15
	scratch_store_dwordx4 off, v[0:3], off offset:32
	scratch_store_dwordx4 off, v[0:3], off offset:16
	scratch_store_dwordx4 off, v[0:3], off
	s_and_saveexec_b64 s[6:7], vcc
	s_cbranch_execz .LBB213_4
; %bb.1:
	s_load_dwordx4 s[20:23], s[0:1], 0x0
	s_mul_i32 s2, s4, s17
	s_mul_i32 s24, s2, 36
	;; [unrolled: 1-line block ×3, first 2 shown]
	s_mul_hi_u32 s17, s2, 36
	s_waitcnt lgkmcnt(0)
	s_add_u32 s24, s22, s24
	s_addc_u32 s17, s23, s17
	s_mul_i32 s30, s13, 36
	s_mul_hi_u32 s31, s13, 36
	s_add_u32 s24, s24, s30
	s_mul_hi_u32 s11, s11, s3
	s_addc_u32 s25, s17, s31
	s_add_i32 s11, s3, s11
	s_lshr_b32 s11, s11, s27
	s_mul_i32 s11, s11, s12
	s_mul_hi_u32 s12, s15, s4
	s_add_i32 s12, s4, s12
	s_lshr_b32 s12, s12, s26
	s_mul_i32 s12, s12, s16
	s_mul_i32 s13, s19, s8
	s_add_i32 s12, s12, s11
	s_add_i32 s11, s12, s13
	;; [unrolled: 1-line block ×3, first 2 shown]
	s_mul_i32 s8, s8, s13
	v_lshl_add_u32 v1, v13, 6, v12
	s_add_i32 s8, s12, s8
	v_lshrrev_b32_e32 v1, 3, v1
	s_movk_i32 s12, 0x120
	v_mov_b64_e32 v[2:3], s[30:31]
	v_mad_u64_u32 v[2:3], s[12:13], v1, s12, v[2:3]
	v_and_b32_e32 v14, 7, v12
	v_mad_u64_u32 v[2:3], s[12:13], s2, 36, v[2:3]
	v_mad_u64_u32 v[2:3], s[12:13], v14, 36, v[2:3]
	v_lshlrev_b32_e32 v0, 1, v14
	v_mov_b32_e32 v17, 0
	v_lshl_add_u64 v[2:3], v[2:3], 0, s[22:23]
	v_lshlrev_b32_e32 v23, 3, v15
	s_mul_i32 s15, s9, 5
	s_lshl_b32 s26, s9, 2
	s_mul_i32 s27, s9, 3
	s_lshl_b32 s28, s9, 1
	v_lshl_add_u64 v[18:19], v[2:3], 0, 16
	s_mov_b64 s[12:13], 0
	v_lshlrev_b32_e32 v16, 1, v0
	v_lshlrev_b32_e32 v20, 1, v14
	s_movk_i32 s29, 0x700
	s_mov_b32 s2, 0xb7000000
	v_mov_b32_e32 v22, 0xbf600000
	s_mov_b64 s[16:17], 0x900
	v_mov_b32_e32 v21, v17
	v_mov_b32_e32 v8, v17
	;; [unrolled: 1-line block ×13, first 2 shown]
.LBB213_2:                              ; =>This Inner Loop Header: Depth=1
	v_add_u32_e32 v28, s11, v15
	v_mad_i64_i32 v[28:29], s[22:23], v28, 50, s[20:21]
	v_lshl_add_u64 v[30:31], v[28:29], 0, v[16:17]
	global_load_dword v45, v[18:19], off offset:16
	global_load_dwordx4 v[24:27], v[18:19], off
	global_load_dwordx4 v[38:41], v[18:19], off offset:-16
	global_load_dword v32, v[30:31], off offset:2
	global_load_ushort v48, v[28:29], off
	v_lshl_add_u64 v[30:31], v[28:29], 0, v[20:21]
	global_load_ushort v47, v[30:31], off offset:34
	v_add_u32_e32 v28, s8, v15
	v_mad_i64_i32 v[28:29], s[22:23], v28, 50, s[20:21]
	v_lshl_add_u64 v[30:31], v[28:29], 0, v[16:17]
	global_load_dword v35, v[30:31], off offset:2
	global_load_ushort v51, v[28:29], off
	v_lshl_add_u64 v[30:31], v[28:29], 0, v[20:21]
	global_load_ushort v49, v[30:31], off offset:34
	s_getpc_b64 s[22:23]
	s_add_u32 s22, s22, _ZL13iq1s_grid_gpu@rel32@lo+4
	s_addc_u32 s23, s23, _ZL13iq1s_grid_gpu@rel32@hi+12
	v_mov_b32_e32 v52, 0
	v_mov_b32_e32 v53, 0
	;; [unrolled: 1-line block ×3, first 2 shown]
	v_add_u32_e32 v15, 8, v15
	v_cmp_le_u32_e32 vcc, s5, v15
	v_lshl_add_u64 v[18:19], v[18:19], 0, s[16:17]
	s_or_b64 s[12:13], vcc, s[12:13]
	s_waitcnt vmcnt(6)
	v_cvt_f32_f16_e32 v44, v38
	s_waitcnt vmcnt(5)
	v_lshrrev_b16_e32 v33, 8, v32
	v_lshrrev_b32_e32 v36, 24, v32
	v_and_b32_e32 v34, 0xff, v32
	s_waitcnt vmcnt(3)
	v_lshlrev_b32_e32 v30, 5, v47
	v_bfe_u32 v32, v32, 16, 8
	v_lshlrev_b32_e32 v28, 8, v47
	v_and_or_b32 v30, v30, s29, v33
	v_lshlrev_b32_e32 v33, 2, v47
	v_and_or_b32 v28, v28, s29, v34
	v_and_or_b32 v32, v33, s29, v32
	v_lshlrev_b32_e32 v28, 2, v28
	v_lshlrev_b32_e32 v30, 2, v30
	;; [unrolled: 1-line block ×3, first 2 shown]
	global_load_dword v29, v28, s[22:23]
	global_load_dword v31, v30, s[22:23]
	v_cvt_f32_f16_sdwa v46, v38 dst_sel:DWORD dst_unused:UNUSED_PAD src0_sel:WORD_1
	global_load_dword v32, v32, s[22:23]
	s_waitcnt vmcnt(5)
	v_lshrrev_b16_e32 v38, 8, v35
	v_lshrrev_b32_e32 v42, 24, v35
	v_and_b32_e32 v43, 0xff, v35
	v_bfe_u32 v50, v35, 16, 8
	s_waitcnt vmcnt(2)
	v_and_b32_e32 v28, 0xf0f0f0f, v29
	v_dot4c_i32_i8_e32 v52, v28, v39
	v_lshrrev_b32_e32 v29, 4, v29
	s_waitcnt vmcnt(0)
	v_and_b32_e32 v34, 0xf0f0f0f, v32
	v_lshrrev_b32_e32 v32, 4, v32
	v_and_b32_e32 v35, 0xf0f0f0f, v32
	v_lshrrev_b32_e32 v32, 1, v47
	v_and_or_b32 v32, v32, s29, v36
	v_lshlrev_b32_e32 v32, 2, v32
	global_load_dword v32, v32, s[22:23]
	v_and_b32_e32 v29, 0xf0f0f0f, v29
	v_dot4c_i32_i8_e32 v52, v29, v40
	v_and_b32_e32 v30, 0xf0f0f0f, v31
	v_lshrrev_b32_e32 v31, 4, v31
	v_and_b32_e32 v31, 0xf0f0f0f, v31
	v_dot4c_i32_i8_e32 v52, v30, v41
	v_dot4c_i32_i8_e32 v52, v31, v24
	;; [unrolled: 1-line block ×4, first 2 shown]
	s_waitcnt vmcnt(0)
	v_and_b32_e32 v36, 0xf0f0f0f, v32
	v_lshrrev_b32_e32 v32, 4, v32
	v_and_b32_e32 v37, 0xf0f0f0f, v32
	v_lshlrev_b32_e32 v32, 8, v49
	v_and_or_b32 v32, v32, s29, v43
	v_lshlrev_b32_e32 v32, 2, v32
	global_load_dword v32, v32, s[22:23]
	v_dot4c_i32_i8_e32 v52, v36, v27
	v_dot4c_i32_i8_e32 v52, v37, v45
	s_waitcnt vmcnt(0)
	v_and_b32_e32 v33, 0xf0f0f0f, v32
	v_dot4c_i32_i8_e32 v53, v33, v39
	v_lshlrev_b32_e32 v39, 5, v49
	v_and_or_b32 v38, v39, s29, v38
	v_lshlrev_b32_e32 v38, 2, v38
	global_load_dword v38, v38, s[22:23]
	v_lshrrev_b32_e32 v32, 4, v32
	v_and_b32_e32 v32, 0xf0f0f0f, v32
	v_dot4c_i32_i8_e32 v53, v32, v40
	s_waitcnt vmcnt(0)
	v_and_b32_e32 v39, 0xf0f0f0f, v38
	v_lshrrev_b32_e32 v38, 4, v38
	v_and_b32_e32 v38, 0xf0f0f0f, v38
	v_dot4c_i32_i8_e32 v53, v39, v41
	v_dot4c_i32_i8_e32 v53, v38, v24
	v_lshlrev_b32_e32 v24, 2, v49
	v_and_or_b32 v24, v24, s29, v50
	v_lshlrev_b32_e32 v24, 2, v24
	global_load_dword v24, v24, s[22:23]
	s_waitcnt vmcnt(0)
	v_and_b32_e32 v41, 0xf0f0f0f, v24
	v_lshrrev_b32_e32 v24, 4, v24
	v_and_b32_e32 v40, 0xf0f0f0f, v24
	v_lshrrev_b32_e32 v24, 1, v49
	v_and_or_b32 v24, v24, s29, v42
	v_lshlrev_b32_e32 v24, 2, v24
	global_load_dword v24, v24, s[22:23]
	v_dot4c_i32_i8_e32 v53, v41, v25
	v_dot4c_i32_i8_e32 v53, v40, v26
	v_cvt_f32_f16_e32 v25, v51
	v_lshrrev_b32_e32 v26, 11, v49
	v_and_or_b32 v26, v26, 14, 1
	s_waitcnt vmcnt(0)
	v_and_b32_e32 v42, 0xf0f0f0f, v24
	v_lshrrev_b32_e32 v24, 4, v24
	v_and_b32_e32 v43, 0xf0f0f0f, v24
	v_cvt_f32_f16_e32 v24, v48
	v_dot4c_i32_i8_e32 v53, v42, v27
	v_lshrrev_b32_e32 v27, 11, v47
	v_dot4c_i32_i8_e32 v53, v43, v45
	v_and_or_b32 v45, v27, 14, 1
	v_cvt_f32_ubyte0_e32 v27, v26
	v_cvt_f32_ubyte0_e32 v26, v45
	v_pk_mul_f32 v[24:25], v[26:27], v[24:25]
	v_and_b32_e32 v26, 0x8000, v47
	v_and_b32_e32 v27, 0x8000, v49
	v_cvt_f32_u32_e32 v27, v27
	v_cvt_f32_u32_e32 v26, v26
	v_cvt_f32_i32_e32 v49, v53
	v_cvt_f32_i32_e32 v48, v52
	v_pk_fma_f32 v[26:27], v[26:27], s[2:3], v[22:23] op_sel_hi:[1,0,0]
	s_nop 0
	v_pk_mul_f32 v[46:47], v[26:27], v[46:47] op_sel_hi:[1,0]
	s_nop 0
	v_pk_fma_f32 v[44:45], v[44:45], v[48:49], v[46:47] op_sel_hi:[0,1,1]
	v_pk_fma_f32 v[8:9], v[24:25], v[44:45], v[8:9]
	v_add_u32_e32 v44, s9, v23
	v_mad_u64_u32 v[44:45], s[22:23], v44, 36, s[24:25]
	v_mad_u64_u32 v[52:53], s[22:23], v14, 36, v[44:45]
	global_load_dword v54, v[52:53], off offset:32
	global_load_dwordx4 v[44:47], v[52:53], off offset:16
	global_load_dwordx4 v[48:51], v[52:53], off
	v_mov_b32_e32 v53, 0
	s_waitcnt vmcnt(0)
	v_dot4c_i32_i8_e32 v53, v28, v49
	v_dot4c_i32_i8_e32 v55, v33, v49
	v_dot4c_i32_i8_e32 v53, v29, v50
	v_dot4c_i32_i8_e32 v55, v32, v50
	v_dot4c_i32_i8_e32 v53, v30, v51
	v_dot4c_i32_i8_e32 v55, v39, v51
	v_dot4c_i32_i8_e32 v53, v31, v44
	v_dot4c_i32_i8_e32 v55, v38, v44
	v_dot4c_i32_i8_e32 v53, v34, v45
	v_dot4c_i32_i8_e32 v55, v41, v45
	v_dot4c_i32_i8_e32 v53, v35, v46
	v_dot4c_i32_i8_e32 v55, v40, v46
	v_dot4c_i32_i8_e32 v53, v36, v47
	v_dot4c_i32_i8_e32 v55, v42, v47
	v_cvt_f32_f16_e32 v52, v48
	v_cvt_f32_f16_sdwa v48, v48 dst_sel:DWORD dst_unused:UNUSED_PAD src0_sel:WORD_1
	v_dot4c_i32_i8_e32 v53, v37, v54
	v_dot4c_i32_i8_e32 v55, v43, v54
	v_pk_mul_f32 v[46:47], v[26:27], v[48:49] op_sel_hi:[1,0]
	s_nop 0
	v_cvt_f32_i32_e32 v44, v53
	v_cvt_f32_i32_e32 v45, v55
	v_mov_b32_e32 v55, 0
	v_pk_fma_f32 v[44:45], v[52:53], v[44:45], v[46:47] op_sel_hi:[0,1,1]
	v_pk_fma_f32 v[10:11], v[24:25], v[44:45], v[10:11]
	v_add_u32_e32 v44, s28, v23
	v_mad_u64_u32 v[44:45], s[22:23], v44, 36, s[24:25]
	v_mad_u64_u32 v[52:53], s[22:23], v14, 36, v[44:45]
	global_load_dword v54, v[52:53], off offset:32
	global_load_dwordx4 v[44:47], v[52:53], off offset:16
	global_load_dwordx4 v[48:51], v[52:53], off
	v_mov_b32_e32 v53, 0
	s_waitcnt vmcnt(0)
	v_dot4c_i32_i8_e32 v53, v28, v49
	v_dot4c_i32_i8_e32 v55, v33, v49
	v_dot4c_i32_i8_e32 v53, v29, v50
	v_dot4c_i32_i8_e32 v55, v32, v50
	v_dot4c_i32_i8_e32 v53, v30, v51
	v_dot4c_i32_i8_e32 v55, v39, v51
	v_dot4c_i32_i8_e32 v53, v31, v44
	v_dot4c_i32_i8_e32 v55, v38, v44
	v_dot4c_i32_i8_e32 v53, v34, v45
	v_dot4c_i32_i8_e32 v55, v41, v45
	v_dot4c_i32_i8_e32 v53, v35, v46
	v_dot4c_i32_i8_e32 v55, v40, v46
	v_dot4c_i32_i8_e32 v53, v36, v47
	v_dot4c_i32_i8_e32 v55, v42, v47
	v_cvt_f32_f16_e32 v52, v48
	v_cvt_f32_f16_sdwa v48, v48 dst_sel:DWORD dst_unused:UNUSED_PAD src0_sel:WORD_1
	v_dot4c_i32_i8_e32 v53, v37, v54
	v_dot4c_i32_i8_e32 v55, v43, v54
	v_pk_mul_f32 v[46:47], v[26:27], v[48:49] op_sel_hi:[1,0]
	s_nop 0
	v_cvt_f32_i32_e32 v44, v53
	v_cvt_f32_i32_e32 v45, v55
	v_mov_b32_e32 v55, 0
	v_pk_fma_f32 v[44:45], v[52:53], v[44:45], v[46:47] op_sel_hi:[0,1,1]
	v_pk_fma_f32 v[4:5], v[24:25], v[44:45], v[4:5]
	v_add_u32_e32 v44, s27, v23
	v_mad_u64_u32 v[44:45], s[22:23], v44, 36, s[24:25]
	v_mad_u64_u32 v[52:53], s[22:23], v14, 36, v[44:45]
	global_load_dword v54, v[52:53], off offset:32
	global_load_dwordx4 v[44:47], v[52:53], off offset:16
	global_load_dwordx4 v[48:51], v[52:53], off
	v_mov_b32_e32 v53, 0
	s_waitcnt vmcnt(0)
	v_dot4c_i32_i8_e32 v53, v28, v49
	v_dot4c_i32_i8_e32 v55, v33, v49
	v_dot4c_i32_i8_e32 v53, v29, v50
	v_dot4c_i32_i8_e32 v55, v32, v50
	v_dot4c_i32_i8_e32 v53, v30, v51
	v_dot4c_i32_i8_e32 v55, v39, v51
	v_dot4c_i32_i8_e32 v53, v31, v44
	v_dot4c_i32_i8_e32 v55, v38, v44
	v_dot4c_i32_i8_e32 v53, v34, v45
	v_dot4c_i32_i8_e32 v55, v41, v45
	v_dot4c_i32_i8_e32 v53, v35, v46
	v_dot4c_i32_i8_e32 v55, v40, v46
	v_dot4c_i32_i8_e32 v53, v36, v47
	v_dot4c_i32_i8_e32 v55, v42, v47
	v_cvt_f32_f16_e32 v52, v48
	v_cvt_f32_f16_sdwa v48, v48 dst_sel:DWORD dst_unused:UNUSED_PAD src0_sel:WORD_1
	v_dot4c_i32_i8_e32 v53, v37, v54
	v_dot4c_i32_i8_e32 v55, v43, v54
	v_pk_mul_f32 v[46:47], v[26:27], v[48:49] op_sel_hi:[1,0]
	s_nop 0
	v_cvt_f32_i32_e32 v44, v53
	v_cvt_f32_i32_e32 v45, v55
	v_mov_b32_e32 v55, 0
	v_pk_fma_f32 v[44:45], v[52:53], v[44:45], v[46:47] op_sel_hi:[0,1,1]
	v_pk_fma_f32 v[6:7], v[24:25], v[44:45], v[6:7]
	v_add_u32_e32 v44, s26, v23
	v_mad_u64_u32 v[44:45], s[22:23], v44, 36, s[24:25]
	v_mad_u64_u32 v[52:53], s[22:23], v14, 36, v[44:45]
	global_load_dword v54, v[52:53], off offset:32
	global_load_dwordx4 v[44:47], v[52:53], off offset:16
	global_load_dwordx4 v[48:51], v[52:53], off
	v_mov_b32_e32 v53, 0
	s_waitcnt vmcnt(0)
	v_dot4c_i32_i8_e32 v53, v28, v49
	v_dot4c_i32_i8_e32 v55, v33, v49
	;; [unrolled: 1-line block ×14, first 2 shown]
	v_cvt_f32_f16_e32 v52, v48
	v_cvt_f32_f16_sdwa v48, v48 dst_sel:DWORD dst_unused:UNUSED_PAD src0_sel:WORD_1
	v_dot4c_i32_i8_e32 v53, v37, v54
	v_dot4c_i32_i8_e32 v55, v43, v54
	v_pk_mul_f32 v[46:47], v[26:27], v[48:49] op_sel_hi:[1,0]
	s_nop 0
	v_cvt_f32_i32_e32 v44, v53
	v_cvt_f32_i32_e32 v45, v55
	v_pk_fma_f32 v[44:45], v[52:53], v[44:45], v[46:47] op_sel_hi:[0,1,1]
	v_pk_fma_f32 v[0:1], v[24:25], v[44:45], v[0:1]
	v_add_u32_e32 v44, s15, v23
	v_mad_u64_u32 v[44:45], s[22:23], v44, 36, s[24:25]
	v_mad_u64_u32 v[52:53], s[22:23], v14, 36, v[44:45]
	global_load_dword v54, v[52:53], off offset:32
	global_load_dwordx4 v[44:47], v[52:53], off offset:16
	global_load_dwordx4 v[48:51], v[52:53], off
	v_mov_b32_e32 v53, 0
	v_add_u32_e32 v23, 64, v23
	s_waitcnt vmcnt(0)
	v_dot4c_i32_i8_e32 v53, v28, v49
	v_mov_b32_e32 v28, 0
	v_dot4c_i32_i8_e32 v28, v33, v49
	v_dot4c_i32_i8_e32 v53, v29, v50
	;; [unrolled: 1-line block ×13, first 2 shown]
	v_cvt_f32_f16_e32 v52, v48
	v_cvt_f32_f16_sdwa v48, v48 dst_sel:DWORD dst_unused:UNUSED_PAD src0_sel:WORD_1
	v_dot4c_i32_i8_e32 v53, v37, v54
	v_dot4c_i32_i8_e32 v28, v43, v54
	v_pk_mul_f32 v[26:27], v[26:27], v[48:49] op_sel_hi:[1,0]
	s_nop 1
	v_cvt_f32_i32_e32 v29, v28
	v_cvt_f32_i32_e32 v28, v53
	v_pk_fma_f32 v[26:27], v[52:53], v[28:29], v[26:27] op_sel_hi:[0,1,1]
	v_pk_fma_f32 v[2:3], v[24:25], v[26:27], v[2:3]
	s_andn2_b64 exec, exec, s[12:13]
	s_cbranch_execnz .LBB213_2
; %bb.3:
	s_or_b64 exec, exec, s[12:13]
	scratch_store_dwordx4 off, v[8:11], off
	scratch_store_dwordx4 off, v[4:7], off offset:16
	scratch_store_dwordx4 off, v[0:3], off offset:32
.LBB213_4:
	s_or_b64 exec, exec, s[6:7]
	s_mov_b32 s5, 0
	v_cmp_eq_u32_e32 vcc, 0, v13
	s_waitcnt lgkmcnt(0)
	; wave barrier
	s_and_saveexec_b64 s[6:7], vcc
	s_cbranch_execz .LBB213_17
; %bb.5:
	scratch_load_dwordx2 v[2:3], off, off
	v_mbcnt_lo_u32_b32 v0, -1, 0
	v_mbcnt_hi_u32_b32 v13, -1, v0
	s_load_dwordx2 s[6:7], s[0:1], 0x38
	s_mul_i32 s0, s3, s14
	v_or_b32_e32 v1, s19, v12
	v_and_b32_e32 v0, 64, v13
	s_mul_i32 s4, s4, s18
	s_add_i32 s2, s0, s19
	v_cmp_gt_u32_e64 s[0:1], s10, v1
	v_xor_b32_e32 v1, 32, v13
	v_add_u32_e32 v14, 64, v0
	s_add_i32 s4, s2, s4
	v_cmp_lt_i32_e64 s[2:3], v1, v14
	v_cmp_gt_u32_e32 vcc, 2, v12
	s_nop 0
	v_cndmask_b32_e64 v0, v13, v1, s[2:3]
	v_lshlrev_b32_e32 v0, 2, v0
	v_xor_b32_e32 v1, 16, v13
	v_cmp_lt_i32_e64 s[2:3], v1, v14
	s_waitcnt vmcnt(0)
	ds_bpermute_b32 v4, v0, v2
	ds_bpermute_b32 v5, v0, v3
	v_cndmask_b32_e64 v1, v13, v1, s[2:3]
	v_lshlrev_b32_e32 v1, 2, v1
	s_waitcnt lgkmcnt(0)
	v_pk_add_f32 v[4:5], v[2:3], v[4:5]
	ds_bpermute_b32 v6, v1, v4
	ds_bpermute_b32 v7, v1, v5
	v_xor_b32_e32 v2, 8, v13
	v_cmp_lt_i32_e64 s[2:3], v2, v14
	v_xor_b32_e32 v3, 4, v13
	s_waitcnt lgkmcnt(0)
	v_pk_add_f32 v[4:5], v[4:5], v[6:7]
	v_cndmask_b32_e64 v2, v13, v2, s[2:3]
	v_lshlrev_b32_e32 v2, 2, v2
	ds_bpermute_b32 v6, v2, v4
	ds_bpermute_b32 v7, v2, v5
	v_cmp_lt_i32_e64 s[2:3], v3, v14
	s_waitcnt lgkmcnt(0)
	v_pk_add_f32 v[6:7], v[4:5], v[6:7]
	v_cndmask_b32_e64 v3, v13, v3, s[2:3]
	v_lshlrev_b32_e32 v3, 2, v3
	ds_bpermute_b32 v8, v3, v6
	ds_bpermute_b32 v9, v3, v7
	v_xor_b32_e32 v4, 2, v13
	v_cmp_lt_i32_e64 s[2:3], v4, v14
	v_xor_b32_e32 v5, 1, v13
	s_waitcnt lgkmcnt(0)
	v_pk_add_f32 v[8:9], v[6:7], v[8:9]
	v_cndmask_b32_e64 v4, v13, v4, s[2:3]
	v_lshlrev_b32_e32 v4, 2, v4
	ds_bpermute_b32 v10, v4, v8
	ds_bpermute_b32 v11, v4, v9
	v_cmp_lt_i32_e64 s[2:3], v5, v14
	s_waitcnt lgkmcnt(0)
	v_pk_add_f32 v[8:9], v[8:9], v[10:11]
	v_cndmask_b32_e64 v5, v13, v5, s[2:3]
	v_lshlrev_b32_e32 v6, 2, v5
	ds_bpermute_b32 v10, v6, v8
	ds_bpermute_b32 v11, v6, v9
	s_lshl_b64 s[2:3], s[4:5], 2
	s_add_u32 s2, s6, s2
	s_addc_u32 s3, s7, s3
	s_and_b64 s[0:1], vcc, s[0:1]
	s_waitcnt lgkmcnt(0)
	v_pk_add_f32 v[8:9], v[8:9], v[10:11]
	v_lshlrev_b32_e32 v5, 2, v12
	scratch_store_dwordx2 off, v[8:9], off
	s_and_saveexec_b64 s[4:5], s[0:1]
	s_cbranch_execz .LBB213_7
; %bb.6:
	scratch_load_dword v7, v5, off
	s_waitcnt vmcnt(0)
	global_store_dword v5, v7, s[2:3]
.LBB213_7:
	s_or_b64 exec, exec, s[4:5]
	scratch_load_dwordx2 v[8:9], off, off offset:8
	s_waitcnt vmcnt(0)
	ds_bpermute_b32 v10, v0, v8
	ds_bpermute_b32 v11, v0, v9
	s_waitcnt lgkmcnt(0)
	v_pk_add_f32 v[8:9], v[8:9], v[10:11]
	ds_bpermute_b32 v10, v1, v8
	ds_bpermute_b32 v11, v1, v9
	s_waitcnt lgkmcnt(0)
	v_pk_add_f32 v[8:9], v[8:9], v[10:11]
	;; [unrolled: 4-line block ×6, first 2 shown]
	scratch_store_dwordx2 off, v[8:9], off offset:8
	s_and_saveexec_b64 s[4:5], s[0:1]
	s_cbranch_execz .LBB213_9
; %bb.8:
	scratch_load_dword v7, v5, off offset:8
	v_add_u32_e32 v8, s10, v12
	v_mov_b32_e32 v9, 0
	v_lshl_add_u64 v[8:9], v[8:9], 2, s[2:3]
	s_waitcnt vmcnt(0)
	global_store_dword v[8:9], v7, off
.LBB213_9:
	s_or_b64 exec, exec, s[4:5]
	scratch_load_dwordx2 v[8:9], off, off offset:16
	s_waitcnt vmcnt(0)
	ds_bpermute_b32 v10, v0, v8
	ds_bpermute_b32 v11, v0, v9
	s_waitcnt lgkmcnt(0)
	v_pk_add_f32 v[8:9], v[8:9], v[10:11]
	ds_bpermute_b32 v10, v1, v8
	ds_bpermute_b32 v11, v1, v9
	s_waitcnt lgkmcnt(0)
	v_pk_add_f32 v[8:9], v[8:9], v[10:11]
	;; [unrolled: 4-line block ×6, first 2 shown]
	scratch_store_dwordx2 off, v[8:9], off offset:16
	s_and_saveexec_b64 s[4:5], s[0:1]
	s_cbranch_execz .LBB213_11
; %bb.10:
	scratch_load_dword v7, v5, off offset:16
	v_lshl_or_b32 v8, s10, 1, v12
	v_mov_b32_e32 v9, 0
	v_lshl_add_u64 v[8:9], v[8:9], 2, s[2:3]
	s_waitcnt vmcnt(0)
	global_store_dword v[8:9], v7, off
.LBB213_11:
	s_or_b64 exec, exec, s[4:5]
	scratch_load_dwordx2 v[8:9], off, off offset:24
	s_waitcnt vmcnt(0)
	ds_bpermute_b32 v10, v0, v8
	ds_bpermute_b32 v11, v0, v9
	s_waitcnt lgkmcnt(0)
	v_pk_add_f32 v[8:9], v[8:9], v[10:11]
	ds_bpermute_b32 v10, v1, v8
	ds_bpermute_b32 v11, v1, v9
	s_waitcnt lgkmcnt(0)
	v_pk_add_f32 v[8:9], v[8:9], v[10:11]
	ds_bpermute_b32 v10, v2, v8
	ds_bpermute_b32 v11, v2, v9
	s_waitcnt lgkmcnt(0)
	v_pk_add_f32 v[8:9], v[8:9], v[10:11]
	ds_bpermute_b32 v10, v3, v8
	ds_bpermute_b32 v11, v3, v9
	s_waitcnt lgkmcnt(0)
	v_pk_add_f32 v[8:9], v[8:9], v[10:11]
	ds_bpermute_b32 v10, v4, v8
	ds_bpermute_b32 v11, v4, v9
	s_waitcnt lgkmcnt(0)
	v_pk_add_f32 v[8:9], v[8:9], v[10:11]
	ds_bpermute_b32 v10, v6, v8
	ds_bpermute_b32 v11, v6, v9
	s_waitcnt lgkmcnt(0)
	v_pk_add_f32 v[8:9], v[8:9], v[10:11]
	scratch_store_dwordx2 off, v[8:9], off offset:24
	s_and_saveexec_b64 s[4:5], s[0:1]
	s_cbranch_execz .LBB213_13
; %bb.12:
	scratch_load_dword v7, v5, off offset:24
	v_mad_u64_u32 v[8:9], s[6:7], s10, 3, v[12:13]
	v_mov_b32_e32 v9, 0
	v_lshl_add_u64 v[8:9], v[8:9], 2, s[2:3]
	s_waitcnt vmcnt(0)
	global_store_dword v[8:9], v7, off
.LBB213_13:
	s_or_b64 exec, exec, s[4:5]
	scratch_load_dwordx2 v[8:9], off, off offset:32
	s_waitcnt vmcnt(0)
	ds_bpermute_b32 v10, v0, v8
	ds_bpermute_b32 v11, v0, v9
	s_waitcnt lgkmcnt(0)
	v_pk_add_f32 v[8:9], v[8:9], v[10:11]
	ds_bpermute_b32 v10, v1, v8
	ds_bpermute_b32 v11, v1, v9
	s_waitcnt lgkmcnt(0)
	v_pk_add_f32 v[8:9], v[8:9], v[10:11]
	;; [unrolled: 4-line block ×6, first 2 shown]
	scratch_store_dwordx2 off, v[8:9], off offset:32
	s_and_saveexec_b64 s[4:5], s[0:1]
	s_cbranch_execz .LBB213_15
; %bb.14:
	scratch_load_dword v7, v5, off offset:32
	v_lshl_or_b32 v8, s10, 2, v12
	v_mov_b32_e32 v9, 0
	v_lshl_add_u64 v[8:9], v[8:9], 2, s[2:3]
	s_waitcnt vmcnt(0)
	global_store_dword v[8:9], v7, off
.LBB213_15:
	s_or_b64 exec, exec, s[4:5]
	scratch_load_dwordx2 v[8:9], off, off offset:40
	s_waitcnt vmcnt(0)
	ds_bpermute_b32 v10, v0, v8
	ds_bpermute_b32 v11, v0, v9
	s_waitcnt lgkmcnt(0)
	v_pk_add_f32 v[8:9], v[8:9], v[10:11]
	ds_bpermute_b32 v0, v1, v8
	ds_bpermute_b32 v1, v1, v9
	s_waitcnt lgkmcnt(0)
	v_pk_add_f32 v[0:1], v[8:9], v[0:1]
	;; [unrolled: 4-line block ×6, first 2 shown]
	scratch_store_dwordx2 off, v[0:1], off offset:40
	s_and_b64 exec, exec, s[0:1]
	s_cbranch_execz .LBB213_17
; %bb.16:
	scratch_load_dword v2, v5, off offset:40
	v_mad_u64_u32 v[0:1], s[0:1], s10, 5, v[12:13]
	v_mov_b32_e32 v1, 0
	v_lshl_add_u64 v[0:1], v[0:1], 2, s[2:3]
	s_waitcnt vmcnt(0)
	global_store_dword v[0:1], v2, off
.LBB213_17:
	s_endpgm
	.section	.rodata,"a",@progbits
	.p2align	6, 0x0
	.amdhsa_kernel _ZL13mul_mat_vec_qIL9ggml_type19ELi6ELb0ELb0EEvPKvS2_PKi31ggml_cuda_mm_fusion_args_devicePfj15HIP_vector_typeIjLj3EEjjjS8_jjjS8_jjjj
		.amdhsa_group_segment_fixed_size 0
		.amdhsa_private_segment_fixed_size 64
		.amdhsa_kernarg_size 144
		.amdhsa_user_sgpr_count 2
		.amdhsa_user_sgpr_dispatch_ptr 0
		.amdhsa_user_sgpr_queue_ptr 0
		.amdhsa_user_sgpr_kernarg_segment_ptr 1
		.amdhsa_user_sgpr_dispatch_id 0
		.amdhsa_user_sgpr_kernarg_preload_length 0
		.amdhsa_user_sgpr_kernarg_preload_offset 0
		.amdhsa_user_sgpr_private_segment_size 0
		.amdhsa_uses_dynamic_stack 0
		.amdhsa_enable_private_segment 1
		.amdhsa_system_sgpr_workgroup_id_x 1
		.amdhsa_system_sgpr_workgroup_id_y 1
		.amdhsa_system_sgpr_workgroup_id_z 1
		.amdhsa_system_sgpr_workgroup_info 0
		.amdhsa_system_vgpr_workitem_id 1
		.amdhsa_next_free_vgpr 56
		.amdhsa_next_free_sgpr 32
		.amdhsa_accum_offset 56
		.amdhsa_reserve_vcc 1
		.amdhsa_float_round_mode_32 0
		.amdhsa_float_round_mode_16_64 0
		.amdhsa_float_denorm_mode_32 3
		.amdhsa_float_denorm_mode_16_64 3
		.amdhsa_dx10_clamp 1
		.amdhsa_ieee_mode 1
		.amdhsa_fp16_overflow 0
		.amdhsa_tg_split 0
		.amdhsa_exception_fp_ieee_invalid_op 0
		.amdhsa_exception_fp_denorm_src 0
		.amdhsa_exception_fp_ieee_div_zero 0
		.amdhsa_exception_fp_ieee_overflow 0
		.amdhsa_exception_fp_ieee_underflow 0
		.amdhsa_exception_fp_ieee_inexact 0
		.amdhsa_exception_int_div_zero 0
	.end_amdhsa_kernel
	.section	.text._ZL13mul_mat_vec_qIL9ggml_type19ELi6ELb0ELb0EEvPKvS2_PKi31ggml_cuda_mm_fusion_args_devicePfj15HIP_vector_typeIjLj3EEjjjS8_jjjS8_jjjj,"axG",@progbits,_ZL13mul_mat_vec_qIL9ggml_type19ELi6ELb0ELb0EEvPKvS2_PKi31ggml_cuda_mm_fusion_args_devicePfj15HIP_vector_typeIjLj3EEjjjS8_jjjS8_jjjj,comdat
.Lfunc_end213:
	.size	_ZL13mul_mat_vec_qIL9ggml_type19ELi6ELb0ELb0EEvPKvS2_PKi31ggml_cuda_mm_fusion_args_devicePfj15HIP_vector_typeIjLj3EEjjjS8_jjjS8_jjjj, .Lfunc_end213-_ZL13mul_mat_vec_qIL9ggml_type19ELi6ELb0ELb0EEvPKvS2_PKi31ggml_cuda_mm_fusion_args_devicePfj15HIP_vector_typeIjLj3EEjjjS8_jjjS8_jjjj
                                        ; -- End function
	.section	.AMDGPU.csdata,"",@progbits
; Kernel info:
; codeLenInByte = 3808
; NumSgprs: 38
; NumVgprs: 56
; NumAgprs: 0
; TotalNumVgprs: 56
; ScratchSize: 64
; MemoryBound: 0
; FloatMode: 240
; IeeeMode: 1
; LDSByteSize: 0 bytes/workgroup (compile time only)
; SGPRBlocks: 4
; VGPRBlocks: 6
; NumSGPRsForWavesPerEU: 38
; NumVGPRsForWavesPerEU: 56
; AccumOffset: 56
; Occupancy: 8
; WaveLimiterHint : 0
; COMPUTE_PGM_RSRC2:SCRATCH_EN: 1
; COMPUTE_PGM_RSRC2:USER_SGPR: 2
; COMPUTE_PGM_RSRC2:TRAP_HANDLER: 0
; COMPUTE_PGM_RSRC2:TGID_X_EN: 1
; COMPUTE_PGM_RSRC2:TGID_Y_EN: 1
; COMPUTE_PGM_RSRC2:TGID_Z_EN: 1
; COMPUTE_PGM_RSRC2:TIDIG_COMP_CNT: 1
; COMPUTE_PGM_RSRC3_GFX90A:ACCUM_OFFSET: 13
; COMPUTE_PGM_RSRC3_GFX90A:TG_SPLIT: 0
	.section	.text._ZL13mul_mat_vec_qIL9ggml_type19ELi7ELb0ELb0EEvPKvS2_PKi31ggml_cuda_mm_fusion_args_devicePfj15HIP_vector_typeIjLj3EEjjjS8_jjjS8_jjjj,"axG",@progbits,_ZL13mul_mat_vec_qIL9ggml_type19ELi7ELb0ELb0EEvPKvS2_PKi31ggml_cuda_mm_fusion_args_devicePfj15HIP_vector_typeIjLj3EEjjjS8_jjjS8_jjjj,comdat
	.globl	_ZL13mul_mat_vec_qIL9ggml_type19ELi7ELb0ELb0EEvPKvS2_PKi31ggml_cuda_mm_fusion_args_devicePfj15HIP_vector_typeIjLj3EEjjjS8_jjjS8_jjjj ; -- Begin function _ZL13mul_mat_vec_qIL9ggml_type19ELi7ELb0ELb0EEvPKvS2_PKi31ggml_cuda_mm_fusion_args_devicePfj15HIP_vector_typeIjLj3EEjjjS8_jjjS8_jjjj
	.p2align	8
	.type	_ZL13mul_mat_vec_qIL9ggml_type19ELi7ELb0ELb0EEvPKvS2_PKi31ggml_cuda_mm_fusion_args_devicePfj15HIP_vector_typeIjLj3EEjjjS8_jjjS8_jjjj,@function
_ZL13mul_mat_vec_qIL9ggml_type19ELi7ELb0ELb0EEvPKvS2_PKi31ggml_cuda_mm_fusion_args_devicePfj15HIP_vector_typeIjLj3EEjjjS8_jjjS8_jjjj: ; @_ZL13mul_mat_vec_qIL9ggml_type19ELi7ELb0ELb0EEvPKvS2_PKi31ggml_cuda_mm_fusion_args_devicePfj15HIP_vector_typeIjLj3EEjjjS8_jjjS8_jjjj
; %bb.0:
	v_bfe_u32 v13, v0, 10, 10
	v_and_b32_e32 v12, 0x3ff, v0
	s_mov_b32 s20, 0
	s_load_dword s5, s[0:1], 0x40
	s_load_dwordx4 s[8:11], s[0:1], 0x50
	s_load_dword s27, s[0:1], 0x60
	s_load_dwordx4 s[12:15], s[0:1], 0x68
	;; [unrolled: 2-line block ×3, first 2 shown]
	v_lshl_or_b32 v4, v13, 6, v12
	s_mov_b32 s21, s20
	s_waitcnt lgkmcnt(0)
	s_lshr_b32 s5, s5, 8
	v_mov_b32_e32 v15, 0
	s_mov_b32 s22, s20
	s_mov_b32 s23, s20
	v_mov_b64_e32 v[0:1], s[20:21]
	v_lshrrev_b32_e32 v17, 3, v4
	s_lshl_b32 s19, s2, 1
	v_mov_b32_e32 v14, v15
	v_mov_b64_e32 v[2:3], s[22:23]
	v_cmp_gt_u32_e32 vcc, s5, v17
	scratch_store_dwordx2 off, v[14:15], off offset:48
	scratch_store_dwordx4 off, v[0:3], off offset:32
	scratch_store_dwordx4 off, v[0:3], off offset:16
	scratch_store_dwordx4 off, v[0:3], off
	s_and_saveexec_b64 s[6:7], vcc
	s_cbranch_execz .LBB214_4
; %bb.1:
	s_load_dwordx4 s[20:23], s[0:1], 0x0
	s_mul_i32 s2, s4, s17
	s_mul_i32 s24, s2, 36
	;; [unrolled: 1-line block ×3, first 2 shown]
	s_mul_hi_u32 s17, s2, 36
	s_waitcnt lgkmcnt(0)
	s_add_u32 s24, s22, s24
	s_addc_u32 s17, s23, s17
	s_mul_i32 s30, s13, 36
	s_mul_hi_u32 s31, s13, 36
	s_add_u32 s24, s24, s30
	s_mul_hi_u32 s11, s11, s3
	s_addc_u32 s25, s17, s31
	s_add_i32 s11, s3, s11
	s_lshr_b32 s11, s11, s27
	s_mul_i32 s11, s11, s12
	s_mul_hi_u32 s12, s15, s4
	s_add_i32 s12, s4, s12
	s_lshr_b32 s12, s12, s26
	s_mul_i32 s12, s12, s16
	s_mul_i32 s13, s19, s8
	s_add_i32 s12, s12, s11
	s_add_i32 s11, s12, s13
	;; [unrolled: 1-line block ×3, first 2 shown]
	s_mul_i32 s8, s8, s13
	v_lshl_add_u32 v1, v13, 6, v12
	s_add_i32 s8, s12, s8
	v_lshrrev_b32_e32 v1, 3, v1
	s_movk_i32 s12, 0x120
	v_mov_b64_e32 v[2:3], s[30:31]
	v_mad_u64_u32 v[2:3], s[12:13], v1, s12, v[2:3]
	v_and_b32_e32 v16, 7, v12
	v_mad_u64_u32 v[2:3], s[12:13], s2, 36, v[2:3]
	v_mad_u64_u32 v[2:3], s[12:13], v16, 36, v[2:3]
	v_lshlrev_b32_e32 v0, 1, v16
	v_lshl_add_u64 v[2:3], v[2:3], 0, s[22:23]
	v_lshlrev_b32_e32 v25, 3, v17
	s_mul_i32 s15, s9, 6
	s_mul_i32 s26, s9, 5
	s_lshl_b32 s27, s9, 2
	s_mul_i32 s28, s9, 3
	v_lshl_add_u64 v[18:19], v[2:3], 0, 16
	s_lshl_b32 s29, s9, 1
	s_mov_b64 s[12:13], 0
	v_lshlrev_b32_e32 v14, 1, v0
	v_lshlrev_b32_e32 v22, 1, v16
	s_movk_i32 s30, 0x700
	s_mov_b32 s2, 0xb7000000
	v_mov_b32_e32 v24, 0xbf600000
	s_mov_b64 s[16:17], 0x900
	v_mov_b32_e32 v23, v15
	v_mov_b32_e32 v8, v15
	;; [unrolled: 1-line block ×15, first 2 shown]
.LBB214_2:                              ; =>This Inner Loop Header: Depth=1
	v_add_u32_e32 v30, s11, v17
	v_mad_i64_i32 v[30:31], s[22:23], v30, 50, s[20:21]
	v_lshl_add_u64 v[32:33], v[30:31], 0, v[14:15]
	global_load_dword v47, v[18:19], off offset:16
	global_load_dwordx4 v[26:29], v[18:19], off
	global_load_dwordx4 v[40:43], v[18:19], off offset:-16
	global_load_dword v34, v[32:33], off offset:2
	global_load_ushort v50, v[30:31], off
	v_lshl_add_u64 v[32:33], v[30:31], 0, v[22:23]
	global_load_ushort v49, v[32:33], off offset:34
	v_add_u32_e32 v30, s8, v17
	v_mad_i64_i32 v[30:31], s[22:23], v30, 50, s[20:21]
	v_lshl_add_u64 v[32:33], v[30:31], 0, v[14:15]
	global_load_dword v37, v[32:33], off offset:2
	global_load_ushort v53, v[30:31], off
	v_lshl_add_u64 v[32:33], v[30:31], 0, v[22:23]
	global_load_ushort v51, v[32:33], off offset:34
	s_getpc_b64 s[22:23]
	s_add_u32 s22, s22, _ZL13iq1s_grid_gpu@rel32@lo+4
	s_addc_u32 s23, s23, _ZL13iq1s_grid_gpu@rel32@hi+12
	v_mov_b32_e32 v54, 0
	v_mov_b32_e32 v55, 0
	;; [unrolled: 1-line block ×3, first 2 shown]
	v_add_u32_e32 v17, 8, v17
	v_cmp_le_u32_e32 vcc, s5, v17
	v_lshl_add_u64 v[18:19], v[18:19], 0, s[16:17]
	s_or_b64 s[12:13], vcc, s[12:13]
	s_waitcnt vmcnt(6)
	v_cvt_f32_f16_e32 v46, v40
	s_waitcnt vmcnt(5)
	v_lshrrev_b16_e32 v35, 8, v34
	v_lshrrev_b32_e32 v38, 24, v34
	v_and_b32_e32 v36, 0xff, v34
	s_waitcnt vmcnt(3)
	v_lshlrev_b32_e32 v32, 5, v49
	v_bfe_u32 v34, v34, 16, 8
	v_lshlrev_b32_e32 v30, 8, v49
	v_and_or_b32 v32, v32, s30, v35
	v_lshlrev_b32_e32 v35, 2, v49
	v_and_or_b32 v30, v30, s30, v36
	v_and_or_b32 v34, v35, s30, v34
	v_lshlrev_b32_e32 v30, 2, v30
	v_lshlrev_b32_e32 v32, 2, v32
	;; [unrolled: 1-line block ×3, first 2 shown]
	global_load_dword v31, v30, s[22:23]
	global_load_dword v33, v32, s[22:23]
	v_cvt_f32_f16_sdwa v48, v40 dst_sel:DWORD dst_unused:UNUSED_PAD src0_sel:WORD_1
	global_load_dword v34, v34, s[22:23]
	s_waitcnt vmcnt(5)
	v_lshrrev_b16_e32 v40, 8, v37
	v_lshrrev_b32_e32 v44, 24, v37
	v_and_b32_e32 v45, 0xff, v37
	v_bfe_u32 v52, v37, 16, 8
	s_waitcnt vmcnt(2)
	v_and_b32_e32 v30, 0xf0f0f0f, v31
	v_dot4c_i32_i8_e32 v54, v30, v41
	v_lshrrev_b32_e32 v31, 4, v31
	s_waitcnt vmcnt(0)
	v_and_b32_e32 v36, 0xf0f0f0f, v34
	v_lshrrev_b32_e32 v34, 4, v34
	v_and_b32_e32 v37, 0xf0f0f0f, v34
	v_lshrrev_b32_e32 v34, 1, v49
	v_and_or_b32 v34, v34, s30, v38
	v_lshlrev_b32_e32 v34, 2, v34
	global_load_dword v34, v34, s[22:23]
	v_and_b32_e32 v31, 0xf0f0f0f, v31
	v_dot4c_i32_i8_e32 v54, v31, v42
	v_and_b32_e32 v32, 0xf0f0f0f, v33
	v_lshrrev_b32_e32 v33, 4, v33
	v_and_b32_e32 v33, 0xf0f0f0f, v33
	v_dot4c_i32_i8_e32 v54, v32, v43
	v_dot4c_i32_i8_e32 v54, v33, v26
	;; [unrolled: 1-line block ×4, first 2 shown]
	s_waitcnt vmcnt(0)
	v_and_b32_e32 v38, 0xf0f0f0f, v34
	v_lshrrev_b32_e32 v34, 4, v34
	v_and_b32_e32 v39, 0xf0f0f0f, v34
	v_lshlrev_b32_e32 v34, 8, v51
	v_and_or_b32 v34, v34, s30, v45
	v_lshlrev_b32_e32 v34, 2, v34
	global_load_dword v34, v34, s[22:23]
	v_dot4c_i32_i8_e32 v54, v38, v29
	v_dot4c_i32_i8_e32 v54, v39, v47
	s_waitcnt vmcnt(0)
	v_and_b32_e32 v35, 0xf0f0f0f, v34
	v_dot4c_i32_i8_e32 v55, v35, v41
	v_lshlrev_b32_e32 v41, 5, v51
	v_and_or_b32 v40, v41, s30, v40
	v_lshlrev_b32_e32 v40, 2, v40
	global_load_dword v40, v40, s[22:23]
	v_lshrrev_b32_e32 v34, 4, v34
	v_and_b32_e32 v34, 0xf0f0f0f, v34
	v_dot4c_i32_i8_e32 v55, v34, v42
	s_waitcnt vmcnt(0)
	v_and_b32_e32 v41, 0xf0f0f0f, v40
	v_lshrrev_b32_e32 v40, 4, v40
	v_and_b32_e32 v40, 0xf0f0f0f, v40
	v_dot4c_i32_i8_e32 v55, v41, v43
	v_dot4c_i32_i8_e32 v55, v40, v26
	v_lshlrev_b32_e32 v26, 2, v51
	v_and_or_b32 v26, v26, s30, v52
	v_lshlrev_b32_e32 v26, 2, v26
	global_load_dword v26, v26, s[22:23]
	s_waitcnt vmcnt(0)
	v_and_b32_e32 v43, 0xf0f0f0f, v26
	v_lshrrev_b32_e32 v26, 4, v26
	v_and_b32_e32 v42, 0xf0f0f0f, v26
	v_lshrrev_b32_e32 v26, 1, v51
	v_and_or_b32 v26, v26, s30, v44
	v_lshlrev_b32_e32 v26, 2, v26
	global_load_dword v26, v26, s[22:23]
	v_dot4c_i32_i8_e32 v55, v43, v27
	v_dot4c_i32_i8_e32 v55, v42, v28
	v_cvt_f32_f16_e32 v27, v53
	v_lshrrev_b32_e32 v28, 11, v51
	v_and_or_b32 v28, v28, 14, 1
	s_waitcnt vmcnt(0)
	v_and_b32_e32 v44, 0xf0f0f0f, v26
	v_lshrrev_b32_e32 v26, 4, v26
	v_and_b32_e32 v45, 0xf0f0f0f, v26
	v_cvt_f32_f16_e32 v26, v50
	v_dot4c_i32_i8_e32 v55, v44, v29
	v_lshrrev_b32_e32 v29, 11, v49
	v_dot4c_i32_i8_e32 v55, v45, v47
	v_and_or_b32 v47, v29, 14, 1
	v_cvt_f32_ubyte0_e32 v29, v28
	v_cvt_f32_ubyte0_e32 v28, v47
	v_pk_mul_f32 v[26:27], v[28:29], v[26:27]
	v_and_b32_e32 v28, 0x8000, v49
	v_and_b32_e32 v29, 0x8000, v51
	v_cvt_f32_u32_e32 v29, v29
	v_cvt_f32_u32_e32 v28, v28
	v_cvt_f32_i32_e32 v51, v55
	v_cvt_f32_i32_e32 v50, v54
	v_pk_fma_f32 v[28:29], v[28:29], s[2:3], v[24:25] op_sel_hi:[1,0,0]
	s_nop 0
	v_pk_mul_f32 v[48:49], v[28:29], v[48:49] op_sel_hi:[1,0]
	s_nop 0
	v_pk_fma_f32 v[46:47], v[46:47], v[50:51], v[48:49] op_sel_hi:[0,1,1]
	v_pk_fma_f32 v[8:9], v[26:27], v[46:47], v[8:9]
	v_add_u32_e32 v46, s9, v25
	v_mad_u64_u32 v[46:47], s[22:23], v46, 36, s[24:25]
	v_mad_u64_u32 v[54:55], s[22:23], v16, 36, v[46:47]
	global_load_dword v56, v[54:55], off offset:32
	global_load_dwordx4 v[46:49], v[54:55], off offset:16
	global_load_dwordx4 v[50:53], v[54:55], off
	v_mov_b32_e32 v55, 0
	s_waitcnt vmcnt(0)
	v_dot4c_i32_i8_e32 v55, v30, v51
	v_dot4c_i32_i8_e32 v57, v35, v51
	v_dot4c_i32_i8_e32 v55, v31, v52
	v_dot4c_i32_i8_e32 v57, v34, v52
	v_dot4c_i32_i8_e32 v55, v32, v53
	v_dot4c_i32_i8_e32 v57, v41, v53
	v_dot4c_i32_i8_e32 v55, v33, v46
	v_dot4c_i32_i8_e32 v57, v40, v46
	v_dot4c_i32_i8_e32 v55, v36, v47
	v_dot4c_i32_i8_e32 v57, v43, v47
	v_dot4c_i32_i8_e32 v55, v37, v48
	v_dot4c_i32_i8_e32 v57, v42, v48
	v_dot4c_i32_i8_e32 v55, v38, v49
	v_dot4c_i32_i8_e32 v57, v44, v49
	v_cvt_f32_f16_e32 v54, v50
	v_cvt_f32_f16_sdwa v50, v50 dst_sel:DWORD dst_unused:UNUSED_PAD src0_sel:WORD_1
	v_dot4c_i32_i8_e32 v55, v39, v56
	v_dot4c_i32_i8_e32 v57, v45, v56
	v_pk_mul_f32 v[48:49], v[28:29], v[50:51] op_sel_hi:[1,0]
	s_nop 0
	v_cvt_f32_i32_e32 v46, v55
	v_cvt_f32_i32_e32 v47, v57
	v_mov_b32_e32 v57, 0
	v_pk_fma_f32 v[46:47], v[54:55], v[46:47], v[48:49] op_sel_hi:[0,1,1]
	v_pk_fma_f32 v[10:11], v[26:27], v[46:47], v[10:11]
	v_add_u32_e32 v46, s29, v25
	v_mad_u64_u32 v[46:47], s[22:23], v46, 36, s[24:25]
	v_mad_u64_u32 v[54:55], s[22:23], v16, 36, v[46:47]
	global_load_dword v56, v[54:55], off offset:32
	global_load_dwordx4 v[46:49], v[54:55], off offset:16
	global_load_dwordx4 v[50:53], v[54:55], off
	v_mov_b32_e32 v55, 0
	s_waitcnt vmcnt(0)
	v_dot4c_i32_i8_e32 v55, v30, v51
	v_dot4c_i32_i8_e32 v57, v35, v51
	v_dot4c_i32_i8_e32 v55, v31, v52
	v_dot4c_i32_i8_e32 v57, v34, v52
	v_dot4c_i32_i8_e32 v55, v32, v53
	v_dot4c_i32_i8_e32 v57, v41, v53
	v_dot4c_i32_i8_e32 v55, v33, v46
	v_dot4c_i32_i8_e32 v57, v40, v46
	v_dot4c_i32_i8_e32 v55, v36, v47
	v_dot4c_i32_i8_e32 v57, v43, v47
	v_dot4c_i32_i8_e32 v55, v37, v48
	v_dot4c_i32_i8_e32 v57, v42, v48
	v_dot4c_i32_i8_e32 v55, v38, v49
	v_dot4c_i32_i8_e32 v57, v44, v49
	v_cvt_f32_f16_e32 v54, v50
	v_cvt_f32_f16_sdwa v50, v50 dst_sel:DWORD dst_unused:UNUSED_PAD src0_sel:WORD_1
	v_dot4c_i32_i8_e32 v55, v39, v56
	v_dot4c_i32_i8_e32 v57, v45, v56
	v_pk_mul_f32 v[48:49], v[28:29], v[50:51] op_sel_hi:[1,0]
	s_nop 0
	v_cvt_f32_i32_e32 v46, v55
	v_cvt_f32_i32_e32 v47, v57
	v_mov_b32_e32 v57, 0
	;; [unrolled: 33-line block ×4, first 2 shown]
	v_pk_fma_f32 v[46:47], v[54:55], v[46:47], v[48:49] op_sel_hi:[0,1,1]
	v_pk_fma_f32 v[0:1], v[26:27], v[46:47], v[0:1]
	v_add_u32_e32 v46, s26, v25
	v_mad_u64_u32 v[46:47], s[22:23], v46, 36, s[24:25]
	v_mad_u64_u32 v[54:55], s[22:23], v16, 36, v[46:47]
	global_load_dword v56, v[54:55], off offset:32
	global_load_dwordx4 v[46:49], v[54:55], off offset:16
	global_load_dwordx4 v[50:53], v[54:55], off
	v_mov_b32_e32 v55, 0
	s_waitcnt vmcnt(0)
	v_dot4c_i32_i8_e32 v55, v30, v51
	v_dot4c_i32_i8_e32 v57, v35, v51
	;; [unrolled: 1-line block ×14, first 2 shown]
	v_cvt_f32_f16_e32 v54, v50
	v_cvt_f32_f16_sdwa v50, v50 dst_sel:DWORD dst_unused:UNUSED_PAD src0_sel:WORD_1
	v_dot4c_i32_i8_e32 v55, v39, v56
	v_dot4c_i32_i8_e32 v57, v45, v56
	v_pk_mul_f32 v[48:49], v[28:29], v[50:51] op_sel_hi:[1,0]
	s_nop 0
	v_cvt_f32_i32_e32 v46, v55
	v_cvt_f32_i32_e32 v47, v57
	v_pk_fma_f32 v[46:47], v[54:55], v[46:47], v[48:49] op_sel_hi:[0,1,1]
	v_pk_fma_f32 v[2:3], v[26:27], v[46:47], v[2:3]
	v_add_u32_e32 v46, s15, v25
	v_mad_u64_u32 v[46:47], s[22:23], v46, 36, s[24:25]
	v_mad_u64_u32 v[54:55], s[22:23], v16, 36, v[46:47]
	global_load_dword v56, v[54:55], off offset:32
	global_load_dwordx4 v[46:49], v[54:55], off offset:16
	global_load_dwordx4 v[50:53], v[54:55], off
	v_mov_b32_e32 v55, 0
	v_add_u32_e32 v25, 64, v25
	s_waitcnt vmcnt(0)
	v_dot4c_i32_i8_e32 v55, v30, v51
	v_mov_b32_e32 v30, 0
	v_dot4c_i32_i8_e32 v30, v35, v51
	v_dot4c_i32_i8_e32 v55, v31, v52
	;; [unrolled: 1-line block ×13, first 2 shown]
	v_cvt_f32_f16_e32 v54, v50
	v_cvt_f32_f16_sdwa v50, v50 dst_sel:DWORD dst_unused:UNUSED_PAD src0_sel:WORD_1
	v_dot4c_i32_i8_e32 v55, v39, v56
	v_dot4c_i32_i8_e32 v30, v45, v56
	v_pk_mul_f32 v[28:29], v[28:29], v[50:51] op_sel_hi:[1,0]
	s_nop 1
	v_cvt_f32_i32_e32 v31, v30
	v_cvt_f32_i32_e32 v30, v55
	v_pk_fma_f32 v[28:29], v[54:55], v[30:31], v[28:29] op_sel_hi:[0,1,1]
	v_pk_fma_f32 v[20:21], v[26:27], v[28:29], v[20:21]
	s_andn2_b64 exec, exec, s[12:13]
	s_cbranch_execnz .LBB214_2
; %bb.3:
	s_or_b64 exec, exec, s[12:13]
	scratch_store_dwordx4 off, v[8:11], off
	scratch_store_dwordx4 off, v[4:7], off offset:16
	scratch_store_dwordx4 off, v[0:3], off offset:32
	scratch_store_dwordx2 off, v[20:21], off offset:48
.LBB214_4:
	s_or_b64 exec, exec, s[6:7]
	s_mov_b32 s5, 0
	v_cmp_eq_u32_e32 vcc, 0, v13
	s_waitcnt lgkmcnt(0)
	; wave barrier
	s_and_saveexec_b64 s[6:7], vcc
	s_cbranch_execz .LBB214_19
; %bb.5:
	scratch_load_dwordx2 v[2:3], off, off
	v_mbcnt_lo_u32_b32 v0, -1, 0
	v_mbcnt_hi_u32_b32 v13, -1, v0
	s_load_dwordx2 s[6:7], s[0:1], 0x38
	s_mul_i32 s0, s3, s14
	v_or_b32_e32 v1, s19, v12
	v_and_b32_e32 v0, 64, v13
	s_mul_i32 s4, s4, s18
	s_add_i32 s2, s0, s19
	v_cmp_gt_u32_e64 s[0:1], s10, v1
	v_xor_b32_e32 v1, 32, v13
	v_add_u32_e32 v14, 64, v0
	s_add_i32 s4, s2, s4
	v_cmp_lt_i32_e64 s[2:3], v1, v14
	v_cmp_gt_u32_e32 vcc, 2, v12
	s_nop 0
	v_cndmask_b32_e64 v0, v13, v1, s[2:3]
	v_lshlrev_b32_e32 v0, 2, v0
	v_xor_b32_e32 v1, 16, v13
	v_cmp_lt_i32_e64 s[2:3], v1, v14
	s_waitcnt vmcnt(0)
	ds_bpermute_b32 v4, v0, v2
	ds_bpermute_b32 v5, v0, v3
	v_cndmask_b32_e64 v1, v13, v1, s[2:3]
	v_lshlrev_b32_e32 v1, 2, v1
	s_waitcnt lgkmcnt(0)
	v_pk_add_f32 v[4:5], v[2:3], v[4:5]
	ds_bpermute_b32 v6, v1, v4
	ds_bpermute_b32 v7, v1, v5
	v_xor_b32_e32 v2, 8, v13
	v_cmp_lt_i32_e64 s[2:3], v2, v14
	v_xor_b32_e32 v3, 4, v13
	s_waitcnt lgkmcnt(0)
	v_pk_add_f32 v[4:5], v[4:5], v[6:7]
	v_cndmask_b32_e64 v2, v13, v2, s[2:3]
	v_lshlrev_b32_e32 v2, 2, v2
	ds_bpermute_b32 v6, v2, v4
	ds_bpermute_b32 v7, v2, v5
	v_cmp_lt_i32_e64 s[2:3], v3, v14
	s_waitcnt lgkmcnt(0)
	v_pk_add_f32 v[6:7], v[4:5], v[6:7]
	v_cndmask_b32_e64 v3, v13, v3, s[2:3]
	v_lshlrev_b32_e32 v3, 2, v3
	ds_bpermute_b32 v8, v3, v6
	ds_bpermute_b32 v9, v3, v7
	v_xor_b32_e32 v4, 2, v13
	v_cmp_lt_i32_e64 s[2:3], v4, v14
	v_xor_b32_e32 v5, 1, v13
	s_waitcnt lgkmcnt(0)
	v_pk_add_f32 v[8:9], v[6:7], v[8:9]
	v_cndmask_b32_e64 v4, v13, v4, s[2:3]
	v_lshlrev_b32_e32 v4, 2, v4
	ds_bpermute_b32 v10, v4, v8
	ds_bpermute_b32 v11, v4, v9
	v_cmp_lt_i32_e64 s[2:3], v5, v14
	s_waitcnt lgkmcnt(0)
	v_pk_add_f32 v[8:9], v[8:9], v[10:11]
	v_cndmask_b32_e64 v5, v13, v5, s[2:3]
	v_lshlrev_b32_e32 v6, 2, v5
	ds_bpermute_b32 v10, v6, v8
	ds_bpermute_b32 v11, v6, v9
	s_lshl_b64 s[2:3], s[4:5], 2
	s_add_u32 s2, s6, s2
	s_addc_u32 s3, s7, s3
	s_and_b64 s[0:1], vcc, s[0:1]
	s_waitcnt lgkmcnt(0)
	v_pk_add_f32 v[8:9], v[8:9], v[10:11]
	v_lshlrev_b32_e32 v5, 2, v12
	scratch_store_dwordx2 off, v[8:9], off
	s_and_saveexec_b64 s[4:5], s[0:1]
	s_cbranch_execz .LBB214_7
; %bb.6:
	scratch_load_dword v7, v5, off
	s_waitcnt vmcnt(0)
	global_store_dword v5, v7, s[2:3]
.LBB214_7:
	s_or_b64 exec, exec, s[4:5]
	scratch_load_dwordx2 v[8:9], off, off offset:8
	s_waitcnt vmcnt(0)
	ds_bpermute_b32 v10, v0, v8
	ds_bpermute_b32 v11, v0, v9
	s_waitcnt lgkmcnt(0)
	v_pk_add_f32 v[8:9], v[8:9], v[10:11]
	ds_bpermute_b32 v10, v1, v8
	ds_bpermute_b32 v11, v1, v9
	s_waitcnt lgkmcnt(0)
	v_pk_add_f32 v[8:9], v[8:9], v[10:11]
	;; [unrolled: 4-line block ×6, first 2 shown]
	scratch_store_dwordx2 off, v[8:9], off offset:8
	s_and_saveexec_b64 s[4:5], s[0:1]
	s_cbranch_execz .LBB214_9
; %bb.8:
	scratch_load_dword v7, v5, off offset:8
	v_add_u32_e32 v8, s10, v12
	v_mov_b32_e32 v9, 0
	v_lshl_add_u64 v[8:9], v[8:9], 2, s[2:3]
	s_waitcnt vmcnt(0)
	global_store_dword v[8:9], v7, off
.LBB214_9:
	s_or_b64 exec, exec, s[4:5]
	scratch_load_dwordx2 v[8:9], off, off offset:16
	s_waitcnt vmcnt(0)
	ds_bpermute_b32 v10, v0, v8
	ds_bpermute_b32 v11, v0, v9
	s_waitcnt lgkmcnt(0)
	v_pk_add_f32 v[8:9], v[8:9], v[10:11]
	ds_bpermute_b32 v10, v1, v8
	ds_bpermute_b32 v11, v1, v9
	s_waitcnt lgkmcnt(0)
	v_pk_add_f32 v[8:9], v[8:9], v[10:11]
	;; [unrolled: 4-line block ×6, first 2 shown]
	scratch_store_dwordx2 off, v[8:9], off offset:16
	s_and_saveexec_b64 s[4:5], s[0:1]
	s_cbranch_execz .LBB214_11
; %bb.10:
	scratch_load_dword v7, v5, off offset:16
	v_lshl_or_b32 v8, s10, 1, v12
	v_mov_b32_e32 v9, 0
	v_lshl_add_u64 v[8:9], v[8:9], 2, s[2:3]
	s_waitcnt vmcnt(0)
	global_store_dword v[8:9], v7, off
.LBB214_11:
	s_or_b64 exec, exec, s[4:5]
	scratch_load_dwordx2 v[8:9], off, off offset:24
	s_waitcnt vmcnt(0)
	ds_bpermute_b32 v10, v0, v8
	ds_bpermute_b32 v11, v0, v9
	s_waitcnt lgkmcnt(0)
	v_pk_add_f32 v[8:9], v[8:9], v[10:11]
	ds_bpermute_b32 v10, v1, v8
	ds_bpermute_b32 v11, v1, v9
	s_waitcnt lgkmcnt(0)
	v_pk_add_f32 v[8:9], v[8:9], v[10:11]
	ds_bpermute_b32 v10, v2, v8
	ds_bpermute_b32 v11, v2, v9
	s_waitcnt lgkmcnt(0)
	v_pk_add_f32 v[8:9], v[8:9], v[10:11]
	ds_bpermute_b32 v10, v3, v8
	ds_bpermute_b32 v11, v3, v9
	s_waitcnt lgkmcnt(0)
	v_pk_add_f32 v[8:9], v[8:9], v[10:11]
	ds_bpermute_b32 v10, v4, v8
	ds_bpermute_b32 v11, v4, v9
	s_waitcnt lgkmcnt(0)
	v_pk_add_f32 v[8:9], v[8:9], v[10:11]
	ds_bpermute_b32 v10, v6, v8
	ds_bpermute_b32 v11, v6, v9
	s_waitcnt lgkmcnt(0)
	v_pk_add_f32 v[8:9], v[8:9], v[10:11]
	scratch_store_dwordx2 off, v[8:9], off offset:24
	s_and_saveexec_b64 s[4:5], s[0:1]
	s_cbranch_execz .LBB214_13
; %bb.12:
	scratch_load_dword v7, v5, off offset:24
	v_mad_u64_u32 v[8:9], s[6:7], s10, 3, v[12:13]
	v_mov_b32_e32 v9, 0
	v_lshl_add_u64 v[8:9], v[8:9], 2, s[2:3]
	s_waitcnt vmcnt(0)
	global_store_dword v[8:9], v7, off
.LBB214_13:
	s_or_b64 exec, exec, s[4:5]
	scratch_load_dwordx2 v[8:9], off, off offset:32
	s_waitcnt vmcnt(0)
	ds_bpermute_b32 v10, v0, v8
	ds_bpermute_b32 v11, v0, v9
	s_waitcnt lgkmcnt(0)
	v_pk_add_f32 v[8:9], v[8:9], v[10:11]
	ds_bpermute_b32 v10, v1, v8
	ds_bpermute_b32 v11, v1, v9
	s_waitcnt lgkmcnt(0)
	v_pk_add_f32 v[8:9], v[8:9], v[10:11]
	ds_bpermute_b32 v10, v2, v8
	ds_bpermute_b32 v11, v2, v9
	s_waitcnt lgkmcnt(0)
	v_pk_add_f32 v[8:9], v[8:9], v[10:11]
	ds_bpermute_b32 v10, v3, v8
	ds_bpermute_b32 v11, v3, v9
	s_waitcnt lgkmcnt(0)
	v_pk_add_f32 v[8:9], v[8:9], v[10:11]
	ds_bpermute_b32 v10, v4, v8
	ds_bpermute_b32 v11, v4, v9
	s_waitcnt lgkmcnt(0)
	v_pk_add_f32 v[8:9], v[8:9], v[10:11]
	ds_bpermute_b32 v10, v6, v8
	ds_bpermute_b32 v11, v6, v9
	s_waitcnt lgkmcnt(0)
	v_pk_add_f32 v[8:9], v[8:9], v[10:11]
	scratch_store_dwordx2 off, v[8:9], off offset:32
	s_and_saveexec_b64 s[4:5], s[0:1]
	s_cbranch_execz .LBB214_15
; %bb.14:
	scratch_load_dword v7, v5, off offset:32
	v_lshl_or_b32 v8, s10, 2, v12
	v_mov_b32_e32 v9, 0
	v_lshl_add_u64 v[8:9], v[8:9], 2, s[2:3]
	s_waitcnt vmcnt(0)
	global_store_dword v[8:9], v7, off
.LBB214_15:
	s_or_b64 exec, exec, s[4:5]
	scratch_load_dwordx2 v[8:9], off, off offset:40
	s_waitcnt vmcnt(0)
	ds_bpermute_b32 v10, v0, v8
	ds_bpermute_b32 v11, v0, v9
	s_waitcnt lgkmcnt(0)
	v_pk_add_f32 v[8:9], v[8:9], v[10:11]
	ds_bpermute_b32 v10, v1, v8
	ds_bpermute_b32 v11, v1, v9
	s_waitcnt lgkmcnt(0)
	v_pk_add_f32 v[8:9], v[8:9], v[10:11]
	;; [unrolled: 4-line block ×6, first 2 shown]
	scratch_store_dwordx2 off, v[8:9], off offset:40
	s_and_saveexec_b64 s[4:5], s[0:1]
	s_cbranch_execz .LBB214_17
; %bb.16:
	scratch_load_dword v7, v5, off offset:40
	v_mad_u64_u32 v[8:9], s[6:7], s10, 5, v[12:13]
	v_mov_b32_e32 v9, 0
	v_lshl_add_u64 v[8:9], v[8:9], 2, s[2:3]
	s_waitcnt vmcnt(0)
	global_store_dword v[8:9], v7, off
.LBB214_17:
	s_or_b64 exec, exec, s[4:5]
	scratch_load_dwordx2 v[8:9], off, off offset:48
	s_waitcnt vmcnt(0)
	ds_bpermute_b32 v10, v0, v8
	ds_bpermute_b32 v11, v0, v9
	s_waitcnt lgkmcnt(0)
	v_pk_add_f32 v[8:9], v[8:9], v[10:11]
	ds_bpermute_b32 v0, v1, v8
	ds_bpermute_b32 v1, v1, v9
	s_waitcnt lgkmcnt(0)
	v_pk_add_f32 v[0:1], v[8:9], v[0:1]
	;; [unrolled: 4-line block ×6, first 2 shown]
	scratch_store_dwordx2 off, v[0:1], off offset:48
	s_and_b64 exec, exec, s[0:1]
	s_cbranch_execz .LBB214_19
; %bb.18:
	scratch_load_dword v2, v5, off offset:48
	s_mul_i32 s0, s10, 6
	v_or_b32_e32 v0, s0, v12
	v_mov_b32_e32 v1, 0
	v_lshl_add_u64 v[0:1], v[0:1], 2, s[2:3]
	s_waitcnt vmcnt(0)
	global_store_dword v[0:1], v2, off
.LBB214_19:
	s_endpgm
	.section	.rodata,"a",@progbits
	.p2align	6, 0x0
	.amdhsa_kernel _ZL13mul_mat_vec_qIL9ggml_type19ELi7ELb0ELb0EEvPKvS2_PKi31ggml_cuda_mm_fusion_args_devicePfj15HIP_vector_typeIjLj3EEjjjS8_jjjS8_jjjj
		.amdhsa_group_segment_fixed_size 0
		.amdhsa_private_segment_fixed_size 64
		.amdhsa_kernarg_size 144
		.amdhsa_user_sgpr_count 2
		.amdhsa_user_sgpr_dispatch_ptr 0
		.amdhsa_user_sgpr_queue_ptr 0
		.amdhsa_user_sgpr_kernarg_segment_ptr 1
		.amdhsa_user_sgpr_dispatch_id 0
		.amdhsa_user_sgpr_kernarg_preload_length 0
		.amdhsa_user_sgpr_kernarg_preload_offset 0
		.amdhsa_user_sgpr_private_segment_size 0
		.amdhsa_uses_dynamic_stack 0
		.amdhsa_enable_private_segment 1
		.amdhsa_system_sgpr_workgroup_id_x 1
		.amdhsa_system_sgpr_workgroup_id_y 1
		.amdhsa_system_sgpr_workgroup_id_z 1
		.amdhsa_system_sgpr_workgroup_info 0
		.amdhsa_system_vgpr_workitem_id 1
		.amdhsa_next_free_vgpr 58
		.amdhsa_next_free_sgpr 32
		.amdhsa_accum_offset 60
		.amdhsa_reserve_vcc 1
		.amdhsa_float_round_mode_32 0
		.amdhsa_float_round_mode_16_64 0
		.amdhsa_float_denorm_mode_32 3
		.amdhsa_float_denorm_mode_16_64 3
		.amdhsa_dx10_clamp 1
		.amdhsa_ieee_mode 1
		.amdhsa_fp16_overflow 0
		.amdhsa_tg_split 0
		.amdhsa_exception_fp_ieee_invalid_op 0
		.amdhsa_exception_fp_denorm_src 0
		.amdhsa_exception_fp_ieee_div_zero 0
		.amdhsa_exception_fp_ieee_overflow 0
		.amdhsa_exception_fp_ieee_underflow 0
		.amdhsa_exception_fp_ieee_inexact 0
		.amdhsa_exception_int_div_zero 0
	.end_amdhsa_kernel
	.section	.text._ZL13mul_mat_vec_qIL9ggml_type19ELi7ELb0ELb0EEvPKvS2_PKi31ggml_cuda_mm_fusion_args_devicePfj15HIP_vector_typeIjLj3EEjjjS8_jjjS8_jjjj,"axG",@progbits,_ZL13mul_mat_vec_qIL9ggml_type19ELi7ELb0ELb0EEvPKvS2_PKi31ggml_cuda_mm_fusion_args_devicePfj15HIP_vector_typeIjLj3EEjjjS8_jjjS8_jjjj,comdat
.Lfunc_end214:
	.size	_ZL13mul_mat_vec_qIL9ggml_type19ELi7ELb0ELb0EEvPKvS2_PKi31ggml_cuda_mm_fusion_args_devicePfj15HIP_vector_typeIjLj3EEjjjS8_jjjS8_jjjj, .Lfunc_end214-_ZL13mul_mat_vec_qIL9ggml_type19ELi7ELb0ELb0EEvPKvS2_PKi31ggml_cuda_mm_fusion_args_devicePfj15HIP_vector_typeIjLj3EEjjjS8_jjjS8_jjjj
                                        ; -- End function
	.section	.AMDGPU.csdata,"",@progbits
; Kernel info:
; codeLenInByte = 4248
; NumSgprs: 38
; NumVgprs: 58
; NumAgprs: 0
; TotalNumVgprs: 58
; ScratchSize: 64
; MemoryBound: 0
; FloatMode: 240
; IeeeMode: 1
; LDSByteSize: 0 bytes/workgroup (compile time only)
; SGPRBlocks: 4
; VGPRBlocks: 7
; NumSGPRsForWavesPerEU: 38
; NumVGPRsForWavesPerEU: 58
; AccumOffset: 60
; Occupancy: 8
; WaveLimiterHint : 0
; COMPUTE_PGM_RSRC2:SCRATCH_EN: 1
; COMPUTE_PGM_RSRC2:USER_SGPR: 2
; COMPUTE_PGM_RSRC2:TRAP_HANDLER: 0
; COMPUTE_PGM_RSRC2:TGID_X_EN: 1
; COMPUTE_PGM_RSRC2:TGID_Y_EN: 1
; COMPUTE_PGM_RSRC2:TGID_Z_EN: 1
; COMPUTE_PGM_RSRC2:TIDIG_COMP_CNT: 1
; COMPUTE_PGM_RSRC3_GFX90A:ACCUM_OFFSET: 14
; COMPUTE_PGM_RSRC3_GFX90A:TG_SPLIT: 0
	.section	.text._ZL13mul_mat_vec_qIL9ggml_type19ELi8ELb0ELb0EEvPKvS2_PKi31ggml_cuda_mm_fusion_args_devicePfj15HIP_vector_typeIjLj3EEjjjS8_jjjS8_jjjj,"axG",@progbits,_ZL13mul_mat_vec_qIL9ggml_type19ELi8ELb0ELb0EEvPKvS2_PKi31ggml_cuda_mm_fusion_args_devicePfj15HIP_vector_typeIjLj3EEjjjS8_jjjS8_jjjj,comdat
	.globl	_ZL13mul_mat_vec_qIL9ggml_type19ELi8ELb0ELb0EEvPKvS2_PKi31ggml_cuda_mm_fusion_args_devicePfj15HIP_vector_typeIjLj3EEjjjS8_jjjS8_jjjj ; -- Begin function _ZL13mul_mat_vec_qIL9ggml_type19ELi8ELb0ELb0EEvPKvS2_PKi31ggml_cuda_mm_fusion_args_devicePfj15HIP_vector_typeIjLj3EEjjjS8_jjjS8_jjjj
	.p2align	8
	.type	_ZL13mul_mat_vec_qIL9ggml_type19ELi8ELb0ELb0EEvPKvS2_PKi31ggml_cuda_mm_fusion_args_devicePfj15HIP_vector_typeIjLj3EEjjjS8_jjjS8_jjjj,@function
_ZL13mul_mat_vec_qIL9ggml_type19ELi8ELb0ELb0EEvPKvS2_PKi31ggml_cuda_mm_fusion_args_devicePfj15HIP_vector_typeIjLj3EEjjjS8_jjjS8_jjjj: ; @_ZL13mul_mat_vec_qIL9ggml_type19ELi8ELb0ELb0EEvPKvS2_PKi31ggml_cuda_mm_fusion_args_devicePfj15HIP_vector_typeIjLj3EEjjjS8_jjjS8_jjjj
; %bb.0:
	v_bfe_u32 v17, v0, 10, 10
	v_and_b32_e32 v16, 0x3ff, v0
	s_mov_b32 s20, 0
	s_load_dword s5, s[0:1], 0x40
	s_load_dwordx4 s[8:11], s[0:1], 0x50
	s_load_dword s27, s[0:1], 0x60
	s_load_dwordx4 s[12:15], s[0:1], 0x68
	;; [unrolled: 2-line block ×3, first 2 shown]
	v_lshl_or_b32 v4, v17, 6, v16
	s_mov_b32 s21, s20
	s_waitcnt lgkmcnt(0)
	s_lshr_b32 s5, s5, 8
	s_mov_b32 s22, s20
	s_mov_b32 s23, s20
	v_mov_b64_e32 v[0:1], s[20:21]
	v_lshrrev_b32_e32 v19, 3, v4
	s_lshl_b32 s19, s2, 1
	v_mov_b64_e32 v[2:3], s[22:23]
	v_cmp_gt_u32_e32 vcc, s5, v19
	scratch_store_dwordx4 off, v[0:3], off offset:48
	scratch_store_dwordx4 off, v[0:3], off offset:32
	;; [unrolled: 1-line block ×3, first 2 shown]
	scratch_store_dwordx4 off, v[0:3], off
	s_and_saveexec_b64 s[6:7], vcc
	s_cbranch_execz .LBB215_4
; %bb.1:
	s_load_dwordx4 s[20:23], s[0:1], 0x0
	s_mul_i32 s2, s4, s17
	s_mul_i32 s24, s2, 36
	;; [unrolled: 1-line block ×3, first 2 shown]
	s_mul_hi_u32 s17, s2, 36
	s_waitcnt lgkmcnt(0)
	s_add_u32 s24, s22, s24
	s_addc_u32 s17, s23, s17
	s_mul_i32 s30, s13, 36
	s_mul_hi_u32 s31, s13, 36
	s_add_u32 s24, s24, s30
	s_mul_hi_u32 s11, s11, s3
	s_addc_u32 s25, s17, s31
	s_add_i32 s11, s3, s11
	s_lshr_b32 s11, s11, s27
	s_mul_i32 s11, s11, s12
	s_mul_hi_u32 s12, s15, s4
	s_add_i32 s12, s4, s12
	s_lshr_b32 s12, s12, s26
	s_mul_i32 s12, s12, s16
	s_mul_i32 s13, s19, s8
	s_add_i32 s12, s12, s11
	s_add_i32 s11, s12, s13
	;; [unrolled: 1-line block ×3, first 2 shown]
	s_mul_i32 s8, s8, s13
	v_lshl_add_u32 v1, v17, 6, v16
	s_add_i32 s8, s12, s8
	v_lshrrev_b32_e32 v1, 3, v1
	s_movk_i32 s12, 0x120
	v_mov_b64_e32 v[2:3], s[30:31]
	v_mad_u64_u32 v[2:3], s[12:13], v1, s12, v[2:3]
	v_and_b32_e32 v18, 7, v16
	v_mad_u64_u32 v[2:3], s[12:13], s2, 36, v[2:3]
	v_mad_u64_u32 v[2:3], s[12:13], v18, 36, v[2:3]
	v_lshlrev_b32_e32 v0, 1, v18
	v_mov_b32_e32 v21, 0
	v_lshl_add_u64 v[2:3], v[2:3], 0, s[22:23]
	v_lshlrev_b32_e32 v27, 3, v19
	s_mul_i32 s15, s9, 7
	s_mul_i32 s26, s9, 6
	;; [unrolled: 1-line block ×3, first 2 shown]
	s_lshl_b32 s28, s9, 2
	v_lshl_add_u64 v[22:23], v[2:3], 0, 16
	s_lshl_b32 s29, s9, 1
	s_mul_i32 s30, s9, 3
	s_mov_b64 s[12:13], 0
	v_lshlrev_b32_e32 v20, 1, v0
	v_lshlrev_b32_e32 v24, 1, v18
	s_movk_i32 s31, 0x700
	s_mov_b32 s2, 0xb7000000
	v_mov_b32_e32 v26, 0xbf600000
	s_mov_b64 s[16:17], 0x900
	v_mov_b32_e32 v25, v21
	v_mov_b32_e32 v12, v21
	;; [unrolled: 1-line block ×17, first 2 shown]
.LBB215_2:                              ; =>This Inner Loop Header: Depth=1
	v_add_u32_e32 v32, s11, v19
	v_mad_i64_i32 v[32:33], s[22:23], v32, 50, s[20:21]
	v_lshl_add_u64 v[34:35], v[32:33], 0, v[20:21]
	global_load_dword v49, v[22:23], off offset:16
	global_load_dwordx4 v[28:31], v[22:23], off
	global_load_dwordx4 v[42:45], v[22:23], off offset:-16
	global_load_dword v36, v[34:35], off offset:2
	global_load_ushort v52, v[32:33], off
	v_lshl_add_u64 v[34:35], v[32:33], 0, v[24:25]
	global_load_ushort v51, v[34:35], off offset:34
	v_add_u32_e32 v32, s8, v19
	v_mad_i64_i32 v[32:33], s[22:23], v32, 50, s[20:21]
	v_lshl_add_u64 v[34:35], v[32:33], 0, v[20:21]
	global_load_dword v39, v[34:35], off offset:2
	global_load_ushort v55, v[32:33], off
	v_lshl_add_u64 v[34:35], v[32:33], 0, v[24:25]
	global_load_ushort v53, v[34:35], off offset:34
	s_getpc_b64 s[22:23]
	s_add_u32 s22, s22, _ZL13iq1s_grid_gpu@rel32@lo+4
	s_addc_u32 s23, s23, _ZL13iq1s_grid_gpu@rel32@hi+12
	v_mov_b32_e32 v56, 0
	v_mov_b32_e32 v57, 0
	;; [unrolled: 1-line block ×3, first 2 shown]
	v_add_u32_e32 v19, 8, v19
	v_cmp_le_u32_e32 vcc, s5, v19
	v_lshl_add_u64 v[22:23], v[22:23], 0, s[16:17]
	s_or_b64 s[12:13], vcc, s[12:13]
	s_waitcnt vmcnt(6)
	v_cvt_f32_f16_e32 v48, v42
	s_waitcnt vmcnt(5)
	v_lshrrev_b16_e32 v37, 8, v36
	v_lshrrev_b32_e32 v40, 24, v36
	v_and_b32_e32 v38, 0xff, v36
	s_waitcnt vmcnt(3)
	v_lshlrev_b32_e32 v34, 5, v51
	v_bfe_u32 v36, v36, 16, 8
	v_lshlrev_b32_e32 v32, 8, v51
	v_and_or_b32 v34, v34, s31, v37
	v_lshlrev_b32_e32 v37, 2, v51
	v_and_or_b32 v32, v32, s31, v38
	v_and_or_b32 v36, v37, s31, v36
	v_lshlrev_b32_e32 v32, 2, v32
	v_lshlrev_b32_e32 v34, 2, v34
	;; [unrolled: 1-line block ×3, first 2 shown]
	global_load_dword v33, v32, s[22:23]
	global_load_dword v35, v34, s[22:23]
	v_cvt_f32_f16_sdwa v50, v42 dst_sel:DWORD dst_unused:UNUSED_PAD src0_sel:WORD_1
	global_load_dword v36, v36, s[22:23]
	s_waitcnt vmcnt(5)
	v_lshrrev_b16_e32 v42, 8, v39
	v_lshrrev_b32_e32 v46, 24, v39
	v_and_b32_e32 v47, 0xff, v39
	v_bfe_u32 v54, v39, 16, 8
	s_waitcnt vmcnt(2)
	v_and_b32_e32 v32, 0xf0f0f0f, v33
	v_dot4c_i32_i8_e32 v56, v32, v43
	v_lshrrev_b32_e32 v33, 4, v33
	s_waitcnt vmcnt(0)
	v_and_b32_e32 v38, 0xf0f0f0f, v36
	v_lshrrev_b32_e32 v36, 4, v36
	v_and_b32_e32 v39, 0xf0f0f0f, v36
	v_lshrrev_b32_e32 v36, 1, v51
	v_and_or_b32 v36, v36, s31, v40
	v_lshlrev_b32_e32 v36, 2, v36
	global_load_dword v36, v36, s[22:23]
	v_and_b32_e32 v33, 0xf0f0f0f, v33
	v_dot4c_i32_i8_e32 v56, v33, v44
	v_and_b32_e32 v34, 0xf0f0f0f, v35
	v_lshrrev_b32_e32 v35, 4, v35
	v_and_b32_e32 v35, 0xf0f0f0f, v35
	v_dot4c_i32_i8_e32 v56, v34, v45
	v_dot4c_i32_i8_e32 v56, v35, v28
	v_dot4c_i32_i8_e32 v56, v38, v29
	v_dot4c_i32_i8_e32 v56, v39, v30
	s_waitcnt vmcnt(0)
	v_and_b32_e32 v40, 0xf0f0f0f, v36
	v_lshrrev_b32_e32 v36, 4, v36
	v_and_b32_e32 v41, 0xf0f0f0f, v36
	v_lshlrev_b32_e32 v36, 8, v53
	v_and_or_b32 v36, v36, s31, v47
	v_lshlrev_b32_e32 v36, 2, v36
	global_load_dword v36, v36, s[22:23]
	v_dot4c_i32_i8_e32 v56, v40, v31
	v_dot4c_i32_i8_e32 v56, v41, v49
	s_waitcnt vmcnt(0)
	v_and_b32_e32 v37, 0xf0f0f0f, v36
	v_dot4c_i32_i8_e32 v57, v37, v43
	v_lshlrev_b32_e32 v43, 5, v53
	v_and_or_b32 v42, v43, s31, v42
	v_lshlrev_b32_e32 v42, 2, v42
	global_load_dword v42, v42, s[22:23]
	v_lshrrev_b32_e32 v36, 4, v36
	v_and_b32_e32 v36, 0xf0f0f0f, v36
	v_dot4c_i32_i8_e32 v57, v36, v44
	s_waitcnt vmcnt(0)
	v_and_b32_e32 v43, 0xf0f0f0f, v42
	v_lshrrev_b32_e32 v42, 4, v42
	v_and_b32_e32 v42, 0xf0f0f0f, v42
	v_dot4c_i32_i8_e32 v57, v43, v45
	v_dot4c_i32_i8_e32 v57, v42, v28
	v_lshlrev_b32_e32 v28, 2, v53
	v_and_or_b32 v28, v28, s31, v54
	v_lshlrev_b32_e32 v28, 2, v28
	global_load_dword v28, v28, s[22:23]
	s_waitcnt vmcnt(0)
	v_and_b32_e32 v45, 0xf0f0f0f, v28
	v_lshrrev_b32_e32 v28, 4, v28
	v_and_b32_e32 v44, 0xf0f0f0f, v28
	v_lshrrev_b32_e32 v28, 1, v53
	v_and_or_b32 v28, v28, s31, v46
	v_lshlrev_b32_e32 v28, 2, v28
	global_load_dword v28, v28, s[22:23]
	v_dot4c_i32_i8_e32 v57, v45, v29
	v_dot4c_i32_i8_e32 v57, v44, v30
	v_cvt_f32_f16_e32 v29, v55
	v_lshrrev_b32_e32 v30, 11, v53
	v_and_or_b32 v30, v30, 14, 1
	s_waitcnt vmcnt(0)
	v_and_b32_e32 v46, 0xf0f0f0f, v28
	v_lshrrev_b32_e32 v28, 4, v28
	v_and_b32_e32 v47, 0xf0f0f0f, v28
	v_cvt_f32_f16_e32 v28, v52
	v_dot4c_i32_i8_e32 v57, v46, v31
	v_lshrrev_b32_e32 v31, 11, v51
	v_dot4c_i32_i8_e32 v57, v47, v49
	v_and_or_b32 v49, v31, 14, 1
	v_cvt_f32_ubyte0_e32 v31, v30
	v_cvt_f32_ubyte0_e32 v30, v49
	v_pk_mul_f32 v[28:29], v[30:31], v[28:29]
	v_and_b32_e32 v30, 0x8000, v51
	v_and_b32_e32 v31, 0x8000, v53
	v_cvt_f32_u32_e32 v31, v31
	v_cvt_f32_u32_e32 v30, v30
	v_cvt_f32_i32_e32 v53, v57
	v_cvt_f32_i32_e32 v52, v56
	v_pk_fma_f32 v[30:31], v[30:31], s[2:3], v[26:27] op_sel_hi:[1,0,0]
	s_nop 0
	v_pk_mul_f32 v[50:51], v[30:31], v[50:51] op_sel_hi:[1,0]
	s_nop 0
	v_pk_fma_f32 v[48:49], v[48:49], v[52:53], v[50:51] op_sel_hi:[0,1,1]
	v_pk_fma_f32 v[12:13], v[28:29], v[48:49], v[12:13]
	v_add_u32_e32 v48, s9, v27
	v_mad_u64_u32 v[48:49], s[22:23], v48, 36, s[24:25]
	v_mad_u64_u32 v[56:57], s[22:23], v18, 36, v[48:49]
	global_load_dword v58, v[56:57], off offset:32
	global_load_dwordx4 v[48:51], v[56:57], off offset:16
	global_load_dwordx4 v[52:55], v[56:57], off
	v_mov_b32_e32 v57, 0
	s_waitcnt vmcnt(0)
	v_dot4c_i32_i8_e32 v57, v32, v53
	v_dot4c_i32_i8_e32 v59, v37, v53
	v_dot4c_i32_i8_e32 v57, v33, v54
	v_dot4c_i32_i8_e32 v59, v36, v54
	v_dot4c_i32_i8_e32 v57, v34, v55
	v_dot4c_i32_i8_e32 v59, v43, v55
	v_dot4c_i32_i8_e32 v57, v35, v48
	v_dot4c_i32_i8_e32 v59, v42, v48
	v_dot4c_i32_i8_e32 v57, v38, v49
	v_dot4c_i32_i8_e32 v59, v45, v49
	v_dot4c_i32_i8_e32 v57, v39, v50
	v_dot4c_i32_i8_e32 v59, v44, v50
	v_dot4c_i32_i8_e32 v57, v40, v51
	v_dot4c_i32_i8_e32 v59, v46, v51
	v_cvt_f32_f16_e32 v56, v52
	v_cvt_f32_f16_sdwa v52, v52 dst_sel:DWORD dst_unused:UNUSED_PAD src0_sel:WORD_1
	v_dot4c_i32_i8_e32 v57, v41, v58
	v_dot4c_i32_i8_e32 v59, v47, v58
	v_pk_mul_f32 v[50:51], v[30:31], v[52:53] op_sel_hi:[1,0]
	s_nop 0
	v_cvt_f32_i32_e32 v48, v57
	v_cvt_f32_i32_e32 v49, v59
	v_mov_b32_e32 v59, 0
	v_pk_fma_f32 v[48:49], v[56:57], v[48:49], v[50:51] op_sel_hi:[0,1,1]
	v_pk_fma_f32 v[14:15], v[28:29], v[48:49], v[14:15]
	v_add_u32_e32 v48, s29, v27
	v_mad_u64_u32 v[48:49], s[22:23], v48, 36, s[24:25]
	v_mad_u64_u32 v[56:57], s[22:23], v18, 36, v[48:49]
	global_load_dword v58, v[56:57], off offset:32
	global_load_dwordx4 v[48:51], v[56:57], off offset:16
	global_load_dwordx4 v[52:55], v[56:57], off
	v_mov_b32_e32 v57, 0
	s_waitcnt vmcnt(0)
	v_dot4c_i32_i8_e32 v57, v32, v53
	v_dot4c_i32_i8_e32 v59, v37, v53
	v_dot4c_i32_i8_e32 v57, v33, v54
	v_dot4c_i32_i8_e32 v59, v36, v54
	v_dot4c_i32_i8_e32 v57, v34, v55
	v_dot4c_i32_i8_e32 v59, v43, v55
	v_dot4c_i32_i8_e32 v57, v35, v48
	v_dot4c_i32_i8_e32 v59, v42, v48
	v_dot4c_i32_i8_e32 v57, v38, v49
	v_dot4c_i32_i8_e32 v59, v45, v49
	v_dot4c_i32_i8_e32 v57, v39, v50
	v_dot4c_i32_i8_e32 v59, v44, v50
	v_dot4c_i32_i8_e32 v57, v40, v51
	v_dot4c_i32_i8_e32 v59, v46, v51
	v_cvt_f32_f16_e32 v56, v52
	v_cvt_f32_f16_sdwa v52, v52 dst_sel:DWORD dst_unused:UNUSED_PAD src0_sel:WORD_1
	v_dot4c_i32_i8_e32 v57, v41, v58
	v_dot4c_i32_i8_e32 v59, v47, v58
	v_pk_mul_f32 v[50:51], v[30:31], v[52:53] op_sel_hi:[1,0]
	s_nop 0
	v_cvt_f32_i32_e32 v48, v57
	v_cvt_f32_i32_e32 v49, v59
	v_mov_b32_e32 v59, 0
	;; [unrolled: 33-line block ×5, first 2 shown]
	v_pk_fma_f32 v[48:49], v[56:57], v[48:49], v[50:51] op_sel_hi:[0,1,1]
	v_pk_fma_f32 v[6:7], v[28:29], v[48:49], v[6:7]
	v_add_u32_e32 v48, s26, v27
	v_mad_u64_u32 v[48:49], s[22:23], v48, 36, s[24:25]
	v_mad_u64_u32 v[56:57], s[22:23], v18, 36, v[48:49]
	global_load_dword v58, v[56:57], off offset:32
	global_load_dwordx4 v[48:51], v[56:57], off offset:16
	global_load_dwordx4 v[52:55], v[56:57], off
	v_mov_b32_e32 v57, 0
	s_waitcnt vmcnt(0)
	v_dot4c_i32_i8_e32 v57, v32, v53
	v_dot4c_i32_i8_e32 v59, v37, v53
	;; [unrolled: 1-line block ×14, first 2 shown]
	v_cvt_f32_f16_e32 v56, v52
	v_cvt_f32_f16_sdwa v52, v52 dst_sel:DWORD dst_unused:UNUSED_PAD src0_sel:WORD_1
	v_dot4c_i32_i8_e32 v57, v41, v58
	v_dot4c_i32_i8_e32 v59, v47, v58
	v_pk_mul_f32 v[50:51], v[30:31], v[52:53] op_sel_hi:[1,0]
	s_nop 0
	v_cvt_f32_i32_e32 v48, v57
	v_cvt_f32_i32_e32 v49, v59
	v_pk_fma_f32 v[48:49], v[56:57], v[48:49], v[50:51] op_sel_hi:[0,1,1]
	v_pk_fma_f32 v[0:1], v[28:29], v[48:49], v[0:1]
	v_add_u32_e32 v48, s15, v27
	v_mad_u64_u32 v[48:49], s[22:23], v48, 36, s[24:25]
	v_mad_u64_u32 v[56:57], s[22:23], v18, 36, v[48:49]
	global_load_dword v58, v[56:57], off offset:32
	global_load_dwordx4 v[48:51], v[56:57], off offset:16
	global_load_dwordx4 v[52:55], v[56:57], off
	v_mov_b32_e32 v57, 0
	v_add_u32_e32 v27, 64, v27
	s_waitcnt vmcnt(0)
	v_dot4c_i32_i8_e32 v57, v32, v53
	v_mov_b32_e32 v32, 0
	v_dot4c_i32_i8_e32 v32, v37, v53
	v_dot4c_i32_i8_e32 v57, v33, v54
	;; [unrolled: 1-line block ×13, first 2 shown]
	v_cvt_f32_f16_e32 v56, v52
	v_cvt_f32_f16_sdwa v52, v52 dst_sel:DWORD dst_unused:UNUSED_PAD src0_sel:WORD_1
	v_dot4c_i32_i8_e32 v57, v41, v58
	v_dot4c_i32_i8_e32 v32, v47, v58
	v_pk_mul_f32 v[30:31], v[30:31], v[52:53] op_sel_hi:[1,0]
	s_nop 1
	v_cvt_f32_i32_e32 v33, v32
	v_cvt_f32_i32_e32 v32, v57
	v_pk_fma_f32 v[30:31], v[56:57], v[32:33], v[30:31] op_sel_hi:[0,1,1]
	v_pk_fma_f32 v[2:3], v[28:29], v[30:31], v[2:3]
	s_andn2_b64 exec, exec, s[12:13]
	s_cbranch_execnz .LBB215_2
; %bb.3:
	s_or_b64 exec, exec, s[12:13]
	scratch_store_dwordx4 off, v[12:15], off
	scratch_store_dwordx4 off, v[8:11], off offset:16
	scratch_store_dwordx4 off, v[4:7], off offset:32
	;; [unrolled: 1-line block ×3, first 2 shown]
.LBB215_4:
	s_or_b64 exec, exec, s[6:7]
	s_mov_b32 s5, 0
	v_cmp_eq_u32_e32 vcc, 0, v17
	s_waitcnt lgkmcnt(0)
	; wave barrier
	s_and_saveexec_b64 s[6:7], vcc
	s_cbranch_execz .LBB215_21
; %bb.5:
	scratch_load_dwordx2 v[2:3], off, off
	v_mbcnt_lo_u32_b32 v0, -1, 0
	v_mbcnt_hi_u32_b32 v12, -1, v0
	s_load_dwordx2 s[6:7], s[0:1], 0x38
	s_mul_i32 s0, s3, s14
	v_or_b32_e32 v1, s19, v16
	v_and_b32_e32 v0, 64, v12
	s_mul_i32 s4, s4, s18
	s_add_i32 s2, s0, s19
	v_cmp_gt_u32_e64 s[0:1], s10, v1
	v_xor_b32_e32 v1, 32, v12
	v_add_u32_e32 v13, 64, v0
	s_add_i32 s4, s2, s4
	v_cmp_lt_i32_e64 s[2:3], v1, v13
	v_cmp_gt_u32_e32 vcc, 2, v16
	s_nop 0
	v_cndmask_b32_e64 v0, v12, v1, s[2:3]
	v_lshlrev_b32_e32 v0, 2, v0
	v_xor_b32_e32 v1, 16, v12
	v_cmp_lt_i32_e64 s[2:3], v1, v13
	s_waitcnt vmcnt(0)
	ds_bpermute_b32 v4, v0, v2
	ds_bpermute_b32 v5, v0, v3
	v_cndmask_b32_e64 v1, v12, v1, s[2:3]
	v_lshlrev_b32_e32 v1, 2, v1
	s_waitcnt lgkmcnt(0)
	v_pk_add_f32 v[4:5], v[2:3], v[4:5]
	ds_bpermute_b32 v6, v1, v4
	ds_bpermute_b32 v7, v1, v5
	v_xor_b32_e32 v2, 8, v12
	v_cmp_lt_i32_e64 s[2:3], v2, v13
	v_xor_b32_e32 v3, 4, v12
	s_waitcnt lgkmcnt(0)
	v_pk_add_f32 v[4:5], v[4:5], v[6:7]
	v_cndmask_b32_e64 v2, v12, v2, s[2:3]
	v_lshlrev_b32_e32 v2, 2, v2
	ds_bpermute_b32 v6, v2, v4
	ds_bpermute_b32 v7, v2, v5
	v_cmp_lt_i32_e64 s[2:3], v3, v13
	s_waitcnt lgkmcnt(0)
	v_pk_add_f32 v[6:7], v[4:5], v[6:7]
	v_cndmask_b32_e64 v3, v12, v3, s[2:3]
	v_lshlrev_b32_e32 v3, 2, v3
	ds_bpermute_b32 v8, v3, v6
	ds_bpermute_b32 v9, v3, v7
	v_xor_b32_e32 v4, 2, v12
	v_cmp_lt_i32_e64 s[2:3], v4, v13
	v_xor_b32_e32 v5, 1, v12
	s_waitcnt lgkmcnt(0)
	v_pk_add_f32 v[8:9], v[6:7], v[8:9]
	v_cndmask_b32_e64 v4, v12, v4, s[2:3]
	v_lshlrev_b32_e32 v4, 2, v4
	ds_bpermute_b32 v10, v4, v8
	ds_bpermute_b32 v11, v4, v9
	v_cmp_lt_i32_e64 s[2:3], v5, v13
	s_waitcnt lgkmcnt(0)
	v_pk_add_f32 v[8:9], v[8:9], v[10:11]
	v_cndmask_b32_e64 v5, v12, v5, s[2:3]
	v_lshlrev_b32_e32 v6, 2, v5
	ds_bpermute_b32 v10, v6, v8
	ds_bpermute_b32 v11, v6, v9
	s_lshl_b64 s[2:3], s[4:5], 2
	s_add_u32 s2, s6, s2
	s_addc_u32 s3, s7, s3
	s_and_b64 s[0:1], vcc, s[0:1]
	s_waitcnt lgkmcnt(0)
	v_pk_add_f32 v[8:9], v[8:9], v[10:11]
	v_lshlrev_b32_e32 v5, 2, v16
	scratch_store_dwordx2 off, v[8:9], off
	s_and_saveexec_b64 s[4:5], s[0:1]
	s_cbranch_execz .LBB215_7
; %bb.6:
	scratch_load_dword v7, v5, off
	s_waitcnt vmcnt(0)
	global_store_dword v5, v7, s[2:3]
.LBB215_7:
	s_or_b64 exec, exec, s[4:5]
	scratch_load_dwordx2 v[8:9], off, off offset:8
	s_waitcnt vmcnt(0)
	ds_bpermute_b32 v10, v0, v8
	ds_bpermute_b32 v11, v0, v9
	s_waitcnt lgkmcnt(0)
	v_pk_add_f32 v[8:9], v[8:9], v[10:11]
	ds_bpermute_b32 v10, v1, v8
	ds_bpermute_b32 v11, v1, v9
	s_waitcnt lgkmcnt(0)
	v_pk_add_f32 v[8:9], v[8:9], v[10:11]
	;; [unrolled: 4-line block ×6, first 2 shown]
	scratch_store_dwordx2 off, v[8:9], off offset:8
	s_and_saveexec_b64 s[4:5], s[0:1]
	s_cbranch_execz .LBB215_9
; %bb.8:
	scratch_load_dword v7, v5, off offset:8
	v_add_u32_e32 v8, s10, v16
	v_mov_b32_e32 v9, 0
	v_lshl_add_u64 v[8:9], v[8:9], 2, s[2:3]
	s_waitcnt vmcnt(0)
	global_store_dword v[8:9], v7, off
.LBB215_9:
	s_or_b64 exec, exec, s[4:5]
	scratch_load_dwordx2 v[8:9], off, off offset:16
	s_waitcnt vmcnt(0)
	ds_bpermute_b32 v10, v0, v8
	ds_bpermute_b32 v11, v0, v9
	s_waitcnt lgkmcnt(0)
	v_pk_add_f32 v[8:9], v[8:9], v[10:11]
	ds_bpermute_b32 v10, v1, v8
	ds_bpermute_b32 v11, v1, v9
	s_waitcnt lgkmcnt(0)
	v_pk_add_f32 v[8:9], v[8:9], v[10:11]
	;; [unrolled: 4-line block ×6, first 2 shown]
	scratch_store_dwordx2 off, v[8:9], off offset:16
	s_and_saveexec_b64 s[4:5], s[0:1]
	s_cbranch_execz .LBB215_11
; %bb.10:
	scratch_load_dword v7, v5, off offset:16
	v_lshl_or_b32 v8, s10, 1, v16
	v_mov_b32_e32 v9, 0
	v_lshl_add_u64 v[8:9], v[8:9], 2, s[2:3]
	s_waitcnt vmcnt(0)
	global_store_dword v[8:9], v7, off
.LBB215_11:
	s_or_b64 exec, exec, s[4:5]
	scratch_load_dwordx2 v[8:9], off, off offset:24
	s_waitcnt vmcnt(0)
	ds_bpermute_b32 v10, v0, v8
	ds_bpermute_b32 v11, v0, v9
	s_waitcnt lgkmcnt(0)
	v_pk_add_f32 v[8:9], v[8:9], v[10:11]
	ds_bpermute_b32 v10, v1, v8
	ds_bpermute_b32 v11, v1, v9
	s_waitcnt lgkmcnt(0)
	v_pk_add_f32 v[8:9], v[8:9], v[10:11]
	;; [unrolled: 4-line block ×6, first 2 shown]
	scratch_store_dwordx2 off, v[8:9], off offset:24
	s_and_saveexec_b64 s[4:5], s[0:1]
	s_cbranch_execz .LBB215_13
; %bb.12:
	scratch_load_dword v7, v5, off offset:24
	v_mad_u64_u32 v[8:9], s[6:7], s10, 3, v[16:17]
	v_mov_b32_e32 v9, 0
	v_lshl_add_u64 v[8:9], v[8:9], 2, s[2:3]
	s_waitcnt vmcnt(0)
	global_store_dword v[8:9], v7, off
.LBB215_13:
	s_or_b64 exec, exec, s[4:5]
	scratch_load_dwordx2 v[8:9], off, off offset:32
	s_waitcnt vmcnt(0)
	ds_bpermute_b32 v10, v0, v8
	ds_bpermute_b32 v11, v0, v9
	s_waitcnt lgkmcnt(0)
	v_pk_add_f32 v[8:9], v[8:9], v[10:11]
	ds_bpermute_b32 v10, v1, v8
	ds_bpermute_b32 v11, v1, v9
	s_waitcnt lgkmcnt(0)
	v_pk_add_f32 v[8:9], v[8:9], v[10:11]
	;; [unrolled: 4-line block ×6, first 2 shown]
	scratch_store_dwordx2 off, v[8:9], off offset:32
	s_and_saveexec_b64 s[4:5], s[0:1]
	s_cbranch_execz .LBB215_15
; %bb.14:
	scratch_load_dword v7, v5, off offset:32
	v_lshl_or_b32 v8, s10, 2, v16
	v_mov_b32_e32 v9, 0
	v_lshl_add_u64 v[8:9], v[8:9], 2, s[2:3]
	s_waitcnt vmcnt(0)
	global_store_dword v[8:9], v7, off
.LBB215_15:
	s_or_b64 exec, exec, s[4:5]
	scratch_load_dwordx2 v[8:9], off, off offset:40
	s_waitcnt vmcnt(0)
	ds_bpermute_b32 v10, v0, v8
	ds_bpermute_b32 v11, v0, v9
	s_waitcnt lgkmcnt(0)
	v_pk_add_f32 v[8:9], v[8:9], v[10:11]
	ds_bpermute_b32 v10, v1, v8
	ds_bpermute_b32 v11, v1, v9
	s_waitcnt lgkmcnt(0)
	v_pk_add_f32 v[8:9], v[8:9], v[10:11]
	;; [unrolled: 4-line block ×6, first 2 shown]
	scratch_store_dwordx2 off, v[8:9], off offset:40
	s_and_saveexec_b64 s[4:5], s[0:1]
	s_cbranch_execz .LBB215_17
; %bb.16:
	scratch_load_dword v7, v5, off offset:40
	v_mad_u64_u32 v[8:9], s[6:7], s10, 5, v[16:17]
	v_mov_b32_e32 v9, 0
	v_lshl_add_u64 v[8:9], v[8:9], 2, s[2:3]
	s_waitcnt vmcnt(0)
	global_store_dword v[8:9], v7, off
.LBB215_17:
	s_or_b64 exec, exec, s[4:5]
	scratch_load_dwordx2 v[8:9], off, off offset:48
	s_waitcnt vmcnt(0)
	ds_bpermute_b32 v10, v0, v8
	ds_bpermute_b32 v11, v0, v9
	s_waitcnt lgkmcnt(0)
	v_pk_add_f32 v[8:9], v[8:9], v[10:11]
	ds_bpermute_b32 v10, v1, v8
	ds_bpermute_b32 v11, v1, v9
	s_waitcnt lgkmcnt(0)
	v_pk_add_f32 v[8:9], v[8:9], v[10:11]
	;; [unrolled: 4-line block ×6, first 2 shown]
	scratch_store_dwordx2 off, v[8:9], off offset:48
	s_and_saveexec_b64 s[4:5], s[0:1]
	s_cbranch_execz .LBB215_19
; %bb.18:
	scratch_load_dword v7, v5, off offset:48
	s_mul_i32 s6, s10, 6
	v_or_b32_e32 v8, s6, v16
	v_mov_b32_e32 v9, 0
	v_lshl_add_u64 v[8:9], v[8:9], 2, s[2:3]
	s_waitcnt vmcnt(0)
	global_store_dword v[8:9], v7, off
.LBB215_19:
	s_or_b64 exec, exec, s[4:5]
	scratch_load_dwordx2 v[8:9], off, off offset:56
	s_waitcnt vmcnt(0)
	ds_bpermute_b32 v10, v0, v8
	ds_bpermute_b32 v11, v0, v9
	s_waitcnt lgkmcnt(0)
	v_pk_add_f32 v[8:9], v[8:9], v[10:11]
	ds_bpermute_b32 v0, v1, v8
	ds_bpermute_b32 v1, v1, v9
	s_waitcnt lgkmcnt(0)
	v_pk_add_f32 v[0:1], v[8:9], v[0:1]
	;; [unrolled: 4-line block ×6, first 2 shown]
	scratch_store_dwordx2 off, v[0:1], off offset:56
	s_and_b64 exec, exec, s[0:1]
	s_cbranch_execz .LBB215_21
; %bb.20:
	scratch_load_dword v2, v5, off offset:56
	v_mad_u64_u32 v[0:1], s[0:1], s10, 7, v[16:17]
	v_mov_b32_e32 v1, 0
	v_lshl_add_u64 v[0:1], v[0:1], 2, s[2:3]
	s_waitcnt vmcnt(0)
	global_store_dword v[0:1], v2, off
.LBB215_21:
	s_endpgm
	.section	.rodata,"a",@progbits
	.p2align	6, 0x0
	.amdhsa_kernel _ZL13mul_mat_vec_qIL9ggml_type19ELi8ELb0ELb0EEvPKvS2_PKi31ggml_cuda_mm_fusion_args_devicePfj15HIP_vector_typeIjLj3EEjjjS8_jjjS8_jjjj
		.amdhsa_group_segment_fixed_size 0
		.amdhsa_private_segment_fixed_size 80
		.amdhsa_kernarg_size 144
		.amdhsa_user_sgpr_count 2
		.amdhsa_user_sgpr_dispatch_ptr 0
		.amdhsa_user_sgpr_queue_ptr 0
		.amdhsa_user_sgpr_kernarg_segment_ptr 1
		.amdhsa_user_sgpr_dispatch_id 0
		.amdhsa_user_sgpr_kernarg_preload_length 0
		.amdhsa_user_sgpr_kernarg_preload_offset 0
		.amdhsa_user_sgpr_private_segment_size 0
		.amdhsa_uses_dynamic_stack 0
		.amdhsa_enable_private_segment 1
		.amdhsa_system_sgpr_workgroup_id_x 1
		.amdhsa_system_sgpr_workgroup_id_y 1
		.amdhsa_system_sgpr_workgroup_id_z 1
		.amdhsa_system_sgpr_workgroup_info 0
		.amdhsa_system_vgpr_workitem_id 1
		.amdhsa_next_free_vgpr 60
		.amdhsa_next_free_sgpr 32
		.amdhsa_accum_offset 60
		.amdhsa_reserve_vcc 1
		.amdhsa_float_round_mode_32 0
		.amdhsa_float_round_mode_16_64 0
		.amdhsa_float_denorm_mode_32 3
		.amdhsa_float_denorm_mode_16_64 3
		.amdhsa_dx10_clamp 1
		.amdhsa_ieee_mode 1
		.amdhsa_fp16_overflow 0
		.amdhsa_tg_split 0
		.amdhsa_exception_fp_ieee_invalid_op 0
		.amdhsa_exception_fp_denorm_src 0
		.amdhsa_exception_fp_ieee_div_zero 0
		.amdhsa_exception_fp_ieee_overflow 0
		.amdhsa_exception_fp_ieee_underflow 0
		.amdhsa_exception_fp_ieee_inexact 0
		.amdhsa_exception_int_div_zero 0
	.end_amdhsa_kernel
	.section	.text._ZL13mul_mat_vec_qIL9ggml_type19ELi8ELb0ELb0EEvPKvS2_PKi31ggml_cuda_mm_fusion_args_devicePfj15HIP_vector_typeIjLj3EEjjjS8_jjjS8_jjjj,"axG",@progbits,_ZL13mul_mat_vec_qIL9ggml_type19ELi8ELb0ELb0EEvPKvS2_PKi31ggml_cuda_mm_fusion_args_devicePfj15HIP_vector_typeIjLj3EEjjjS8_jjjS8_jjjj,comdat
.Lfunc_end215:
	.size	_ZL13mul_mat_vec_qIL9ggml_type19ELi8ELb0ELb0EEvPKvS2_PKi31ggml_cuda_mm_fusion_args_devicePfj15HIP_vector_typeIjLj3EEjjjS8_jjjS8_jjjj, .Lfunc_end215-_ZL13mul_mat_vec_qIL9ggml_type19ELi8ELb0ELb0EEvPKvS2_PKi31ggml_cuda_mm_fusion_args_devicePfj15HIP_vector_typeIjLj3EEjjjS8_jjjS8_jjjj
                                        ; -- End function
	.section	.AMDGPU.csdata,"",@progbits
; Kernel info:
; codeLenInByte = 4664
; NumSgprs: 38
; NumVgprs: 60
; NumAgprs: 0
; TotalNumVgprs: 60
; ScratchSize: 80
; MemoryBound: 0
; FloatMode: 240
; IeeeMode: 1
; LDSByteSize: 0 bytes/workgroup (compile time only)
; SGPRBlocks: 4
; VGPRBlocks: 7
; NumSGPRsForWavesPerEU: 38
; NumVGPRsForWavesPerEU: 60
; AccumOffset: 60
; Occupancy: 8
; WaveLimiterHint : 0
; COMPUTE_PGM_RSRC2:SCRATCH_EN: 1
; COMPUTE_PGM_RSRC2:USER_SGPR: 2
; COMPUTE_PGM_RSRC2:TRAP_HANDLER: 0
; COMPUTE_PGM_RSRC2:TGID_X_EN: 1
; COMPUTE_PGM_RSRC2:TGID_Y_EN: 1
; COMPUTE_PGM_RSRC2:TGID_Z_EN: 1
; COMPUTE_PGM_RSRC2:TIDIG_COMP_CNT: 1
; COMPUTE_PGM_RSRC3_GFX90A:ACCUM_OFFSET: 14
; COMPUTE_PGM_RSRC3_GFX90A:TG_SPLIT: 0
	.section	.text._ZL17mul_mat_vec_q_moeIL9ggml_type29ELi2EEvPKvS2_PKiPfj15HIP_vector_typeIjLj3EEjjjjjjjjj,"axG",@progbits,_ZL17mul_mat_vec_q_moeIL9ggml_type29ELi2EEvPKvS2_PKiPfj15HIP_vector_typeIjLj3EEjjjjjjjjj,comdat
	.globl	_ZL17mul_mat_vec_q_moeIL9ggml_type29ELi2EEvPKvS2_PKiPfj15HIP_vector_typeIjLj3EEjjjjjjjjj ; -- Begin function _ZL17mul_mat_vec_q_moeIL9ggml_type29ELi2EEvPKvS2_PKiPfj15HIP_vector_typeIjLj3EEjjjjjjjjj
	.p2align	8
	.type	_ZL17mul_mat_vec_q_moeIL9ggml_type29ELi2EEvPKvS2_PKiPfj15HIP_vector_typeIjLj3EEjjjjjjjjj,@function
_ZL17mul_mat_vec_q_moeIL9ggml_type29ELi2EEvPKvS2_PKiPfj15HIP_vector_typeIjLj3EEjjjjjjjjj: ; @_ZL17mul_mat_vec_q_moeIL9ggml_type29ELi2EEvPKvS2_PKiPfj15HIP_vector_typeIjLj3EEjjjjjjjjj
; %bb.0:
	s_load_dwordx8 s[4:11], s[0:1], 0x30
	v_bfe_u32 v20, v0, 10, 10
	s_waitcnt lgkmcnt(0)
	v_cmp_gt_u32_e32 vcc, s11, v20
	s_and_saveexec_b64 s[12:13], vcc
	s_cbranch_execz .LBB216_7
; %bb.1:
	s_load_dword s21, s[0:1], 0x20
	s_load_dword s20, s[0:1], 0x50
	s_load_dwordx8 s[12:19], s[0:1], 0x0
	v_and_b32_e32 v21, 0x3ff, v0
	v_lshrrev_b32_e32 v22, 3, v21
	s_waitcnt lgkmcnt(0)
	s_lshr_b32 s26, s21, 8
	v_mov_b32_e32 v11, 0
	s_lshl_b32 s11, s2, 1
	v_cmp_gt_u32_e32 vcc, s26, v22
	v_mov_b32_e32 v10, v11
	s_and_saveexec_b64 s[24:25], vcc
	s_cbranch_execz .LBB216_5
; %bb.2:
	v_mul_lo_u32 v2, v20, s20
	v_mov_b32_e32 v0, s16
	v_mov_b32_e32 v1, s17
	v_add_u32_e32 v8, s3, v2
	v_mov_b32_e32 v9, 0
	v_lshl_add_u64 v[0:1], v[8:9], 2, v[0:1]
	global_load_dword v6, v[0:1], off
	s_load_dwordx4 s[20:23], s[0:1], 0x24
	v_mul_lo_u32 v1, v20, s6
	v_bfe_u32 v2, v21, 1, 2
	v_and_b32_e32 v3, 1, v21
	s_add_i32 s29, s11, 1
	s_waitcnt lgkmcnt(0)
	s_mul_hi_u32 s20, s20, s3
	s_add_i32 s20, s3, s20
	s_lshr_b32 s20, s20, s21
	s_mul_i32 s20, s20, s22
	v_lshrrev_b32_e32 v7, 3, v21
	s_movk_i32 s34, 0x120
	s_mov_b32 s28, 0xbf600000
	v_mad_u64_u32 v[4:5], s[30:31], v1, 36, 0
	s_sub_i32 s20, s3, s20
	s_mul_i32 s33, s11, s5
	v_cmp_eq_u32_e32 vcc, 1, v3
	s_mul_i32 s5, s5, s29
	v_lshlrev_b32_e32 v14, 1, v2
	v_mov_b64_e32 v[16:17], s[28:29]
	v_mad_u64_u32 v[2:3], s[28:29], v7, s34, v[4:5]
	s_mul_i32 s20, s20, s9
	v_and_b32_e32 v0, 7, v21
	v_mad_u64_u32 v[2:3], s[20:21], s20, 36, v[2:3]
	v_lshlrev_b32_e32 v12, 2, v0
	v_lshlrev_b32_e32 v8, 1, v0
	v_mad_u64_u32 v[0:1], s[20:21], v0, 36, v[2:3]
	v_lshl_add_u64 v[0:1], v[0:1], 0, s[14:15]
	v_lshl_add_u64 v[18:19], v[0:1], 0, 16
	s_mov_b64 s[0:1], 0
	s_movk_i32 s6, 0x700
	v_mov_b32_e32 v23, 0xbf600000
	s_mov_b32 s23, 0x40008
	s_movk_i32 s27, 0xf000
	s_mov_b32 s2, 0x3d000000
	s_mov_b64 s[16:17], 0x900
	v_mov_b32_e32 v24, 8
	v_mov_b32_e32 v25, 4
	v_cndmask_b32_e64 v26, 0, 6, vcc
	v_mov_b32_e32 v13, v9
	v_mov_b32_e32 v15, v9
	;; [unrolled: 1-line block ×4, first 2 shown]
	s_waitcnt vmcnt(0)
	v_mul_lo_u32 v0, v6, s8
	v_add_u32_e32 v27, s33, v0
	v_add_u32_e32 v28, s5, v0
.LBB216_3:                              ; =>This Inner Loop Header: Depth=1
	global_load_dword v29, v[18:19], off offset:16
	global_load_dwordx4 v[4:7], v[18:19], off offset:-16
	global_load_dwordx4 v[0:3], v[18:19], off
	v_add_u32_e32 v30, v27, v22
	v_add_u32_e32 v32, v28, v22
	v_mad_i64_i32 v[30:31], s[14:15], v30, 56, s[12:13]
	v_mad_i64_i32 v[32:33], s[14:15], v32, 56, s[12:13]
	v_lshl_add_u64 v[34:35], v[30:31], 0, v[12:13]
	v_lshl_add_u64 v[36:37], v[30:31], 0, v[8:9]
	;; [unrolled: 1-line block ×6, first 2 shown]
	global_load_dword v58, v[34:35], off
	global_load_ushort v59, v[36:37], off offset:32
	global_load_ushort v60, v[38:39], off offset:48
	global_load_dwordx2 v[46:47], v[30:31], off offset:48
	global_load_dword v61, v[40:41], off
	global_load_ushort v62, v[42:43], off offset:32
	global_load_dwordx2 v[48:49], v[32:33], off offset:48
	global_load_ushort v63, v[44:45], off offset:48
	v_mov_b32_e32 v51, 0
	v_mov_b32_e32 v53, 0
	;; [unrolled: 1-line block ×4, first 2 shown]
	s_getpc_b64 s[8:9]
	s_add_u32 s8, s8, _ZL13iq1s_grid_gpu@rel32@lo+4
	s_addc_u32 s9, s9, _ZL13iq1s_grid_gpu@rel32@hi+12
	v_mov_b32_e32 v54, 0
	v_mov_b32_e32 v55, 0
	;; [unrolled: 1-line block ×4, first 2 shown]
	v_add_u32_e32 v22, 8, v22
	v_cmp_le_u32_e32 vcc, s26, v22
	v_lshl_add_u64 v[18:19], v[18:19], 0, s[16:17]
	s_or_b64 s[0:1], vcc, s[0:1]
	s_waitcnt vmcnt(9)
	v_dot4c_i32_i8_e32 v51, 0x1010101, v7
	s_waitcnt vmcnt(8)
	v_dot4c_i32_i8_e32 v53, 0x1010101, v3
	v_dot4c_i32_i8_e32 v50, 0x1010101, v5
	v_dot4c_i32_i8_e32 v52, 0x1010101, v1
	v_dot4c_i32_i8_e32 v51, 0x1010101, v0
	v_dot4c_i32_i8_e32 v53, 0x1010101, v29
	v_dot4c_i32_i8_e32 v50, 0x1010101, v6
	s_waitcnt vmcnt(7)
	v_and_b32_e32 v35, 0xff, v58
	s_waitcnt vmcnt(6)
	v_lshlrev_b32_e32 v36, 8, v59
	v_dot4c_i32_i8_e32 v52, 0x1010101, v2
	v_cvt_f32_i32_e32 v33, v53
	v_cvt_f32_i32_e32 v32, v51
	v_lshrrev_b32_e32 v34, 24, v58
	v_bfe_u32 v37, v58, 8, 8
	v_lshlrev_b32_e32 v39, 4, v59
	v_bfe_u32 v40, v58, 16, 8
	v_lshlrev_b32_sdwa v41, v24, v59 dst_sel:DWORD dst_unused:UNUSED_PAD src0_sel:DWORD src1_sel:BYTE_1
	v_lshlrev_b32_sdwa v42, v25, v59 dst_sel:DWORD dst_unused:UNUSED_PAD src0_sel:DWORD src1_sel:BYTE_1
	s_waitcnt vmcnt(4)
	v_alignbit_b32 v43, v47, v46, 16
	v_lshrrev_b16_e32 v44, 12, v46
	v_and_b32_sdwa v45, v47, s27 dst_sel:DWORD dst_unused:UNUSED_PAD src0_sel:WORD_1 src1_sel:DWORD
	s_waitcnt vmcnt(3)
	v_and_b32_e32 v46, 0xff, v61
	v_bfe_u32 v47, v61, 16, 8
	s_waitcnt vmcnt(2)
	v_lshlrev_b32_e32 v51, 8, v62
	v_and_or_b32 v53, v36, s6, v35
	v_lshrrev_b16_e32 v58, 4, v62
	v_lshlrev_b32_sdwa v35, v24, v62 dst_sel:DWORD dst_unused:UNUSED_PAD src0_sel:DWORD src1_sel:BYTE_1
	v_and_b32_sdwa v36, v62, v24 dst_sel:DWORD dst_unused:UNUSED_PAD src0_sel:BYTE_1 src1_sel:DWORD
	v_cvt_f32_i32_e32 v31, v52
	v_cvt_f32_i32_e32 v30, v50
	v_lshrrev_b16_e32 v52, 12, v62
	v_and_or_b32 v39, v39, s6, v37
	v_and_or_b32 v40, v41, s6, v40
	v_and_b32_e32 v37, 8, v62
	v_and_or_b32 v41, v42, s6, v34
	v_and_or_b32 v42, v51, s6, v46
	;; [unrolled: 1-line block ×3, first 2 shown]
	v_cvt_f32_ubyte0_e32 v35, v36
	v_and_b32_e32 v36, 8, v58
	v_and_b32_e32 v58, 15, v58
	v_lshlrev_b32_e32 v53, 2, v53
	v_and_b32_e32 v38, 8, v59
	v_cvt_f32_ubyte0_e32 v34, v37
	v_and_b32_e32 v37, 8, v52
	v_and_b32_sdwa v47, v59, v24 dst_sel:DWORD dst_unused:UNUSED_PAD src0_sel:BYTE_1 src1_sel:DWORD
	v_alignbit_b32 v51, v52, v61, 24
	v_bfe_u32 v52, v61, 8, 8
	s_waitcnt vmcnt(0)
	v_lshrrev_b32_e32 v61, v26, v63
	v_lshlrev_b32_e32 v58, 8, v58
	v_lshlrev_b32_e32 v39, 2, v39
	;; [unrolled: 1-line block ×5, first 2 shown]
	global_load_dword v62, v53, s[8:9]
	global_load_dword v63, v39, s[8:9]
	;; [unrolled: 1-line block ×5, first 2 shown]
	v_cvt_f32_ubyte0_e32 v38, v38
	v_cvt_f32_ubyte0_e32 v47, v47
	v_and_or_b32 v52, v58, s6, v52
	v_fmamk_f32 v38, v38, 0xbd000000, v23
	v_fmamk_f32 v47, v47, 0xbd000000, v23
	v_pk_fma_f32 v[34:35], v[34:35], s[2:3], v[16:17] op_sel_hi:[1,0,0] neg_lo:[1,0,0] neg_hi:[1,0,0]
	v_and_b32_e32 v51, 0x7ff, v51
	v_lshlrev_b32_e32 v40, 2, v52
	v_lshlrev_b32_e32 v46, 2, v46
	v_fma_f32 v38, v38, v30, 0
	v_fma_f32 v39, v47, v31, 0
	v_pk_fma_f32 v[30:31], v[34:35], v[30:31], 0 op_sel_hi:[1,1,0]
	v_lshlrev_b32_e32 v34, 2, v51
	global_load_dword v41, v40, s[8:9]
	global_load_dword v42, v46, s[8:9]
	;; [unrolled: 1-line block ×3, first 2 shown]
	v_pk_lshrrev_b16 v40, s23, v43
	v_alignbit_b32 v50, v49, v48, 16
	v_and_b32_e32 v40, 0xf0000f0, v40
	v_or_b32_e32 v43, v40, v44
	v_or_b32_sdwa v40, v43, v40 dst_sel:DWORD dst_unused:UNUSED_PAD src0_sel:DWORD src1_sel:WORD_1
	v_lshrrev_b32_e32 v43, 4, v59
	v_lshrrev_b32_sdwa v44, v25, v59 dst_sel:DWORD dst_unused:UNUSED_PAD src0_sel:DWORD src1_sel:BYTE_1
	v_pk_lshrrev_b16 v50, s23, v50
	v_lshrrev_b16_e32 v48, 12, v48
	v_and_b32_e32 v43, 8, v43
	v_and_b32_e32 v44, 8, v44
	;; [unrolled: 1-line block ×3, first 2 shown]
	v_cvt_f32_ubyte0_e32 v37, v37
	v_cvt_f32_ubyte0_e32 v36, v36
	v_or_b32_e32 v48, v50, v48
	v_cvt_f32_ubyte0_e32 v43, v43
	v_cvt_f32_ubyte0_e32 v44, v44
	v_and_b32_sdwa v49, v49, s27 dst_sel:DWORD dst_unused:UNUSED_PAD src0_sel:WORD_1 src1_sel:DWORD
	v_or_b32_sdwa v48, v48, v50 dst_sel:DWORD dst_unused:UNUSED_PAD src0_sel:DWORD src1_sel:WORD_1
	v_fmamk_f32 v43, v43, 0xbd000000, v23
	v_fmamk_f32 v44, v44, 0xbd000000, v23
	v_pk_fma_f32 v[36:37], v[36:37], s[2:3], v[16:17] op_sel_hi:[1,0,0] neg_lo:[1,0,0] neg_hi:[1,0,0]
	v_fmac_f32_e32 v38, v43, v32
	v_fmac_f32_e32 v39, v44, v33
	v_pk_fma_f32 v[30:31], v[36:37], v[32:33], v[30:31]
	v_or_b32_e32 v32, v40, v45
	v_or_b32_e32 v33, v48, v49
	v_cvt_f32_f16_e32 v4, v4
	v_cvt_f32_f16_e32 v32, v32
	;; [unrolled: 1-line block ×3, first 2 shown]
	v_lshlrev_b32_e32 v58, 1, v61
	v_lshrrev_b32_e32 v61, 2, v61
	v_lshrrev_b32_e32 v46, v26, v60
	v_pk_mul_f32 v[32:33], v[4:5], v[32:33] op_sel_hi:[0,1]
	v_and_or_b32 v58, v58, 14, 1
	v_and_or_b32 v61, v61, 14, 1
	v_lshlrev_b32_e32 v50, 1, v46
	v_lshrrev_b32_e32 v46, 2, v46
	v_cvt_f32_ubyte0_e32 v35, v61
	v_cvt_f32_ubyte0_e32 v34, v58
	v_and_or_b32 v50, v50, 14, 1
	v_and_or_b32 v46, v46, 14, 1
	v_cvt_f32_ubyte0_e32 v50, v50
	v_cvt_f32_ubyte0_e32 v46, v46
	s_waitcnt vmcnt(7)
	v_and_b32_e32 v4, 0xf0f0f0f, v62
	v_lshrrev_b32_e32 v36, 4, v62
	s_waitcnt vmcnt(6)
	v_lshrrev_b32_e32 v40, 4, v63
	s_waitcnt vmcnt(5)
	v_and_b32_e32 v43, 0xf0f0f0f, v64
	v_lshrrev_b32_e32 v44, 4, v64
	s_waitcnt vmcnt(3)
	v_and_b32_e32 v49, 0xf0f0f0f, v66
	v_lshrrev_b32_e32 v51, 4, v66
	v_and_b32_e32 v36, 0xf0f0f0f, v36
	v_dot4c_i32_i8_e32 v54, v4, v5
	v_and_b32_e32 v4, 0xf0f0f0f, v40
	v_and_b32_e32 v40, 0xf0f0f0f, v44
	v_dot4c_i32_i8_e32 v55, v43, v1
	v_and_b32_e32 v44, 0xf0f0f0f, v51
	v_dot4c_i32_i8_e32 v56, v49, v5
	v_dot4c_i32_i8_e32 v54, v36, v6
	;; [unrolled: 1-line block ×4, first 2 shown]
	s_waitcnt vmcnt(2)
	v_and_b32_e32 v5, 0xf0f0f0f, v41
	s_waitcnt vmcnt(1)
	v_and_b32_e32 v36, 0xf0f0f0f, v42
	v_lshrrev_b32_e32 v40, 4, v42
	v_dot4c_i32_i8_e32 v56, v5, v7
	v_and_b32_e32 v5, 0xf0f0f0f, v40
	v_dot4c_i32_i8_e32 v57, v36, v1
	v_lshrrev_b32_e32 v6, 4, v41
	s_waitcnt vmcnt(0)
	v_and_b32_e32 v41, 0xf0f0f0f, v47
	v_lshrrev_b32_e32 v42, 4, v47
	v_dot4c_i32_i8_e32 v57, v5, v2
	v_and_b32_e32 v37, 0xf0f0f0f, v63
	v_and_b32_e32 v45, 0xf0f0f0f, v65
	v_lshrrev_b32_e32 v48, 4, v65
	v_and_b32_e32 v6, 0xf0f0f0f, v6
	v_and_b32_e32 v1, 0xf0f0f0f, v42
	v_dot4c_i32_i8_e32 v57, v41, v3
	v_and_b32_e32 v43, 0xf0f0f0f, v48
	v_dot4c_i32_i8_e32 v54, v37, v7
	v_dot4c_i32_i8_e32 v55, v45, v3
	v_dot4c_i32_i8_e32 v56, v6, v0
	v_dot4c_i32_i8_e32 v57, v1, v29
	v_dot4c_i32_i8_e32 v54, v4, v0
	v_dot4c_i32_i8_e32 v55, v43, v29
	v_cvt_f32_i32_e32 v0, v56
	v_cvt_f32_i32_e32 v1, v57
	;; [unrolled: 1-line block ×4, first 2 shown]
	v_pk_add_f32 v[0:1], v[30:31], v[0:1]
	v_add_f32_e32 v2, v38, v2
	v_add_f32_e32 v3, v39, v4
	v_pk_mul_f32 v[0:1], v[0:1], v[34:35]
	v_mul_f32_e32 v2, v2, v50
	v_mul_f32_e32 v4, v3, v46
	v_mov_b32_e32 v3, v0
	v_mov_b32_e32 v5, v1
	v_pk_add_f32 v[0:1], v[2:3], v[4:5]
	s_nop 0
	v_pk_fma_f32 v[10:11], v[32:33], v[0:1], v[10:11]
	s_andn2_b64 exec, exec, s[0:1]
	s_cbranch_execnz .LBB216_3
; %bb.4:
	s_or_b64 exec, exec, s[0:1]
.LBB216_5:
	s_or_b64 exec, exec, s[24:25]
	v_mbcnt_lo_u32_b32 v0, -1, 0
	v_mbcnt_hi_u32_b32 v4, -1, v0
	v_and_b32_e32 v0, 64, v4
	v_add_u32_e32 v5, 64, v0
	v_xor_b32_e32 v0, 32, v4
	v_cmp_lt_i32_e32 vcc, v0, v5
	v_xor_b32_e32 v2, 16, v4
	v_xor_b32_e32 v6, 8, v4
	v_cndmask_b32_e32 v0, v4, v0, vcc
	v_lshlrev_b32_e32 v1, 2, v0
	ds_bpermute_b32 v0, v1, v10
	ds_bpermute_b32 v1, v1, v11
	v_cmp_lt_i32_e32 vcc, v2, v5
	s_waitcnt lgkmcnt(0)
	v_pk_add_f32 v[0:1], v[10:11], v[0:1]
	v_cndmask_b32_e32 v2, v4, v2, vcc
	v_lshlrev_b32_e32 v3, 2, v2
	ds_bpermute_b32 v2, v3, v0
	ds_bpermute_b32 v3, v3, v1
	v_cmp_lt_i32_e32 vcc, v6, v5
	s_waitcnt lgkmcnt(0)
	v_pk_add_f32 v[0:1], v[0:1], v[2:3]
	v_cndmask_b32_e32 v6, v4, v6, vcc
	v_lshlrev_b32_e32 v6, 2, v6
	ds_bpermute_b32 v2, v6, v0
	ds_bpermute_b32 v3, v6, v1
	v_xor_b32_e32 v6, 4, v4
	v_cmp_lt_i32_e32 vcc, v6, v5
	s_waitcnt lgkmcnt(0)
	v_pk_add_f32 v[0:1], v[0:1], v[2:3]
	v_cndmask_b32_e32 v6, v4, v6, vcc
	v_lshlrev_b32_e32 v6, 2, v6
	ds_bpermute_b32 v2, v6, v0
	ds_bpermute_b32 v3, v6, v1
	v_xor_b32_e32 v6, 2, v4
	;; [unrolled: 8-line block ×3, first 2 shown]
	v_cmp_lt_i32_e32 vcc, v6, v5
	s_waitcnt lgkmcnt(0)
	v_pk_add_f32 v[0:1], v[0:1], v[2:3]
	v_cndmask_b32_e32 v4, v4, v6, vcc
	v_lshlrev_b32_e32 v4, 2, v4
	ds_bpermute_b32 v2, v4, v0
	ds_bpermute_b32 v3, v4, v1
	v_add_u32_e32 v4, s11, v21
	v_cmp_gt_u32_e32 vcc, 2, v21
	v_cmp_gt_u32_e64 s[0:1], s4, v4
	s_and_b64 s[0:1], vcc, s[0:1]
	s_and_b64 exec, exec, s[0:1]
	s_cbranch_execz .LBB216_7
; %bb.6:
	v_cmp_eq_u32_e32 vcc, 1, v21
	s_mul_i32 s3, s3, s10
	v_mov_b32_e32 v4, s18
	s_waitcnt lgkmcnt(0)
	v_cndmask_b32_e32 v2, v2, v3, vcc
	v_cndmask_b32_e32 v0, v0, v1, vcc
	v_add_f32_e32 v2, v0, v2
	v_mul_lo_u32 v0, v20, s7
	v_or_b32_e32 v1, s11, v21
	v_mov_b32_e32 v5, s19
	v_add3_u32 v0, v1, v0, s3
	v_mov_b32_e32 v1, 0
	v_lshl_add_u64 v[0:1], v[0:1], 2, v[4:5]
	global_store_dword v[0:1], v2, off
.LBB216_7:
	s_endpgm
	.section	.rodata,"a",@progbits
	.p2align	6, 0x0
	.amdhsa_kernel _ZL17mul_mat_vec_q_moeIL9ggml_type29ELi2EEvPKvS2_PKiPfj15HIP_vector_typeIjLj3EEjjjjjjjjj
		.amdhsa_group_segment_fixed_size 0
		.amdhsa_private_segment_fixed_size 0
		.amdhsa_kernarg_size 84
		.amdhsa_user_sgpr_count 2
		.amdhsa_user_sgpr_dispatch_ptr 0
		.amdhsa_user_sgpr_queue_ptr 0
		.amdhsa_user_sgpr_kernarg_segment_ptr 1
		.amdhsa_user_sgpr_dispatch_id 0
		.amdhsa_user_sgpr_kernarg_preload_length 0
		.amdhsa_user_sgpr_kernarg_preload_offset 0
		.amdhsa_user_sgpr_private_segment_size 0
		.amdhsa_uses_dynamic_stack 0
		.amdhsa_enable_private_segment 0
		.amdhsa_system_sgpr_workgroup_id_x 1
		.amdhsa_system_sgpr_workgroup_id_y 1
		.amdhsa_system_sgpr_workgroup_id_z 0
		.amdhsa_system_sgpr_workgroup_info 0
		.amdhsa_system_vgpr_workitem_id 1
		.amdhsa_next_free_vgpr 67
		.amdhsa_next_free_sgpr 35
		.amdhsa_accum_offset 68
		.amdhsa_reserve_vcc 1
		.amdhsa_float_round_mode_32 0
		.amdhsa_float_round_mode_16_64 0
		.amdhsa_float_denorm_mode_32 3
		.amdhsa_float_denorm_mode_16_64 3
		.amdhsa_dx10_clamp 1
		.amdhsa_ieee_mode 1
		.amdhsa_fp16_overflow 0
		.amdhsa_tg_split 0
		.amdhsa_exception_fp_ieee_invalid_op 0
		.amdhsa_exception_fp_denorm_src 0
		.amdhsa_exception_fp_ieee_div_zero 0
		.amdhsa_exception_fp_ieee_overflow 0
		.amdhsa_exception_fp_ieee_underflow 0
		.amdhsa_exception_fp_ieee_inexact 0
		.amdhsa_exception_int_div_zero 0
	.end_amdhsa_kernel
	.section	.text._ZL17mul_mat_vec_q_moeIL9ggml_type29ELi2EEvPKvS2_PKiPfj15HIP_vector_typeIjLj3EEjjjjjjjjj,"axG",@progbits,_ZL17mul_mat_vec_q_moeIL9ggml_type29ELi2EEvPKvS2_PKiPfj15HIP_vector_typeIjLj3EEjjjjjjjjj,comdat
.Lfunc_end216:
	.size	_ZL17mul_mat_vec_q_moeIL9ggml_type29ELi2EEvPKvS2_PKiPfj15HIP_vector_typeIjLj3EEjjjjjjjjj, .Lfunc_end216-_ZL17mul_mat_vec_q_moeIL9ggml_type29ELi2EEvPKvS2_PKiPfj15HIP_vector_typeIjLj3EEjjjjjjjjj
                                        ; -- End function
	.section	.AMDGPU.csdata,"",@progbits
; Kernel info:
; codeLenInByte = 2100
; NumSgprs: 41
; NumVgprs: 67
; NumAgprs: 0
; TotalNumVgprs: 67
; ScratchSize: 0
; MemoryBound: 0
; FloatMode: 240
; IeeeMode: 1
; LDSByteSize: 0 bytes/workgroup (compile time only)
; SGPRBlocks: 5
; VGPRBlocks: 8
; NumSGPRsForWavesPerEU: 41
; NumVGPRsForWavesPerEU: 67
; AccumOffset: 68
; Occupancy: 7
; WaveLimiterHint : 1
; COMPUTE_PGM_RSRC2:SCRATCH_EN: 0
; COMPUTE_PGM_RSRC2:USER_SGPR: 2
; COMPUTE_PGM_RSRC2:TRAP_HANDLER: 0
; COMPUTE_PGM_RSRC2:TGID_X_EN: 1
; COMPUTE_PGM_RSRC2:TGID_Y_EN: 1
; COMPUTE_PGM_RSRC2:TGID_Z_EN: 0
; COMPUTE_PGM_RSRC2:TIDIG_COMP_CNT: 1
; COMPUTE_PGM_RSRC3_GFX90A:ACCUM_OFFSET: 16
; COMPUTE_PGM_RSRC3_GFX90A:TG_SPLIT: 0
	.section	.text._ZL13mul_mat_vec_qIL9ggml_type29ELi1ELb1ELb1EEvPKvS2_PKi31ggml_cuda_mm_fusion_args_devicePfj15HIP_vector_typeIjLj3EEjjjS8_jjjS8_jjjj,"axG",@progbits,_ZL13mul_mat_vec_qIL9ggml_type29ELi1ELb1ELb1EEvPKvS2_PKi31ggml_cuda_mm_fusion_args_devicePfj15HIP_vector_typeIjLj3EEjjjS8_jjjS8_jjjj,comdat
	.globl	_ZL13mul_mat_vec_qIL9ggml_type29ELi1ELb1ELb1EEvPKvS2_PKi31ggml_cuda_mm_fusion_args_devicePfj15HIP_vector_typeIjLj3EEjjjS8_jjjS8_jjjj ; -- Begin function _ZL13mul_mat_vec_qIL9ggml_type29ELi1ELb1ELb1EEvPKvS2_PKi31ggml_cuda_mm_fusion_args_devicePfj15HIP_vector_typeIjLj3EEjjjS8_jjjS8_jjjj
	.p2align	8
	.type	_ZL13mul_mat_vec_qIL9ggml_type29ELi1ELb1ELb1EEvPKvS2_PKi31ggml_cuda_mm_fusion_args_devicePfj15HIP_vector_typeIjLj3EEjjjS8_jjjS8_jjjj,@function
_ZL13mul_mat_vec_qIL9ggml_type29ELi1ELb1ELb1EEvPKvS2_PKi31ggml_cuda_mm_fusion_args_devicePfj15HIP_vector_typeIjLj3EEjjjS8_jjjS8_jjjj: ; @_ZL13mul_mat_vec_qIL9ggml_type29ELi1ELb1ELb1EEvPKvS2_PKi31ggml_cuda_mm_fusion_args_devicePfj15HIP_vector_typeIjLj3EEjjjS8_jjjS8_jjjj
; %bb.0:
	s_load_dwordx8 s[16:23], s[2:3], 0x0
	s_load_dwordx4 s[36:39], s[2:3], 0x20
	s_load_dwordx4 s[40:43], s[2:3], 0x40
	;; [unrolled: 1-line block ×3, first 2 shown]
	s_mov_b32 s14, s5
	s_waitcnt lgkmcnt(0)
	s_cmp_lg_u64 s[20:21], 0
	s_cselect_b64 s[8:9], -1, 0
	s_cmp_eq_u64 s[20:21], 0
	s_mov_b64 s[10:11], 0
	s_cbranch_scc1 .LBB217_5
; %bb.1:
	s_mov_b32 s15, 0
	s_lshl_b64 s[12:13], s[14:15], 2
	s_add_u32 s12, s20, s12
	s_addc_u32 s13, s21, s13
	s_load_dword s44, s[12:13], 0x0
	s_load_dword s33, s[2:3], 0x50
	;; [unrolled: 1-line block ×3, first 2 shown]
	s_andn2_b64 vcc, exec, s[10:11]
	s_cbranch_vccnz .LBB217_3
.LBB217_2:
	s_load_dwordx2 s[10:11], s[2:3], 0x5c
	s_waitcnt lgkmcnt(0)
	s_mul_hi_u32 s5, s10, s14
	s_add_i32 s5, s14, s5
	s_lshr_b32 s44, s5, s11
.LBB217_3:
	s_andn2_b64 vcc, exec, s[8:9]
	s_cbranch_vccnz .LBB217_6
; %bb.4:
	s_mul_hi_u32 s5, s41, s14
	s_add_i32 s5, s14, s5
	s_lshr_b32 s5, s5, s42
	s_mul_i32 s5, s5, s43
	s_sub_i32 s41, s14, s5
	s_waitcnt lgkmcnt(0)
	s_mov_b32 s15, s44
	s_branch .LBB217_7
.LBB217_5:
                                        ; implicit-def: $sgpr44
	s_load_dword s33, s[2:3], 0x50
	s_load_dword s45, s[2:3], 0x78
	s_branch .LBB217_2
.LBB217_6:
	s_mov_b32 s15, s14
	s_mov_b32 s41, s14
.LBB217_7:
	s_load_dword s7, s[2:3], 0x58
	s_load_dwordx4 s[28:31], s[2:3], 0x80
	s_lshl_b32 s20, s4, 1
	s_cmp_eq_u64 s[22:23], 0
	v_and_b32_e32 v26, 0x3ff, v0
	v_bfe_u32 v31, v0, 10, 10
	s_cselect_b64 s[8:9], -1, 0
	s_and_b64 vcc, exec, s[8:9]
	v_mov_b32_e32 v27, 0
	v_cmp_gt_u32_e64 s[4:5], 2, v26
	v_cmp_eq_u32_e64 s[10:11], 0, v31
	v_or_b32_e32 v1, s20, v26
	v_mov_b32_e32 v28, 0
	s_cbranch_vccnz .LBB217_11
; %bb.8:
	s_waitcnt lgkmcnt(0)
	v_cmp_gt_u32_e32 vcc, s7, v1
	s_and_b64 s[4:5], s[4:5], vcc
	s_mov_b32 s13, 0
	s_and_b64 s[10:11], s[4:5], s[10:11]
	v_mov_b32_e32 v28, 0
	s_and_saveexec_b64 s[4:5], s[10:11]
	s_cbranch_execz .LBB217_10
; %bb.9:
	s_mul_i32 s12, s6, s30
	s_lshl_b64 s[10:11], s[12:13], 2
	s_add_u32 s21, s22, s10
	s_mul_i32 s12, s15, s26
	s_addc_u32 s22, s23, s11
	s_lshl_b64 s[10:11], s[12:13], 2
	s_add_u32 s12, s21, s10
	s_addc_u32 s13, s22, s11
	s_ashr_i32 s21, s20, 31
	s_lshl_b64 s[10:11], s[20:21], 2
	s_add_u32 s10, s12, s10
	s_addc_u32 s11, s13, s11
	v_lshlrev_b32_e32 v2, 2, v26
	global_load_dword v28, v2, s[10:11]
.LBB217_10:
	s_or_b64 exec, exec, s[4:5]
.LBB217_11:
	s_cmp_lg_u64 s[36:37], 0
	s_cselect_b64 s[34:35], -1, 0
	s_cmp_eq_u64 s[36:37], 0
	s_cselect_b64 s[22:23], -1, 0
	s_cmp_lg_u64 s[38:39], 0
	s_cselect_b64 s[4:5], -1, 0
	s_and_b64 s[10:11], s[4:5], s[34:35]
	s_andn2_b64 vcc, exec, s[10:11]
	s_cbranch_vccnz .LBB217_15
; %bb.12:
	v_cmp_gt_u32_e32 vcc, 2, v26
	s_waitcnt lgkmcnt(0)
	v_cmp_gt_u32_e64 s[12:13], s7, v1
	v_cmp_eq_u32_e64 s[10:11], 0, v31
	s_and_b64 s[12:13], vcc, s[12:13]
	s_mov_b32 s43, 0
	s_and_b64 s[12:13], s[12:13], s[10:11]
	v_mov_b32_e32 v27, 0
	s_and_saveexec_b64 s[10:11], s[12:13]
	s_cbranch_execz .LBB217_14
; %bb.13:
	s_mul_i32 s42, s6, s30
	s_lshl_b64 s[12:13], s[42:43], 2
	s_add_u32 s21, s38, s12
	s_mul_i32 s42, s15, s26
	s_addc_u32 s31, s39, s13
	s_lshl_b64 s[12:13], s[42:43], 2
	s_add_u32 s15, s21, s12
	s_addc_u32 s31, s31, s13
	s_ashr_i32 s21, s20, 31
	s_lshl_b64 s[12:13], s[20:21], 2
	s_add_u32 s12, s15, s12
	s_addc_u32 s13, s31, s13
	v_lshlrev_b32_e32 v1, 2, v26
	global_load_dword v27, v1, s[12:13]
.LBB217_14:
	s_or_b64 exec, exec, s[10:11]
.LBB217_15:
	s_load_dwordx2 s[0:1], s[0:1], 0x4
	v_bfe_u32 v1, v0, 20, 10
	v_lshl_add_u32 v0, v31, 6, v26
	s_lshr_b32 s15, s40, 8
	v_lshrrev_b32_e32 v32, 3, v0
	s_waitcnt lgkmcnt(0)
	s_lshr_b32 s0, s0, 16
	v_mul_u32_u24_e32 v2, s1, v31
	s_mul_i32 s0, s0, s1
	v_mad_u32_u24 v2, s0, v26, v2
	v_add_lshl_u32 v1, v2, v1, 3
	v_add_u32_e32 v30, 0x800, v1
	v_add_u32_e32 v29, 0x400, v1
	v_cndmask_b32_e64 v1, 0, 1, s[34:35]
	v_mov_b32_e32 v36, 0
	v_cmp_gt_u32_e32 vcc, s15, v32
	v_cmp_ne_u32_e64 s[10:11], 1, v1
	v_mov_b32_e32 v33, 0
	v_mov_b32_e32 v35, 0
	;; [unrolled: 1-line block ×3, first 2 shown]
	ds_write2_b32 v30, v36, v36 offset1:1
	ds_write2_b32 v29, v36, v36 offset1:1
	s_and_saveexec_b64 s[0:1], vcc
	s_cbranch_execz .LBB217_23
; %bb.16:
	s_mul_hi_u32 s13, s27, s6
	s_add_i32 s13, s6, s13
	s_lshr_b32 s13, s13, s45
	s_mul_i32 s21, s44, s24
	s_mul_i32 s13, s13, s28
	;; [unrolled: 1-line block ×3, first 2 shown]
	s_add_i32 s25, s13, s21
	s_add_i32 s13, s20, 1
	v_and_b32_e32 v1, 1, v26
	s_mul_i32 s24, s20, s33
	s_mul_i32 s33, s33, s13
	s_mul_hi_u32 s13, s12, 36
	s_mul_i32 s12, s12, 36
	v_cmp_eq_u32_e32 vcc, 1, v1
	v_lshrrev_b32_e32 v3, 3, v0
	v_mov_b32_e32 v0, s12
	v_mov_b32_e32 v1, s13
	s_movk_i32 s12, 0x120
	s_mul_i32 s29, s6, s29
	v_mad_u64_u32 v[0:1], s[12:13], v3, s12, v[0:1]
	v_and_b32_e32 v2, 7, v26
	v_mad_u64_u32 v[0:1], s[12:13], s29, 36, v[0:1]
	v_bfe_u32 v4, v26, 1, 2
	v_mad_u64_u32 v[0:1], s[12:13], v2, 36, v[0:1]
	v_mov_b32_e32 v9, 0
	v_lshl_add_u64 v[0:1], v[0:1], 0, s[18:19]
	v_lshlrev_b32_e32 v14, 1, v4
	v_lshlrev_b32_e32 v10, 1, v2
	v_mov_b32_e32 v11, v9
	v_cndmask_b32_e64 v37, 0, 6, vcc
	s_add_i32 s21, s25, s24
	s_add_i32 s25, s25, s33
	v_lshl_add_u64 v[12:13], v[0:1], 0, 16
	s_mov_b64 s[12:13], 0
	v_lshlrev_b32_e32 v8, 2, v2
	s_mov_b32 s19, 0x40008
	s_movk_i32 s27, 0xf000
	s_movk_i32 s31, 0x700
	s_mov_b32 s18, 0x3d000000
	s_mov_b32 s24, 0xbf600000
	v_mov_b32_e32 v38, 0xbf600000
	s_movk_i32 s33, 0xf0
	s_mov_b64 s[28:29], 0x1200
	v_mov_b32_e32 v16, v14
	v_mov_b32_e32 v17, v9
	;; [unrolled: 1-line block ×8, first 2 shown]
	s_branch .LBB217_18
.LBB217_17:                             ;   in Loop: Header=BB217_18 Depth=1
	v_alignbit_b32 v15, v23, v22, 16
	v_pk_lshrrev_b16 v15, s19, v15
	v_lshrrev_b16_e32 v22, 12, v22
	v_and_b32_e32 v15, 0xf0000f0, v15
	s_waitcnt vmcnt(3)
	v_and_b32_e32 v56, 0xf0f0f0f, v54
	v_lshrrev_b32_e32 v54, 4, v54
	v_mov_b32_e32 v57, v9
	v_or_b32_e32 v22, v15, v22
	v_and_b32_e32 v54, 0xf0f0f0f, v54
	v_dot4c_i32_i8_e32 v57, v56, v5
	v_or_b32_sdwa v15, v22, v15 dst_sel:DWORD dst_unused:UNUSED_PAD src0_sel:DWORD src1_sel:WORD_1
	v_and_b32_sdwa v22, v23, s27 dst_sel:DWORD dst_unused:UNUSED_PAD src0_sel:WORD_1 src1_sel:DWORD
	v_bfe_u32 v23, v50, 4, 4
	v_dot4c_i32_i8_e32 v57, v54, v6
	v_and_b32_sdwa v54, v50, v39 dst_sel:DWORD dst_unused:UNUSED_PAD src0_sel:BYTE_0 src1_sel:DWORD
	v_cvt_f32_ubyte0_e32 v54, v54
	v_and_b32_e32 v23, 8, v23
	v_fmamk_f32 v54, v54, 0xbd000000, v38
	s_waitcnt vmcnt(2)
	v_and_b32_e32 v56, 0xf0f0f0f, v53
	v_lshrrev_b32_e32 v53, 4, v53
	v_cvt_f32_ubyte0_e32 v23, v23
	v_fma_f32 v54, v54, v20, 0
	v_and_b32_e32 v53, 0xf0f0f0f, v53
	v_dot4c_i32_i8_e32 v57, v56, v7
	v_fmamk_f32 v23, v23, 0xbd000000, v38
	v_dot4c_i32_i8_e32 v57, v53, v0
	v_fmac_f32_e32 v54, v23, v18
	s_waitcnt vmcnt(1)
	v_and_b32_e32 v23, 0xf0f0f0f, v52
	v_lshrrev_b32_e32 v52, 4, v52
	v_mov_b32_e32 v53, v9
	v_and_b32_e32 v52, 0xf0f0f0f, v52
	v_dot4c_i32_i8_e32 v53, v23, v1
	v_or_b32_e32 v15, v15, v22
	v_and_b32_e32 v22, 0xf0f, v48
	v_lshrrev_b32_sdwa v48, v40, v50 dst_sel:DWORD dst_unused:UNUSED_PAD src0_sel:DWORD src1_sel:BYTE_1
	v_dot4c_i32_i8_e32 v53, v52, v2
	v_and_b32_sdwa v23, v50, v39 dst_sel:DWORD dst_unused:UNUSED_PAD src0_sel:BYTE_1 src1_sel:DWORD
	s_waitcnt vmcnt(0)
	v_and_b32_e32 v50, 0xf0f0f0f, v51
	v_dot4c_i32_i8_e32 v53, v50, v3
	v_lshrrev_b16_e32 v50, 12, v24
	v_and_b32_sdwa v24, v24, s33 dst_sel:DWORD dst_unused:UNUSED_PAD src0_sel:BYTE_3 src1_sel:DWORD
	v_or_b32_e32 v24, v24, v50
	v_lshrrev_b16_e32 v50, 4, v25
	v_lshrrev_b32_e32 v51, 4, v51
	v_and_b32_e32 v50, 0xf00, v50
	v_cvt_f32_ubyte0_e32 v23, v23
	v_and_b32_e32 v51, 0xf0f0f0f, v51
	v_and_b32_e32 v48, 8, v48
	v_or_b32_e32 v24, v24, v50
	v_and_b32_sdwa v25, v25, s27 dst_sel:DWORD dst_unused:UNUSED_PAD src0_sel:WORD_1 src1_sel:DWORD
	v_fmamk_f32 v23, v23, 0xbd000000, v38
	v_dot4c_i32_i8_e32 v53, v51, v41
	v_or_b32_e32 v24, v24, v25
	v_cvt_f32_ubyte0_e32 v25, v48
	v_fma_f32 v23, v23, v21, 0
	v_fmamk_f32 v25, v25, 0xbd000000, v38
	v_cvt_f32_i32_e32 v50, v53
	v_fmac_f32_e32 v23, v25, v19
	v_lshrrev_b32_sdwa v25, v37, v49 dst_sel:DWORD dst_unused:UNUSED_PAD src0_sel:DWORD src1_sel:WORD_0
	v_cvt_f32_i32_e32 v49, v57
	v_cvt_f32_f16_e32 v24, v24
	v_lshlrev_b32_e32 v48, 1, v25
	v_lshrrev_b32_e32 v25, 2, v25
	v_and_or_b32 v25, v25, 14, 1
	v_and_or_b32 v48, v48, 14, 1
	v_add_f32_e32 v23, v23, v50
	v_cvt_f32_ubyte0_e32 v25, v25
	v_add_f32_e32 v49, v54, v49
	v_cvt_f32_ubyte0_e32 v48, v48
	v_mul_f32_e32 v23, v23, v25
	v_mul_f32_e32 v24, v4, v24
	v_fmac_f32_e32 v23, v49, v48
	v_fmac_f32_e32 v33, v24, v23
	v_lshrrev_b32_sdwa v23, v37, v43 dst_sel:DWORD dst_unused:UNUSED_PAD src0_sel:DWORD src1_sel:WORD_0
	v_and_b32_e32 v25, 0xf0f0f0f, v47
	v_lshrrev_b32_e32 v43, 4, v47
	v_mov_b32_e32 v47, v9
	v_and_b32_e32 v43, 0xf0f0f0f, v43
	v_dot4c_i32_i8_e32 v47, v25, v5
	v_dot4c_i32_i8_e32 v47, v43, v6
	v_and_b32_e32 v5, 0xf0f0f0f, v46
	v_lshrrev_b32_e32 v6, 4, v46
	v_and_b32_e32 v6, 0xf0f0f0f, v6
	v_dot4c_i32_i8_e32 v47, v5, v7
	v_dot4c_i32_i8_e32 v47, v6, v0
	v_and_b32_e32 v0, 0xf0f0f0f, v45
	v_lshrrev_b32_e32 v5, 4, v45
	v_mov_b32_e32 v25, v9
	v_and_b32_e32 v5, 0xf0f0f0f, v5
	v_dot4c_i32_i8_e32 v25, v0, v1
	v_lshrrev_b16_sdwa v55, v39, v22 dst_sel:DWORD dst_unused:UNUSED_PAD src0_sel:DWORD src1_sel:WORD_0
	v_dot4c_i32_i8_e32 v25, v5, v2
	v_and_b32_e32 v2, 0xf0f0f0f, v44
	v_lshrrev_b32_e32 v5, 4, v44
	v_and_b32_sdwa v1, v42, v39 dst_sel:DWORD dst_unused:UNUSED_PAD src0_sel:BYTE_1 src1_sel:DWORD
	v_and_b32_e32 v0, 8, v42
	v_and_b32_e32 v5, 0xf0f0f0f, v5
	v_dot4c_i32_i8_e32 v25, v2, v3
	v_and_b32_e32 v3, 8, v55
	v_and_b32_sdwa v2, v22, v39 dst_sel:DWORD dst_unused:UNUSED_PAD src0_sel:WORD_0 src1_sel:DWORD
	v_cvt_f32_ubyte0_e32 v0, v0
	v_cvt_f32_ubyte0_e32 v1, v1
	v_mov_b64_e32 v[6:7], s[24:25]
	v_dot4c_i32_i8_e32 v25, v5, v41
	v_cvt_f32_ubyte0_e32 v2, v2
	v_cvt_f32_ubyte0_e32 v3, v3
	v_pk_fma_f32 v[0:1], v[0:1], s[18:19], v[6:7] op_sel_hi:[1,0,0] neg_lo:[1,0,0] neg_hi:[1,0,0]
	v_pk_fma_f32 v[2:3], v[2:3], s[18:19], v[6:7] op_sel_hi:[1,0,0] neg_lo:[1,0,0] neg_hi:[1,0,0]
	v_cvt_f32_i32_e32 v7, v25
	v_cvt_f32_i32_e32 v6, v47
	v_cvt_f32_f16_e32 v15, v15
	v_lshlrev_b32_e32 v24, 1, v23
	v_lshrrev_b32_e32 v23, 2, v23
	v_pk_fma_f32 v[0:1], v[0:1], v[20:21], 0 op_sel_hi:[1,1,0]
	v_add_u32_e32 v32, 16, v32
	v_pk_fma_f32 v[0:1], v[2:3], v[18:19], v[0:1]
	v_and_or_b32 v2, v24, 14, 1
	v_and_or_b32 v3, v23, 14, 1
	v_pk_add_f32 v[0:1], v[0:1], v[6:7]
	v_cvt_f32_ubyte0_e32 v3, v3
	v_cvt_f32_ubyte0_e32 v2, v2
	v_pk_mul_f32 v[0:1], v[0:1], v[2:3]
	v_cmp_le_u32_e32 vcc, s15, v32
	v_add_f32_e32 v0, v0, v1
	v_mul_f32_e32 v1, v15, v4
	v_fmac_f32_e32 v36, v1, v0
	s_or_b64 s[12:13], vcc, s[12:13]
	v_lshl_add_u64 v[12:13], v[12:13], 0, s[28:29]
	s_andn2_b64 exec, exec, s[12:13]
	s_cbranch_execz .LBB217_22
.LBB217_18:                             ; =>This Inner Loop Header: Depth=1
	v_add_u32_e32 v15, s21, v32
	v_mad_i64_i32 v[18:19], s[34:35], v15, 56, s[16:17]
	v_lshl_add_u64 v[0:1], v[18:19], 0, v[8:9]
	global_load_dword v24, v[0:1], off
	v_lshl_add_u64 v[0:1], v[18:19], 0, v[10:11]
	global_load_ushort v42, v[0:1], off offset:32
	v_lshl_add_u64 v[20:21], v[18:19], 0, v[16:17]
	global_load_ushort v43, v[20:21], off offset:48
	global_load_dword v41, v[12:13], off offset:16
	global_load_dwordx4 v[4:7], v[12:13], off offset:-16
	global_load_dwordx4 v[0:3], v[12:13], off
	global_load_dwordx2 v[22:23], v[18:19], off offset:48
	s_getpc_b64 s[34:35]
	s_add_u32 s34, s34, _ZL13iq1s_grid_gpu@rel32@lo+4
	s_addc_u32 s35, s35, _ZL13iq1s_grid_gpu@rel32@hi+12
	s_and_b64 vcc, exec, s[10:11]
	s_waitcnt vmcnt(6)
	v_and_b32_e32 v18, 0xff, v24
	v_bfe_u32 v19, v24, 8, 8
	s_waitcnt vmcnt(5)
	v_lshlrev_b32_e32 v21, 8, v42
	v_lshrrev_b16_e32 v48, 4, v42
	v_lshrrev_b16_e32 v44, 12, v42
	v_and_or_b32 v18, v21, s31, v18
	v_and_b32_e32 v21, 15, v48
	v_bfe_u32 v20, v24, 16, 8
	v_lshlrev_b32_sdwa v25, v39, v42 dst_sel:DWORD dst_unused:UNUSED_PAD src0_sel:DWORD src1_sel:BYTE_1
	v_alignbit_b32 v24, v44, v24, 24
	v_lshlrev_b32_e32 v21, 8, v21
	v_and_or_b32 v20, v25, s31, v20
	v_lshlrev_b32_e32 v18, 2, v18
	v_and_b32_e32 v24, 0x7ff, v24
	v_and_or_b32 v19, v21, s31, v19
	v_lshlrev_b32_e32 v20, 2, v20
	v_lshlrev_b32_e32 v21, 2, v24
	;; [unrolled: 1-line block ×3, first 2 shown]
	global_load_dword v47, v18, s[34:35]
	global_load_dword v46, v19, s[34:35]
	;; [unrolled: 1-line block ×4, first 2 shown]
	v_mov_b32_e32 v18, v9
	v_mov_b32_e32 v24, v9
	;; [unrolled: 1-line block ×4, first 2 shown]
	s_waitcnt vmcnt(6)
	v_dot4c_i32_i8_e32 v18, 0x1010101, v5
	v_dot4c_i32_i8_e32 v24, 0x1010101, v7
	s_waitcnt vmcnt(5)
	v_dot4c_i32_i8_e32 v19, 0x1010101, v1
	v_dot4c_i32_i8_e32 v25, 0x1010101, v3
	;; [unrolled: 1-line block ×6, first 2 shown]
	v_cvt_f32_i32_e32 v20, v18
	v_cvt_f32_i32_e32 v18, v24
	;; [unrolled: 1-line block ×4, first 2 shown]
	v_cvt_f32_f16_e32 v4, v4
	s_cbranch_vccnz .LBB217_20
; %bb.19:                               ;   in Loop: Header=BB217_18 Depth=1
	v_mad_i64_i32 v[24:25], s[38:39], v15, 56, s[36:37]
	v_lshl_add_u64 v[50:51], v[24:25], 0, v[8:9]
	global_load_dword v49, v[50:51], off
	global_load_dwordx2 v[52:53], v[24:25], off offset:48
	v_lshl_add_u64 v[50:51], v[24:25], 0, v[10:11]
	s_waitcnt vmcnt(1)
	v_and_b32_e32 v54, 0xff, v49
	s_waitcnt vmcnt(0)
	v_alignbit_b32 v15, v53, v52, 16
	v_pk_lshrrev_b16 v15, s19, v15
	v_lshrrev_b16_e32 v52, 12, v52
	v_and_b32_e32 v15, 0xf0000f0, v15
	v_or_b32_e32 v52, v15, v52
	v_or_b32_sdwa v15, v52, v15 dst_sel:DWORD dst_unused:UNUSED_PAD src0_sel:DWORD src1_sel:WORD_1
	v_and_b32_sdwa v52, v53, s27 dst_sel:DWORD dst_unused:UNUSED_PAD src0_sel:WORD_1 src1_sel:DWORD
	v_or_b32_e32 v15, v15, v52
	v_cvt_f32_f16_e32 v15, v15
	v_bfe_u32 v55, v49, 8, 8
	v_bfe_u32 v56, v49, 16, 8
	v_mul_f32_e32 v57, v4, v15
	v_mov_b32_e32 v15, v9
	v_lshl_add_u64 v[24:25], v[24:25], 0, v[14:15]
	global_load_ushort v15, v[24:25], off offset:48
	s_waitcnt vmcnt(0)
	v_lshrrev_b32_e32 v15, v37, v15
	global_load_ushort v24, v[50:51], off offset:32
	v_lshlrev_b32_e32 v58, 1, v15
	v_lshrrev_b32_e32 v15, 2, v15
	v_and_or_b32 v15, v15, 14, 1
	s_waitcnt vmcnt(0)
	v_lshlrev_b32_e32 v25, 8, v24
	v_and_or_b32 v25, v25, s31, v54
	v_lshlrev_b32_e32 v25, 2, v25
	global_load_dword v25, v25, s[34:35]
	v_lshrrev_b16_e32 v52, 12, v24
	v_alignbit_b32 v49, v52, v49, 24
	v_and_b32_e32 v49, 0x7ff, v49
	v_lshlrev_b32_e32 v49, 2, v49
	global_load_dword v49, v49, s[34:35]
	v_mov_b32_e32 v54, v9
	v_lshrrev_b16_e32 v53, 4, v24
	v_and_b32_e32 v52, 8, v52
	s_waitcnt vmcnt(1)
	v_and_b32_e32 v50, 0xf0f0f0f, v25
	v_lshrrev_b32_e32 v25, 4, v25
	v_and_b32_e32 v25, 0xf0f0f0f, v25
	v_dot4c_i32_i8_e32 v54, v50, v5
	v_dot4c_i32_i8_e32 v54, v25, v6
	v_and_b32_e32 v25, 15, v53
	v_lshlrev_b32_e32 v25, 8, v25
	v_and_or_b32 v25, v25, s31, v55
	v_lshlrev_b32_e32 v25, 2, v25
	global_load_dword v25, v25, s[34:35]
	v_mov_b32_e32 v55, v9
	s_waitcnt vmcnt(0)
	v_and_b32_e32 v50, 0xf0f0f0f, v25
	v_lshrrev_b32_e32 v25, 4, v25
	v_and_b32_e32 v25, 0xf0f0f0f, v25
	v_dot4c_i32_i8_e32 v54, v50, v7
	v_dot4c_i32_i8_e32 v54, v25, v0
	v_lshlrev_b32_sdwa v25, v39, v24 dst_sel:DWORD dst_unused:UNUSED_PAD src0_sel:DWORD src1_sel:BYTE_1
	v_and_or_b32 v25, v25, s31, v56
	v_lshlrev_b32_e32 v25, 2, v25
	global_load_dword v25, v25, s[34:35]
	v_and_b32_e32 v56, 0xf0f0f0f, v49
	v_lshrrev_b32_e32 v49, 4, v49
	v_and_b32_e32 v49, 0xf0f0f0f, v49
	s_waitcnt vmcnt(0)
	v_and_b32_e32 v50, 0xf0f0f0f, v25
	v_lshrrev_b32_e32 v25, 4, v25
	v_and_b32_e32 v25, 0xf0f0f0f, v25
	v_dot4c_i32_i8_e32 v55, v50, v1
	v_dot4c_i32_i8_e32 v55, v25, v2
	v_and_b32_sdwa v25, v24, v39 dst_sel:DWORD dst_unused:UNUSED_PAD src0_sel:BYTE_1 src1_sel:DWORD
	v_and_b32_e32 v24, 8, v24
	v_dot4c_i32_i8_e32 v55, v56, v3
	v_cvt_f32_ubyte0_e32 v24, v24
	v_cvt_f32_ubyte0_e32 v25, v25
	v_mov_b64_e32 v[50:51], s[24:25]
	v_dot4c_i32_i8_e32 v55, v49, v41
	v_and_b32_e32 v49, 8, v53
	v_pk_fma_f32 v[24:25], v[24:25], s[18:19], v[50:51] op_sel_hi:[1,0,0] neg_lo:[1,0,0] neg_hi:[1,0,0]
	v_cvt_f32_ubyte0_e32 v53, v52
	v_cvt_f32_ubyte0_e32 v52, v49
	v_pk_fma_f32 v[24:25], v[24:25], v[20:21], 0 op_sel_hi:[1,1,0]
	v_pk_fma_f32 v[50:51], v[52:53], s[18:19], v[50:51] op_sel_hi:[1,0,0] neg_lo:[1,0,0] neg_hi:[1,0,0]
	v_and_or_b32 v49, v58, 14, 1
	v_pk_fma_f32 v[24:25], v[50:51], v[18:19], v[24:25]
	v_cvt_f32_i32_e32 v50, v54
	v_cvt_f32_i32_e32 v51, v55
	v_pk_add_f32 v[24:25], v[24:25], v[50:51]
	v_cvt_f32_ubyte0_e32 v51, v15
	v_cvt_f32_ubyte0_e32 v50, v49
	v_pk_mul_f32 v[24:25], v[24:25], v[50:51]
	s_nop 0
	v_add_f32_e32 v15, v24, v25
	v_fmac_f32_e32 v35, v57, v15
.LBB217_20:                             ;   in Loop: Header=BB217_18 Depth=1
	v_add_u32_e32 v55, s25, v32
	v_mad_i64_i32 v[52:53], s[38:39], v55, 56, s[16:17]
	v_lshl_add_u64 v[24:25], v[52:53], 0, v[8:9]
	global_load_dword v51, v[24:25], off
	v_lshl_add_u64 v[24:25], v[52:53], 0, v[10:11]
	global_load_ushort v50, v[24:25], off offset:32
	v_mov_b32_e32 v15, v9
	v_lshl_add_u64 v[56:57], v[52:53], 0, v[14:15]
	global_load_ushort v49, v[56:57], off offset:48
	global_load_dwordx2 v[24:25], v[52:53], off offset:48
	s_and_b64 vcc, exec, s[10:11]
	s_waitcnt vmcnt(3)
	v_and_b32_e32 v53, 0xff, v51
	v_lshrrev_b32_e32 v52, 24, v51
	s_waitcnt vmcnt(2)
	v_lshlrev_b32_e32 v54, 8, v50
	v_bfe_u32 v56, v51, 8, 8
	v_lshlrev_b32_e32 v57, 4, v50
	v_bfe_u32 v51, v51, 16, 8
	v_lshlrev_b32_sdwa v58, v39, v50 dst_sel:DWORD dst_unused:UNUSED_PAD src0_sel:DWORD src1_sel:BYTE_1
	v_lshlrev_b32_sdwa v59, v40, v50 dst_sel:DWORD dst_unused:UNUSED_PAD src0_sel:DWORD src1_sel:BYTE_1
	v_and_or_b32 v53, v54, s31, v53
	v_and_or_b32 v54, v57, s31, v56
	;; [unrolled: 1-line block ×4, first 2 shown]
	v_lshlrev_b32_e32 v56, 2, v53
	v_lshlrev_b32_e32 v57, 2, v54
	;; [unrolled: 1-line block ×4, first 2 shown]
	global_load_dword v54, v56, s[34:35]
	global_load_dword v53, v57, s[34:35]
	;; [unrolled: 1-line block ×4, first 2 shown]
	s_cbranch_vccnz .LBB217_17
; %bb.21:                               ;   in Loop: Header=BB217_18 Depth=1
	v_mad_i64_i32 v[56:57], s[34:35], v55, 56, s[36:37]
	v_lshl_add_u64 v[58:59], v[56:57], 0, v[8:9]
	global_load_dword v55, v[58:59], off
	global_load_dwordx2 v[60:61], v[56:57], off offset:48
	v_lshl_add_u64 v[58:59], v[56:57], 0, v[10:11]
	v_lshl_add_u64 v[56:57], v[56:57], 0, v[14:15]
	global_load_ushort v15, v[56:57], off offset:48
	s_getpc_b64 s[34:35]
	s_add_u32 s34, s34, _ZL13iq1s_grid_gpu@rel32@lo+4
	s_addc_u32 s35, s35, _ZL13iq1s_grid_gpu@rel32@hi+12
	global_load_ushort v56, v[58:59], off offset:32
	s_waitcnt vmcnt(3)
	v_and_b32_e32 v62, 0xff, v55
	s_waitcnt vmcnt(2)
	v_alignbit_b32 v65, v61, v60, 16
	v_pk_lshrrev_b16 v65, s19, v65
	v_lshrrev_b16_e32 v60, 12, v60
	v_and_b32_e32 v65, 0xf0000f0, v65
	v_or_b32_e32 v60, v65, v60
	s_waitcnt vmcnt(0)
	v_lshlrev_b32_e32 v57, 8, v56
	v_and_or_b32 v57, v57, s31, v62
	v_lshlrev_b32_e32 v57, 2, v57
	global_load_dword v57, v57, s[34:35]
	v_or_b32_sdwa v60, v60, v65 dst_sel:DWORD dst_unused:UNUSED_PAD src0_sel:DWORD src1_sel:WORD_1
	v_and_b32_sdwa v61, v61, s27 dst_sel:DWORD dst_unused:UNUSED_PAD src0_sel:WORD_1 src1_sel:DWORD
	v_or_b32_e32 v60, v60, v61
	v_cvt_f32_f16_e32 v60, v60
	v_bfe_u32 v63, v55, 8, 8
	v_bfe_u32 v64, v55, 16, 8
	v_mov_b32_e32 v62, v9
	v_mul_f32_e32 v65, v4, v60
	v_lshrrev_b16_e32 v60, 12, v56
	v_alignbit_b32 v55, v60, v55, 24
	v_and_b32_e32 v55, 0x7ff, v55
	v_lshlrev_b32_e32 v55, 2, v55
	global_load_dword v55, v55, s[34:35]
	v_lshrrev_b16_e32 v61, 4, v56
	v_and_b32_e32 v60, 8, v60
	v_lshrrev_b32_e32 v15, v37, v15
	v_lshlrev_b32_e32 v66, 1, v15
	v_lshrrev_b32_e32 v15, 2, v15
	v_and_or_b32 v15, v15, 14, 1
	s_waitcnt vmcnt(1)
	v_and_b32_e32 v58, 0xf0f0f0f, v57
	v_lshrrev_b32_e32 v57, 4, v57
	v_and_b32_e32 v57, 0xf0f0f0f, v57
	v_dot4c_i32_i8_e32 v62, v58, v5
	v_dot4c_i32_i8_e32 v62, v57, v6
	v_and_b32_e32 v57, 15, v61
	v_lshlrev_b32_e32 v57, 8, v57
	v_and_or_b32 v57, v57, s31, v63
	v_lshlrev_b32_e32 v57, 2, v57
	global_load_dword v57, v57, s[34:35]
	v_mov_b32_e32 v63, v9
	s_waitcnt vmcnt(0)
	v_and_b32_e32 v58, 0xf0f0f0f, v57
	v_lshrrev_b32_e32 v57, 4, v57
	v_and_b32_e32 v57, 0xf0f0f0f, v57
	v_dot4c_i32_i8_e32 v62, v58, v7
	v_dot4c_i32_i8_e32 v62, v57, v0
	v_lshlrev_b32_sdwa v57, v39, v56 dst_sel:DWORD dst_unused:UNUSED_PAD src0_sel:DWORD src1_sel:BYTE_1
	v_and_or_b32 v57, v57, s31, v64
	v_lshlrev_b32_e32 v57, 2, v57
	global_load_dword v57, v57, s[34:35]
	v_and_b32_e32 v64, 0xf0f0f0f, v55
	v_lshrrev_b32_e32 v55, 4, v55
	v_and_b32_e32 v55, 0xf0f0f0f, v55
	s_waitcnt vmcnt(0)
	v_and_b32_e32 v58, 0xf0f0f0f, v57
	v_lshrrev_b32_e32 v57, 4, v57
	v_and_b32_e32 v57, 0xf0f0f0f, v57
	v_dot4c_i32_i8_e32 v63, v58, v1
	v_dot4c_i32_i8_e32 v63, v57, v2
	v_and_b32_sdwa v57, v56, v39 dst_sel:DWORD dst_unused:UNUSED_PAD src0_sel:BYTE_1 src1_sel:DWORD
	v_and_b32_e32 v56, 8, v56
	v_dot4c_i32_i8_e32 v63, v64, v3
	v_cvt_f32_ubyte0_e32 v56, v56
	v_cvt_f32_ubyte0_e32 v57, v57
	v_mov_b64_e32 v[58:59], s[24:25]
	v_dot4c_i32_i8_e32 v63, v55, v41
	v_and_b32_e32 v55, 8, v61
	v_pk_fma_f32 v[56:57], v[56:57], s[18:19], v[58:59] op_sel_hi:[1,0,0] neg_lo:[1,0,0] neg_hi:[1,0,0]
	v_cvt_f32_ubyte0_e32 v61, v60
	v_cvt_f32_ubyte0_e32 v60, v55
	v_pk_fma_f32 v[56:57], v[56:57], v[20:21], 0 op_sel_hi:[1,1,0]
	v_pk_fma_f32 v[58:59], v[60:61], s[18:19], v[58:59] op_sel_hi:[1,0,0] neg_lo:[1,0,0] neg_hi:[1,0,0]
	v_and_or_b32 v55, v66, 14, 1
	v_pk_fma_f32 v[56:57], v[58:59], v[18:19], v[56:57]
	v_cvt_f32_i32_e32 v58, v62
	v_cvt_f32_i32_e32 v59, v63
	v_pk_add_f32 v[56:57], v[56:57], v[58:59]
	v_cvt_f32_ubyte0_e32 v59, v15
	v_cvt_f32_ubyte0_e32 v58, v55
	v_pk_mul_f32 v[56:57], v[56:57], v[58:59]
	s_nop 0
	v_add_f32_e32 v15, v56, v57
	v_fmac_f32_e32 v34, v65, v15
	s_branch .LBB217_17
.LBB217_22:
	s_or_b64 exec, exec, s[12:13]
	ds_write2_b32 v30, v36, v33 offset1:1
	ds_write2_b32 v29, v35, v34 offset1:1
.LBB217_23:
	s_or_b64 exec, exec, s[0:1]
	s_load_dword s15, s[2:3], 0x30
	v_cmp_eq_u32_e64 s[0:1], 0, v31
	v_cmp_ne_u32_e32 vcc, 0, v31
	v_lshlrev_b32_e32 v0, 2, v26
	s_and_saveexec_b64 s[12:13], vcc
	s_cbranch_execz .LBB217_28
; %bb.24:
	v_add_u32_e32 v1, -1, v31
	v_lshl_or_b32 v1, v1, 9, v0
	s_mov_b64 s[16:17], -1
	s_and_b64 vcc, exec, s[22:23]
	ds_write_b32 v1, v36
	s_cbranch_vccz .LBB217_26
; %bb.25:
	ds_write_b32 v1, v33 offset:256
	s_mov_b64 s[16:17], 0
.LBB217_26:
	s_andn2_b64 vcc, exec, s[16:17]
	s_cbranch_vccnz .LBB217_28
; %bb.27:
	ds_write_b32 v1, v33 offset:256
	ds_write2st64_b32 v1, v35, v34 offset0:2 offset1:3
.LBB217_28:
	s_or_b64 exec, exec, s[12:13]
	s_waitcnt lgkmcnt(0)
	s_barrier
	s_and_saveexec_b64 s[12:13], s[0:1]
	s_cbranch_execz .LBB217_61
; %bb.29:
	ds_read_b32 v2, v0
	ds_read_b32 v3, v30
	s_and_b64 vcc, exec, s[10:11]
	s_cbranch_vccnz .LBB217_31
; %bb.30:
	ds_read_b32 v1, v0 offset:512
	ds_read_b32 v4, v29
	s_waitcnt lgkmcnt(0)
	v_add_f32_e32 v1, v1, v4
	ds_write_b32 v29, v1
.LBB217_31:
	v_mbcnt_lo_u32_b32 v1, -1, 0
	v_mbcnt_hi_u32_b32 v6, -1, v1
	v_and_b32_e32 v1, 64, v6
	v_add_u32_e32 v7, 64, v1
	v_xor_b32_e32 v1, 32, v6
	v_cmp_lt_i32_e32 vcc, v1, v7
	s_waitcnt lgkmcnt(0)
	v_add_f32_e32 v3, v2, v3
	v_xor_b32_e32 v2, 16, v6
	v_cndmask_b32_e32 v1, v6, v1, vcc
	v_lshlrev_b32_e32 v1, 2, v1
	ds_bpermute_b32 v4, v1, v3
	v_cmp_lt_i32_e32 vcc, v2, v7
	v_xor_b32_e32 v10, 1, v6
	s_waitcnt lgkmcnt(0)
	v_add_f32_e32 v4, v3, v4
	v_cndmask_b32_e32 v2, v6, v2, vcc
	v_lshlrev_b32_e32 v2, 2, v2
	ds_bpermute_b32 v5, v2, v4
	v_xor_b32_e32 v3, 8, v6
	v_cmp_lt_i32_e32 vcc, v3, v7
	s_waitcnt lgkmcnt(0)
	v_add_f32_e32 v5, v4, v5
	v_cndmask_b32_e32 v3, v6, v3, vcc
	v_lshlrev_b32_e32 v3, 2, v3
	ds_bpermute_b32 v8, v3, v5
	v_xor_b32_e32 v4, 4, v6
	v_cmp_lt_i32_e32 vcc, v4, v7
	;; [unrolled: 7-line block ×3, first 2 shown]
	s_waitcnt lgkmcnt(0)
	v_add_f32_e32 v8, v8, v9
	v_cndmask_b32_e32 v5, v6, v5, vcc
	v_lshlrev_b32_e32 v5, 2, v5
	ds_bpermute_b32 v9, v5, v8
	v_cmp_lt_i32_e32 vcc, v10, v7
	s_waitcnt lgkmcnt(0)
	v_add_f32_e32 v7, v8, v9
	v_cndmask_b32_e32 v6, v6, v10, vcc
	v_lshlrev_b32_e32 v6, 2, v6
	ds_bpermute_b32 v8, v6, v7
	s_and_b64 vcc, exec, s[10:11]
	s_waitcnt lgkmcnt(0)
	v_add_f32_e32 v7, v7, v8
	ds_write_b32 v30, v7
	s_cbranch_vccnz .LBB217_33
; %bb.32:
	ds_read_b32 v7, v29
	s_waitcnt lgkmcnt(0)
	ds_bpermute_b32 v8, v1, v7
	s_waitcnt lgkmcnt(0)
	v_add_f32_e32 v7, v7, v8
	ds_bpermute_b32 v8, v2, v7
	s_waitcnt lgkmcnt(0)
	v_add_f32_e32 v7, v7, v8
	;; [unrolled: 3-line block ×6, first 2 shown]
	ds_write_b32 v29, v7
.LBB217_33:
	ds_read_b32 v7, v0 offset:256
	ds_read_b32 v8, v30 offset:4
	s_and_b64 vcc, exec, s[10:11]
	s_cbranch_vccnz .LBB217_35
; %bb.34:
	ds_read_b32 v9, v0 offset:768
	ds_read_b32 v10, v29 offset:4
	s_waitcnt lgkmcnt(0)
	v_add_f32_e32 v9, v9, v10
	ds_write_b32 v29, v9 offset:4
.LBB217_35:
	s_waitcnt lgkmcnt(0)
	v_add_f32_e32 v7, v7, v8
	ds_bpermute_b32 v8, v1, v7
	s_and_b64 vcc, exec, s[10:11]
	s_waitcnt lgkmcnt(0)
	v_add_f32_e32 v7, v7, v8
	ds_bpermute_b32 v8, v2, v7
	s_waitcnt lgkmcnt(0)
	v_add_f32_e32 v7, v7, v8
	ds_bpermute_b32 v8, v3, v7
	;; [unrolled: 3-line block ×5, first 2 shown]
	s_waitcnt lgkmcnt(0)
	v_add_f32_e32 v7, v7, v8
	ds_write_b32 v30, v7 offset:4
	s_cbranch_vccnz .LBB217_37
; %bb.36:
	ds_read_b32 v7, v29 offset:4
	s_waitcnt lgkmcnt(0)
	ds_bpermute_b32 v1, v1, v7
	s_waitcnt lgkmcnt(0)
	v_add_f32_e32 v1, v7, v1
	ds_bpermute_b32 v2, v2, v1
	s_waitcnt lgkmcnt(0)
	v_add_f32_e32 v1, v1, v2
	ds_bpermute_b32 v2, v3, v1
	s_waitcnt lgkmcnt(0)
	v_add_f32_e32 v1, v1, v2
	ds_bpermute_b32 v2, v4, v1
	s_waitcnt lgkmcnt(0)
	v_add_f32_e32 v1, v1, v2
	ds_bpermute_b32 v2, v5, v1
	s_waitcnt lgkmcnt(0)
	v_add_f32_e32 v1, v1, v2
	ds_bpermute_b32 v2, v6, v1
	s_waitcnt lgkmcnt(0)
	v_add_f32_e32 v1, v1, v2
	ds_write_b32 v29, v1 offset:4
.LBB217_37:
	v_add_u32_e32 v1, s20, v26
	v_cmp_gt_u32_e32 vcc, 2, v26
	v_cmp_gt_u32_e64 s[0:1], s7, v1
	s_and_b64 s[0:1], vcc, s[0:1]
	s_and_b64 exec, exec, s[0:1]
	s_cbranch_execz .LBB217_61
; %bb.38:
	v_lshl_add_u32 v1, v26, 2, v30
	ds_read_b32 v1, v1
	s_and_b64 vcc, exec, s[10:11]
	s_waitcnt vmcnt(0) lgkmcnt(0)
	v_add_f32_e32 v2, v28, v1
	v_cndmask_b32_e64 v1, v2, v1, s[8:9]
	s_cbranch_vccnz .LBB217_60
; %bb.39:
	v_lshl_add_u32 v2, v26, 2, v29
	ds_read_b32 v2, v2
	s_cmp_lt_i32 s15, 2
	s_mov_b64 s[0:1], 0
	s_waitcnt lgkmcnt(0)
	v_add_f32_e32 v3, v27, v2
	v_cndmask_b32_e64 v2, v2, v3, s[4:5]
	s_cbranch_scc1 .LBB217_43
; %bb.40:
	s_cmp_gt_i32 s15, 2
	s_cbranch_scc0 .LBB217_44
; %bb.41:
	s_cmp_eq_u32 s15, 3
	s_cbranch_scc0 .LBB217_45
; %bb.42:
	v_max_f32_e32 v3, v2, v2
	v_min_f32_e32 v3, 0x40e00000, v3
	v_mul_f32_e32 v5, 0xbfd9db23, v3
	s_mov_b32 s4, 0x3fb8aa3b
	v_mul_f32_e32 v4, 0x3fb8aa3b, v5
	v_fma_f32 v6, v5, s4, -v4
	v_rndne_f32_e32 v7, v4
	v_fmamk_f32 v6, v5, 0x32a5705f, v6
	v_sub_f32_e32 v4, v4, v7
	v_add_f32_e32 v4, v4, v6
	v_exp_f32_e32 v6, v4
	v_cvt_i32_f32_e32 v7, v7
	s_mov_b32 s4, 0xc2ce8ed0
	v_max_f32_e32 v4, v1, v1
	v_cmp_ngt_f32_e32 vcc, s4, v5
	v_ldexp_f32 v6, v6, v7
	s_mov_b32 s4, 0x42b17218
	v_min_f32_e32 v4, 0x40e00000, v4
	v_cndmask_b32_e32 v6, 0, v6, vcc
	v_mov_b32_e32 v7, 0x7f800000
	v_cmp_nlt_f32_e32 vcc, s4, v5
	v_max_f32_e32 v4, 0xc0e00000, v4
	s_nop 0
	v_cndmask_b32_e32 v5, v7, v6, vcc
	v_pk_add_f32 v[4:5], v[4:5], 1.0 op_sel_hi:[1,0]
	s_nop 0
	v_div_scale_f32 v6, s[4:5], v5, v5, v3
	v_rcp_f32_e32 v7, v6
	s_mov_b64 s[4:5], 0
	v_fma_f32 v8, -v6, v7, 1.0
	v_fmac_f32_e32 v7, v8, v7
	v_div_scale_f32 v8, vcc, v3, v5, v3
	v_mul_f32_e32 v9, v8, v7
	v_fma_f32 v10, -v6, v9, v8
	v_fmac_f32_e32 v9, v10, v7
	v_fma_f32 v6, -v6, v9, v8
	v_div_fmas_f32 v6, v6, v7, v9
	v_div_fixup_f32 v3, v6, v5, v3
	v_mul_f32_e32 v3, v4, v3
	s_branch .LBB217_46
.LBB217_43:
                                        ; implicit-def: $vgpr3
	s_mov_b64 s[4:5], 0
	s_cbranch_execnz .LBB217_50
	s_branch .LBB217_51
.LBB217_44:
	s_mov_b64 s[8:9], -1
	s_mov_b64 s[4:5], 0
                                        ; implicit-def: $vgpr3
	s_branch .LBB217_47
.LBB217_45:
	s_mov_b64 s[4:5], -1
                                        ; implicit-def: $vgpr3
.LBB217_46:
	s_mov_b64 s[8:9], 0
.LBB217_47:
	s_and_b64 vcc, exec, s[8:9]
	s_cbranch_vccz .LBB217_49
; %bb.48:
	v_mul_f32_e32 v3, 0xbfb8aa3b, v2
	s_mov_b32 s7, 0xbfb8aa3b
	v_rndne_f32_e32 v4, v3
	v_sub_f32_e32 v5, v3, v4
	v_fma_f32 v3, v2, s7, -v3
	v_fmamk_f32 v3, v2, 0xb2a5705f, v3
	v_add_f32_e32 v3, v5, v3
	v_exp_f32_e32 v3, v3
	v_cvt_i32_f32_e32 v4, v4
	s_mov_b32 s7, 0x42ce8ed0
	v_cmp_nlt_f32_e32 vcc, s7, v2
	s_mov_b32 s7, 0xc2b17218
	v_ldexp_f32 v3, v3, v4
	v_cndmask_b32_e32 v3, 0, v3, vcc
	v_mov_b32_e32 v4, 0x7f800000
	v_cmp_ngt_f32_e32 vcc, s7, v2
	s_nop 1
	v_cndmask_b32_e32 v3, v4, v3, vcc
	v_add_f32_e32 v3, 1.0, v3
	v_div_scale_f32 v4, s[8:9], v3, v3, v2
	v_rcp_f32_e32 v5, v4
	s_nop 0
	v_fma_f32 v6, -v4, v5, 1.0
	v_fmac_f32_e32 v5, v6, v5
	v_div_scale_f32 v6, vcc, v2, v3, v2
	v_mul_f32_e32 v7, v6, v5
	v_fma_f32 v8, -v4, v7, v6
	v_fmac_f32_e32 v7, v8, v5
	v_fma_f32 v4, -v4, v7, v6
	v_div_fmas_f32 v4, v4, v5, v7
	v_div_fixup_f32 v3, v4, v3, v2
	v_mul_f32_e32 v3, v1, v3
.LBB217_49:
	s_branch .LBB217_51
.LBB217_50:
	s_cmp_lg_u32 s15, 1
	s_mov_b64 s[0:1], -1
	s_cselect_b64 s[4:5], -1, 0
                                        ; implicit-def: $vgpr3
.LBB217_51:
	s_andn2_b64 vcc, exec, s[4:5]
	s_cbranch_vccz .LBB217_53
; %bb.52:
	s_andn2_b64 vcc, exec, s[0:1]
	s_cbranch_vccz .LBB217_54
	s_branch .LBB217_59
.LBB217_53:
	v_mul_f32_e32 v3, v1, v2
	s_cbranch_execnz .LBB217_59
.LBB217_54:
	v_mul_f32_e32 v4, 0x3d372713, v2
	v_mul_f32_e32 v3, 0x3f4c422a, v2
	v_fma_f32 v4, v2, v4, 1.0
	v_mul_f32_e32 v3, v3, v4
	s_mov_b32 s0, 0x3f200000
	v_cmp_nlt_f32_e64 s[0:1], |v3|, s0
                                        ; implicit-def: $vgpr4
	s_and_saveexec_b64 s[4:5], s[0:1]
	s_xor_b64 s[0:1], exec, s[4:5]
	s_cbranch_execz .LBB217_56
; %bb.55:
	v_add_f32_e64 v4, |v3|, |v3|
	v_mul_f32_e32 v5, 0x3fb8aa3b, v4
	s_mov_b32 s4, 0x3fb8aa3b
	v_rndne_f32_e32 v6, v5
	v_sub_f32_e32 v7, v5, v6
	v_fma_f32 v5, v4, s4, -v5
	v_fmamk_f32 v5, v4, 0x32a5705f, v5
	v_add_f32_e32 v5, v7, v5
	v_exp_f32_e32 v5, v5
	v_cvt_i32_f32_e32 v6, v6
	s_mov_b32 s4, 0xc2ce8ed0
	v_cmp_ngt_f32_e32 vcc, s4, v4
	s_mov_b32 s4, 0x42b17218
	v_ldexp_f32 v5, v5, v6
	v_cndmask_b32_e32 v5, 0, v5, vcc
	v_mov_b32_e32 v6, 0x7f800000
	v_cmp_nlt_f32_e32 vcc, s4, v4
	s_nop 1
	v_cndmask_b32_e32 v4, v6, v5, vcc
	v_add_f32_e32 v4, 1.0, v4
	v_rcp_f32_e32 v4, v4
	s_nop 0
	v_fma_f32 v4, v4, -2.0, 1.0
.LBB217_56:
	s_andn2_saveexec_b64 s[0:1], s[0:1]
; %bb.57:
	v_mul_f32_e32 v4, v3, v3
	v_mov_b32_e32 v5, 0x3ca908c9
	v_fmac_f32_e32 v5, 0xbbbac73d, v4
	v_fmaak_f32 v5, v4, v5, 0xbd5c1c4e
	v_fmaak_f32 v5, v4, v5, 0x3e088382
	;; [unrolled: 1-line block ×3, first 2 shown]
	v_mul_f32_e64 v5, |v3|, v5
	v_fma_f32 v4, v4, v5, |v3|
; %bb.58:
	s_or_b64 exec, exec, s[0:1]
	s_brev_b32 s0, -2
	v_bfi_b32 v3, s0, v4, v3
	v_mul_f32_e32 v2, 0.5, v2
	v_add_f32_e32 v3, 1.0, v3
	v_mul_f32_e32 v2, v2, v3
	v_mul_f32_e32 v3, v1, v2
.LBB217_59:
	v_mov_b32_e32 v1, v3
.LBB217_60:
	s_load_dwordx2 s[0:1], s[2:3], 0x38
	s_mul_i32 s4, s14, s26
	s_mul_i32 s6, s6, s30
	s_add_i32 s2, s4, s20
	s_add_i32 s2, s2, s6
	s_mov_b32 s3, 0
	s_lshl_b64 s[2:3], s[2:3], 2
	s_waitcnt lgkmcnt(0)
	s_add_u32 s0, s0, s2
	s_addc_u32 s1, s1, s3
	global_store_dword v0, v1, s[0:1]
.LBB217_61:
	s_endpgm
	.section	.rodata,"a",@progbits
	.p2align	6, 0x0
	.amdhsa_kernel _ZL13mul_mat_vec_qIL9ggml_type29ELi1ELb1ELb1EEvPKvS2_PKi31ggml_cuda_mm_fusion_args_devicePfj15HIP_vector_typeIjLj3EEjjjS8_jjjS8_jjjj
		.amdhsa_group_segment_fixed_size 3072
		.amdhsa_private_segment_fixed_size 0
		.amdhsa_kernarg_size 144
		.amdhsa_user_sgpr_count 4
		.amdhsa_user_sgpr_dispatch_ptr 1
		.amdhsa_user_sgpr_queue_ptr 0
		.amdhsa_user_sgpr_kernarg_segment_ptr 1
		.amdhsa_user_sgpr_dispatch_id 0
		.amdhsa_user_sgpr_kernarg_preload_length 0
		.amdhsa_user_sgpr_kernarg_preload_offset 0
		.amdhsa_user_sgpr_private_segment_size 0
		.amdhsa_uses_dynamic_stack 0
		.amdhsa_enable_private_segment 0
		.amdhsa_system_sgpr_workgroup_id_x 1
		.amdhsa_system_sgpr_workgroup_id_y 1
		.amdhsa_system_sgpr_workgroup_id_z 1
		.amdhsa_system_sgpr_workgroup_info 0
		.amdhsa_system_vgpr_workitem_id 2
		.amdhsa_next_free_vgpr 67
		.amdhsa_next_free_sgpr 46
		.amdhsa_accum_offset 68
		.amdhsa_reserve_vcc 1
		.amdhsa_float_round_mode_32 0
		.amdhsa_float_round_mode_16_64 0
		.amdhsa_float_denorm_mode_32 3
		.amdhsa_float_denorm_mode_16_64 3
		.amdhsa_dx10_clamp 1
		.amdhsa_ieee_mode 1
		.amdhsa_fp16_overflow 0
		.amdhsa_tg_split 0
		.amdhsa_exception_fp_ieee_invalid_op 0
		.amdhsa_exception_fp_denorm_src 0
		.amdhsa_exception_fp_ieee_div_zero 0
		.amdhsa_exception_fp_ieee_overflow 0
		.amdhsa_exception_fp_ieee_underflow 0
		.amdhsa_exception_fp_ieee_inexact 0
		.amdhsa_exception_int_div_zero 0
	.end_amdhsa_kernel
	.section	.text._ZL13mul_mat_vec_qIL9ggml_type29ELi1ELb1ELb1EEvPKvS2_PKi31ggml_cuda_mm_fusion_args_devicePfj15HIP_vector_typeIjLj3EEjjjS8_jjjS8_jjjj,"axG",@progbits,_ZL13mul_mat_vec_qIL9ggml_type29ELi1ELb1ELb1EEvPKvS2_PKi31ggml_cuda_mm_fusion_args_devicePfj15HIP_vector_typeIjLj3EEjjjS8_jjjS8_jjjj,comdat
.Lfunc_end217:
	.size	_ZL13mul_mat_vec_qIL9ggml_type29ELi1ELb1ELb1EEvPKvS2_PKi31ggml_cuda_mm_fusion_args_devicePfj15HIP_vector_typeIjLj3EEjjjS8_jjjS8_jjjj, .Lfunc_end217-_ZL13mul_mat_vec_qIL9ggml_type29ELi1ELb1ELb1EEvPKvS2_PKi31ggml_cuda_mm_fusion_args_devicePfj15HIP_vector_typeIjLj3EEjjjS8_jjjS8_jjjj
                                        ; -- End function
	.section	.AMDGPU.csdata,"",@progbits
; Kernel info:
; codeLenInByte = 5224
; NumSgprs: 52
; NumVgprs: 67
; NumAgprs: 0
; TotalNumVgprs: 67
; ScratchSize: 0
; MemoryBound: 0
; FloatMode: 240
; IeeeMode: 1
; LDSByteSize: 3072 bytes/workgroup (compile time only)
; SGPRBlocks: 6
; VGPRBlocks: 8
; NumSGPRsForWavesPerEU: 52
; NumVGPRsForWavesPerEU: 67
; AccumOffset: 68
; Occupancy: 7
; WaveLimiterHint : 0
; COMPUTE_PGM_RSRC2:SCRATCH_EN: 0
; COMPUTE_PGM_RSRC2:USER_SGPR: 4
; COMPUTE_PGM_RSRC2:TRAP_HANDLER: 0
; COMPUTE_PGM_RSRC2:TGID_X_EN: 1
; COMPUTE_PGM_RSRC2:TGID_Y_EN: 1
; COMPUTE_PGM_RSRC2:TGID_Z_EN: 1
; COMPUTE_PGM_RSRC2:TIDIG_COMP_CNT: 2
; COMPUTE_PGM_RSRC3_GFX90A:ACCUM_OFFSET: 16
; COMPUTE_PGM_RSRC3_GFX90A:TG_SPLIT: 0
	.section	.text._ZL13mul_mat_vec_qIL9ggml_type29ELi1ELb0ELb1EEvPKvS2_PKi31ggml_cuda_mm_fusion_args_devicePfj15HIP_vector_typeIjLj3EEjjjS8_jjjS8_jjjj,"axG",@progbits,_ZL13mul_mat_vec_qIL9ggml_type29ELi1ELb0ELb1EEvPKvS2_PKi31ggml_cuda_mm_fusion_args_devicePfj15HIP_vector_typeIjLj3EEjjjS8_jjjS8_jjjj,comdat
	.globl	_ZL13mul_mat_vec_qIL9ggml_type29ELi1ELb0ELb1EEvPKvS2_PKi31ggml_cuda_mm_fusion_args_devicePfj15HIP_vector_typeIjLj3EEjjjS8_jjjS8_jjjj ; -- Begin function _ZL13mul_mat_vec_qIL9ggml_type29ELi1ELb0ELb1EEvPKvS2_PKi31ggml_cuda_mm_fusion_args_devicePfj15HIP_vector_typeIjLj3EEjjjS8_jjjS8_jjjj
	.p2align	8
	.type	_ZL13mul_mat_vec_qIL9ggml_type29ELi1ELb0ELb1EEvPKvS2_PKi31ggml_cuda_mm_fusion_args_devicePfj15HIP_vector_typeIjLj3EEjjjS8_jjjS8_jjjj,@function
_ZL13mul_mat_vec_qIL9ggml_type29ELi1ELb0ELb1EEvPKvS2_PKi31ggml_cuda_mm_fusion_args_devicePfj15HIP_vector_typeIjLj3EEjjjS8_jjjS8_jjjj: ; @_ZL13mul_mat_vec_qIL9ggml_type29ELi1ELb0ELb1EEvPKvS2_PKi31ggml_cuda_mm_fusion_args_devicePfj15HIP_vector_typeIjLj3EEjjjS8_jjjS8_jjjj
; %bb.0:
	s_load_dwordx2 s[8:9], s[2:3], 0x10
	s_load_dwordx4 s[16:19], s[2:3], 0x40
	s_mov_b32 s20, s5
	s_mov_b64 s[14:15], 0
	s_waitcnt lgkmcnt(0)
	s_cmp_lg_u64 s[8:9], 0
	s_cselect_b64 s[12:13], -1, 0
	s_cmp_eq_u64 s[8:9], 0
	s_cbranch_scc1 .LBB218_5
; %bb.1:
	s_mov_b32 s21, 0
	s_lshl_b64 s[10:11], s[20:21], 2
	s_add_u32 s8, s8, s10
	s_addc_u32 s9, s9, s11
	s_load_dword s21, s[8:9], 0x0
	s_nop 0
	s_load_dwordx4 s[8:11], s[2:3], 0x68
	s_load_dword s5, s[2:3], 0x50
	s_andn2_b64 vcc, exec, s[14:15]
	s_cbranch_vccnz .LBB218_3
.LBB218_2:
	s_load_dwordx2 s[14:15], s[2:3], 0x5c
	s_waitcnt lgkmcnt(0)
	s_mul_hi_u32 s7, s14, s20
	s_add_i32 s7, s20, s7
	s_lshr_b32 s21, s7, s15
.LBB218_3:
	s_load_dword s22, s[2:3], 0x78
	s_andn2_b64 vcc, exec, s[12:13]
	s_cbranch_vccnz .LBB218_6
; %bb.4:
	s_mul_hi_u32 s7, s17, s20
	s_add_i32 s7, s20, s7
	s_lshr_b32 s7, s7, s18
	s_mul_i32 s7, s7, s19
	s_sub_i32 s23, s20, s7
	s_branch .LBB218_7
.LBB218_5:
                                        ; implicit-def: $sgpr21
	s_load_dwordx4 s[8:11], s[2:3], 0x68
	s_load_dword s5, s[2:3], 0x50
	s_branch .LBB218_2
.LBB218_6:
	s_mov_b32 s23, s20
.LBB218_7:
	s_load_dwordx2 s[18:19], s[0:1], 0x4
	s_load_dwordx4 s[12:15], s[2:3], 0x80
	v_bfe_u32 v24, v0, 10, 10
	v_and_b32_e32 v23, 0x3ff, v0
	v_bfe_u32 v0, v0, 20, 10
	s_waitcnt lgkmcnt(0)
	s_lshr_b32 s0, s18, 16
	v_mul_u32_u24_e32 v1, s19, v24
	s_mul_i32 s0, s0, s19
	v_mad_u32_u24 v1, s0, v23, v1
	v_add_lshl_u32 v1, v1, v0, 3
	v_lshl_add_u32 v0, v24, 6, v23
	s_lshr_b32 s15, s16, 8
	v_lshrrev_b32_e32 v25, 3, v0
	v_add_u32_e32 v22, 0x200, v1
	s_lshl_b32 s7, s4, 1
	v_mov_b32_e32 v13, 0
	v_cmp_gt_u32_e32 vcc, s15, v25
	v_mov_b32_e32 v12, 0
	ds_write2_b32 v1, v13, v13 offset0:128 offset1:129
	s_and_saveexec_b64 s[0:1], vcc
	s_cbranch_execz .LBB218_11
; %bb.8:
	s_mul_i32 s4, s23, s9
	s_mul_hi_u32 s9, s11, s6
	s_add_i32 s9, s6, s9
	s_lshr_b32 s9, s9, s22
	s_mul_i32 s8, s21, s8
	s_mul_i32 s9, s9, s12
	s_mul_i32 s11, s7, s5
	s_add_i32 s8, s9, s8
	s_add_i32 s9, s8, s11
	;; [unrolled: 1-line block ×3, first 2 shown]
	s_mul_i32 s5, s5, s11
	s_load_dwordx4 s[16:19], s[2:3], 0x0
	v_and_b32_e32 v1, 1, v23
	s_add_i32 s11, s8, s5
	s_mul_hi_u32 s5, s4, 36
	s_mul_i32 s4, s4, 36
	v_cmp_eq_u32_e32 vcc, 1, v1
	v_lshrrev_b32_e32 v3, 3, v0
	v_mov_b32_e32 v0, s4
	v_mov_b32_e32 v1, s5
	s_movk_i32 s4, 0x120
	s_mul_i32 s13, s6, s13
	v_mad_u64_u32 v[0:1], s[4:5], v3, s4, v[0:1]
	v_and_b32_e32 v2, 7, v23
	v_mad_u64_u32 v[0:1], s[4:5], s13, 36, v[0:1]
	v_mad_u64_u32 v[0:1], s[4:5], v2, 36, v[0:1]
	v_mov_b32_e32 v9, 0
	v_bfe_u32 v4, v23, 1, 2
	v_cndmask_b32_e64 v10, 0, 6, vcc
	s_waitcnt lgkmcnt(0)
	v_lshl_add_u64 v[0:1], v[0:1], 0, s[18:19]
	s_mov_b32 s12, 0xbf600000
	v_lshlrev_b32_e32 v8, 1, v2
	v_mov_b32_e32 v11, v10
	v_lshl_add_u64 v[14:15], v[0:1], 0, 16
	s_mov_b64 s[4:5], 0
	v_lshlrev_b32_e32 v16, 2, v2
	s_movk_i32 s21, 0x700
	v_lshlrev_b32_e32 v18, 1, v4
	s_mov_b32 s8, 0x3d000000
	v_mov_b64_e32 v[20:21], s[12:13]
	s_mov_b32 s22, 0x5040100
	s_mov_b32 s23, 0x7060302
	;; [unrolled: 1-line block ×3, first 2 shown]
	s_mov_b64 s[12:13], 0x1200
	v_mov_b32_e32 v17, v9
	v_mov_b32_e32 v26, 8
	;; [unrolled: 1-line block ×6, first 2 shown]
.LBB218_9:                              ; =>This Inner Loop Header: Depth=1
	global_load_dword v48, v[14:15], off offset:16
	global_load_dwordx4 v[4:7], v[14:15], off offset:-16
	global_load_dwordx4 v[0:3], v[14:15], off
	v_add_u32_e32 v28, s9, v25
	v_add_u32_e32 v30, s11, v25
	v_mad_i64_i32 v[28:29], s[26:27], v28, 56, s[16:17]
	v_mad_i64_i32 v[30:31], s[26:27], v30, 56, s[16:17]
	v_lshl_add_u64 v[32:33], v[28:29], 0, v[16:17]
	v_lshl_add_u64 v[34:35], v[28:29], 0, v[8:9]
	;; [unrolled: 1-line block ×6, first 2 shown]
	global_load_dword v57, v[32:33], off
	global_load_ushort v58, v[34:35], off offset:32
	global_load_ushort v59, v[36:37], off offset:48
	global_load_dwordx2 v[44:45], v[28:29], off offset:48
	global_load_ushort v60, v[40:41], off offset:32
	global_load_ushort v61, v[42:43], off offset:48
	global_load_dwordx2 v[46:47], v[30:31], off offset:48
	global_load_dword v62, v[38:39], off
	v_mov_b32_e32 v49, 0
	v_mov_b32_e32 v51, 0
	v_mov_b32_e32 v50, 0
	v_mov_b32_e32 v52, 0
	s_getpc_b64 s[18:19]
	s_add_u32 s18, s18, _ZL13iq1s_grid_gpu@rel32@lo+4
	s_addc_u32 s19, s19, _ZL13iq1s_grid_gpu@rel32@hi+12
	v_mov_b32_e32 v53, 0
	v_mov_b32_e32 v54, 0
	;; [unrolled: 1-line block ×4, first 2 shown]
	v_add_u32_e32 v25, 16, v25
	v_cmp_le_u32_e32 vcc, s15, v25
	v_lshl_add_u64 v[14:15], v[14:15], 0, s[12:13]
	s_or_b64 s[4:5], vcc, s[4:5]
	s_waitcnt vmcnt(9)
	v_dot4c_i32_i8_e32 v49, 0x1010101, v5
	v_dot4c_i32_i8_e32 v49, 0x1010101, v6
	s_waitcnt vmcnt(8)
	v_dot4c_i32_i8_e32 v51, 0x1010101, v1
	v_dot4c_i32_i8_e32 v51, 0x1010101, v2
	;; [unrolled: 1-line block ×3, first 2 shown]
	v_cvt_f32_i32_e32 v28, v49
	v_dot4c_i32_i8_e32 v52, 0x1010101, v3
	v_cvt_f32_i32_e32 v32, v51
	s_waitcnt vmcnt(6)
	v_and_b32_e32 v29, 8, v58
	v_cvt_f32_ubyte0_e32 v36, v29
	v_lshrrev_b32_e32 v31, 24, v57
	s_waitcnt vmcnt(3)
	v_and_b32_e32 v33, 8, v60
	v_cvt_f32_ubyte0_e32 v37, v33
	v_pk_fma_f32 v[36:37], v[36:37], s[8:9], v[20:21] op_sel_hi:[1,0,0] neg_lo:[1,0,0] neg_hi:[1,0,0]
	v_and_b32_sdwa v33, v58, v26 dst_sel:DWORD dst_unused:UNUSED_PAD src0_sel:BYTE_1 src1_sel:DWORD
	v_pk_fma_f32 v[28:29], v[36:37], v[28:29], 0 op_sel_hi:[1,0,0]
	v_and_b32_sdwa v36, v60, v26 dst_sel:DWORD dst_unused:UNUSED_PAD src0_sel:BYTE_1 src1_sel:DWORD
	v_cvt_f32_ubyte0_e32 v37, v36
	v_cvt_f32_ubyte0_e32 v36, v33
	v_pk_fma_f32 v[36:37], v[36:37], s[8:9], v[20:21] op_sel_hi:[1,0,0] neg_lo:[1,0,0] neg_hi:[1,0,0]
	s_waitcnt vmcnt(1)
	v_perm_b32 v40, v46, v44, s22
	v_perm_b32 v41, v46, v44, s23
	v_perm_b32 v42, v47, v45, s22
	v_perm_b32 v43, v47, v45, s23
	v_bfe_u32 v44, v57, 8, 8
	v_lshlrev_b32_e32 v45, 4, v58
	v_bfe_u32 v46, v57, 16, 8
	v_pk_fma_f32 v[32:33], v[36:37], v[32:33], 0 op_sel_hi:[1,0,0]
	v_lshlrev_b32_sdwa v36, v26, v58 dst_sel:DWORD dst_unused:UNUSED_PAD src0_sel:DWORD src1_sel:BYTE_1
	v_lshlrev_b32_sdwa v37, v27, v58 dst_sel:DWORD dst_unused:UNUSED_PAD src0_sel:DWORD src1_sel:BYTE_1
	v_and_or_b32 v44, v45, s21, v44
	s_waitcnt vmcnt(0)
	v_and_b32_e32 v45, 0xff, v62
	v_and_or_b32 v36, v36, s21, v46
	v_lshlrev_b32_e32 v46, 8, v60
	v_and_or_b32 v31, v37, s21, v31
	v_bfe_u32 v37, v62, 8, 8
	v_and_or_b32 v45, v46, s21, v45
	v_lshlrev_b32_e32 v46, 4, v60
	v_and_b32_e32 v35, 0xff, v57
	v_lshlrev_b32_e32 v38, 8, v58
	v_bfe_u32 v47, v62, 16, 8
	v_and_or_b32 v37, v46, s21, v37
	v_lshlrev_b32_sdwa v46, v26, v60 dst_sel:DWORD dst_unused:UNUSED_PAD src0_sel:DWORD src1_sel:BYTE_1
	v_and_or_b32 v35, v38, s21, v35
	v_lshrrev_b32_e32 v38, 24, v62
	v_and_or_b32 v46, v46, s21, v47
	v_lshlrev_b32_sdwa v47, v27, v60 dst_sel:DWORD dst_unused:UNUSED_PAD src0_sel:DWORD src1_sel:BYTE_1
	v_dot4c_i32_i8_e32 v50, 0x1010101, v0
	v_dot4c_i32_i8_e32 v52, 0x1010101, v48
	v_and_or_b32 v38, v47, s21, v38
	v_lshlrev_b32_e32 v35, 2, v35
	v_cvt_f32_i32_e32 v30, v50
	v_cvt_f32_i32_e32 v34, v52
	v_lshlrev_b32_e32 v44, 2, v44
	v_lshlrev_b32_e32 v36, 2, v36
	;; [unrolled: 1-line block ×7, first 2 shown]
	global_load_dword v47, v35, s[18:19]
	global_load_dword v49, v44, s[18:19]
	;; [unrolled: 1-line block ×8, first 2 shown]
	v_lshrrev_b32_sdwa v36, v27, v60 dst_sel:DWORD dst_unused:UNUSED_PAD src0_sel:DWORD src1_sel:BYTE_1
	v_lshrrev_b32_e32 v39, 4, v58
	v_lshrrev_b32_sdwa v31, v27, v58 dst_sel:DWORD dst_unused:UNUSED_PAD src0_sel:DWORD src1_sel:BYTE_1
	v_lshrrev_b32_e32 v35, 4, v60
	v_and_b32_e32 v44, 8, v36
	v_pk_lshrrev_b16 v36, 12, v40 op_sel_hi:[0,1]
	v_pk_lshrrev_b16 v40, 8, v41 op_sel_hi:[0,1]
	;; [unrolled: 1-line block ×3, first 2 shown]
	v_lshrrev_b32_e32 v37, v10, v59
	v_lshrrev_b32_e32 v38, v11, v61
	v_and_b32_e32 v39, 8, v39
	v_and_b32_e32 v35, 8, v35
	v_and_b32_e32 v31, 8, v31
	v_and_b32_e32 v42, 0xf000f000, v43
	v_and_or_b32 v36, v40, s24, v36
	v_and_b32_e32 v41, 0xf000f00, v41
	v_lshlrev_b32_e32 v40, 1, v38
	v_or3_b32 v45, v36, v41, v42
	v_lshlrev_b32_e32 v41, 1, v37
	v_lshrrev_b32_e32 v42, 2, v38
	v_lshrrev_b32_e32 v43, 2, v37
	v_cvt_f32_ubyte0_e32 v37, v35
	v_cvt_f32_ubyte0_e32 v36, v39
	;; [unrolled: 1-line block ×4, first 2 shown]
	v_and_or_b32 v31, v41, 14, 1
	v_and_or_b32 v35, v40, 14, 1
	;; [unrolled: 1-line block ×4, first 2 shown]
	v_pk_fma_f32 v[36:37], v[36:37], s[8:9], v[20:21] op_sel_hi:[1,0,0] neg_lo:[1,0,0] neg_hi:[1,0,0]
	v_pk_fma_f32 v[38:39], v[38:39], s[8:9], v[20:21] op_sel_hi:[1,0,0] neg_lo:[1,0,0] neg_hi:[1,0,0]
	v_cvt_f32_ubyte0_e32 v41, v35
	v_cvt_f32_ubyte0_e32 v40, v31
	;; [unrolled: 1-line block ×4, first 2 shown]
	v_pk_fma_f32 v[28:29], v[36:37], v[30:31], v[28:29] op_sel_hi:[1,0,1]
	v_pk_fma_f32 v[30:31], v[38:39], v[34:35], v[32:33] op_sel_hi:[1,0,1]
	v_cvt_f32_f16_e32 v32, v45
	v_cvt_f32_f16_sdwa v33, v45 dst_sel:DWORD dst_unused:UNUSED_PAD src0_sel:WORD_1
	v_cvt_f32_f16_e32 v4, v4
	s_waitcnt vmcnt(7)
	v_and_b32_e32 v34, 0xf0f0f0f, v47
	v_lshrrev_b32_e32 v35, 4, v47
	s_waitcnt vmcnt(6)
	v_lshrrev_b32_e32 v37, 4, v49
	s_waitcnt vmcnt(5)
	v_and_b32_e32 v38, 0xf0f0f0f, v50
	v_lshrrev_b32_e32 v39, 4, v50
	s_waitcnt vmcnt(4)
	v_and_b32_e32 v44, 0xf0f0f0f, v51
	;; [unrolled: 3-line block ×4, first 2 shown]
	v_lshrrev_b32_e32 v52, 4, v62
	v_dot4c_i32_i8_e32 v53, v34, v5
	v_and_b32_e32 v34, 0xf0f0f0f, v37
	v_and_b32_e32 v37, 0xf0f0f0f, v39
	v_dot4c_i32_i8_e32 v54, v38, v1
	v_and_b32_e32 v38, 0xf0f0f0f, v45
	v_and_b32_e32 v45, 0xf0f0f0f, v52
	;; [unrolled: 3-line block ×3, first 2 shown]
	v_lshrrev_b32_e32 v50, 4, v57
	s_waitcnt vmcnt(0)
	v_and_b32_e32 v57, 0xf0f0f0f, v63
	v_lshrrev_b32_e32 v58, 4, v63
	v_and_b32_e32 v35, 0xf0f0f0f, v35
	v_and_b32_e32 v39, 0xf0f0f0f, v47
	v_dot4c_i32_i8_e32 v55, v46, v5
	v_dot4c_i32_i8_e32 v54, v37, v2
	;; [unrolled: 1-line block ×3, first 2 shown]
	v_and_b32_e32 v1, 0xf0f0f0f, v58
	v_dot4c_i32_i8_e32 v53, v35, v6
	v_dot4c_i32_i8_e32 v55, v39, v6
	;; [unrolled: 1-line block ×4, first 2 shown]
	v_and_b32_e32 v5, 0xf0f0f0f, v50
	v_dot4c_i32_i8_e32 v53, v36, v7
	v_dot4c_i32_i8_e32 v55, v49, v7
	;; [unrolled: 1-line block ×6, first 2 shown]
	v_cvt_f32_i32_e32 v2, v54
	v_cvt_f32_i32_e32 v3, v56
	v_cvt_f32_i32_e32 v0, v53
	v_cvt_f32_i32_e32 v1, v55
	v_pk_mul_f32 v[4:5], v[4:5], v[32:33] op_sel_hi:[0,1]
	v_pk_add_f32 v[2:3], v[30:31], v[2:3]
	v_pk_add_f32 v[0:1], v[28:29], v[0:1]
	v_pk_mul_f32 v[2:3], v[2:3], v[42:43]
	s_nop 0
	v_pk_fma_f32 v[0:1], v[0:1], v[40:41], v[2:3]
	s_nop 0
	v_pk_fma_f32 v[12:13], v[4:5], v[0:1], v[12:13]
	s_andn2_b64 exec, exec, s[4:5]
	s_cbranch_execnz .LBB218_9
; %bb.10:
	s_or_b64 exec, exec, s[4:5]
	ds_write2_b32 v22, v12, v13 offset1:1
.LBB218_11:
	s_or_b64 exec, exec, s[0:1]
	v_cmp_eq_u32_e32 vcc, 0, v24
	v_cmp_ne_u32_e64 s[0:1], 0, v24
	v_lshlrev_b32_e32 v0, 2, v23
	s_and_saveexec_b64 s[4:5], s[0:1]
	s_cbranch_execz .LBB218_13
; %bb.12:
	v_lshl_or_b32 v1, v24, 9, v0
	v_add_u32_e32 v1, 0xfffffe00, v1
	ds_write2st64_b32 v1, v12, v13 offset1:1
.LBB218_13:
	s_or_b64 exec, exec, s[4:5]
	s_waitcnt lgkmcnt(0)
	s_barrier
	s_and_saveexec_b64 s[0:1], vcc
	s_cbranch_execz .LBB218_16
; %bb.14:
	v_mbcnt_lo_u32_b32 v1, -1, 0
	v_mbcnt_hi_u32_b32 v1, -1, v1
	v_and_b32_e32 v2, 64, v1
	v_add_u32_e32 v6, 64, v2
	ds_read2st64_b32 v[2:3], v0 offset1:1
	ds_read2_b32 v[4:5], v22 offset1:1
	v_xor_b32_e32 v7, 32, v1
	v_cmp_lt_i32_e32 vcc, v7, v6
	s_load_dword s0, s[2:3], 0x58
	s_mov_b32 s5, 0
	v_cndmask_b32_e32 v7, v1, v7, vcc
	v_lshlrev_b32_e32 v7, 2, v7
	s_waitcnt lgkmcnt(0)
	v_pk_add_f32 v[2:3], v[2:3], v[4:5]
	ds_bpermute_b32 v4, v7, v2
	ds_bpermute_b32 v5, v7, v3
	v_xor_b32_e32 v7, 16, v1
	v_cmp_lt_i32_e32 vcc, v7, v6
	s_waitcnt lgkmcnt(0)
	v_pk_add_f32 v[2:3], v[2:3], v[4:5]
	v_cndmask_b32_e32 v7, v1, v7, vcc
	v_lshlrev_b32_e32 v7, 2, v7
	ds_bpermute_b32 v4, v7, v2
	ds_bpermute_b32 v5, v7, v3
	v_xor_b32_e32 v7, 8, v1
	v_cmp_lt_i32_e32 vcc, v7, v6
	s_waitcnt lgkmcnt(0)
	v_pk_add_f32 v[2:3], v[2:3], v[4:5]
	v_cndmask_b32_e32 v7, v1, v7, vcc
	v_lshlrev_b32_e32 v7, 2, v7
	;; [unrolled: 8-line block ×5, first 2 shown]
	ds_bpermute_b32 v4, v1, v2
	ds_bpermute_b32 v5, v1, v3
	v_or_b32_e32 v1, s7, v23
	v_cmp_gt_u32_e32 vcc, 2, v23
	v_cmp_gt_u32_e64 s[0:1], s0, v1
	s_and_b64 s[0:1], vcc, s[0:1]
	s_waitcnt lgkmcnt(0)
	v_pk_add_f32 v[2:3], v[2:3], v[4:5]
	ds_write2_b32 v22, v2, v3 offset1:1
	s_and_b64 exec, exec, s[0:1]
	s_cbranch_execz .LBB218_16
; %bb.15:
	s_load_dwordx2 s[0:1], s[2:3], 0x38
	s_mul_i32 s2, s20, s10
	v_add_u32_e32 v1, v22, v0
	s_add_i32 s2, s2, s7
	s_mul_i32 s6, s6, s14
	ds_read_b32 v1, v1
	s_add_i32 s4, s2, s6
	s_lshl_b64 s[2:3], s[4:5], 2
	s_waitcnt lgkmcnt(0)
	s_add_u32 s0, s0, s2
	s_addc_u32 s1, s1, s3
	global_store_dword v0, v1, s[0:1]
.LBB218_16:
	s_endpgm
	.section	.rodata,"a",@progbits
	.p2align	6, 0x0
	.amdhsa_kernel _ZL13mul_mat_vec_qIL9ggml_type29ELi1ELb0ELb1EEvPKvS2_PKi31ggml_cuda_mm_fusion_args_devicePfj15HIP_vector_typeIjLj3EEjjjS8_jjjS8_jjjj
		.amdhsa_group_segment_fixed_size 1536
		.amdhsa_private_segment_fixed_size 0
		.amdhsa_kernarg_size 144
		.amdhsa_user_sgpr_count 4
		.amdhsa_user_sgpr_dispatch_ptr 1
		.amdhsa_user_sgpr_queue_ptr 0
		.amdhsa_user_sgpr_kernarg_segment_ptr 1
		.amdhsa_user_sgpr_dispatch_id 0
		.amdhsa_user_sgpr_kernarg_preload_length 0
		.amdhsa_user_sgpr_kernarg_preload_offset 0
		.amdhsa_user_sgpr_private_segment_size 0
		.amdhsa_uses_dynamic_stack 0
		.amdhsa_enable_private_segment 0
		.amdhsa_system_sgpr_workgroup_id_x 1
		.amdhsa_system_sgpr_workgroup_id_y 1
		.amdhsa_system_sgpr_workgroup_id_z 1
		.amdhsa_system_sgpr_workgroup_info 0
		.amdhsa_system_vgpr_workitem_id 2
		.amdhsa_next_free_vgpr 64
		.amdhsa_next_free_sgpr 28
		.amdhsa_accum_offset 64
		.amdhsa_reserve_vcc 1
		.amdhsa_float_round_mode_32 0
		.amdhsa_float_round_mode_16_64 0
		.amdhsa_float_denorm_mode_32 3
		.amdhsa_float_denorm_mode_16_64 3
		.amdhsa_dx10_clamp 1
		.amdhsa_ieee_mode 1
		.amdhsa_fp16_overflow 0
		.amdhsa_tg_split 0
		.amdhsa_exception_fp_ieee_invalid_op 0
		.amdhsa_exception_fp_denorm_src 0
		.amdhsa_exception_fp_ieee_div_zero 0
		.amdhsa_exception_fp_ieee_overflow 0
		.amdhsa_exception_fp_ieee_underflow 0
		.amdhsa_exception_fp_ieee_inexact 0
		.amdhsa_exception_int_div_zero 0
	.end_amdhsa_kernel
	.section	.text._ZL13mul_mat_vec_qIL9ggml_type29ELi1ELb0ELb1EEvPKvS2_PKi31ggml_cuda_mm_fusion_args_devicePfj15HIP_vector_typeIjLj3EEjjjS8_jjjS8_jjjj,"axG",@progbits,_ZL13mul_mat_vec_qIL9ggml_type29ELi1ELb0ELb1EEvPKvS2_PKi31ggml_cuda_mm_fusion_args_devicePfj15HIP_vector_typeIjLj3EEjjjS8_jjjS8_jjjj,comdat
.Lfunc_end218:
	.size	_ZL13mul_mat_vec_qIL9ggml_type29ELi1ELb0ELb1EEvPKvS2_PKi31ggml_cuda_mm_fusion_args_devicePfj15HIP_vector_typeIjLj3EEjjjS8_jjjS8_jjjj, .Lfunc_end218-_ZL13mul_mat_vec_qIL9ggml_type29ELi1ELb0ELb1EEvPKvS2_PKi31ggml_cuda_mm_fusion_args_devicePfj15HIP_vector_typeIjLj3EEjjjS8_jjjS8_jjjj
                                        ; -- End function
	.section	.AMDGPU.csdata,"",@progbits
; Kernel info:
; codeLenInByte = 2352
; NumSgprs: 34
; NumVgprs: 64
; NumAgprs: 0
; TotalNumVgprs: 64
; ScratchSize: 0
; MemoryBound: 0
; FloatMode: 240
; IeeeMode: 1
; LDSByteSize: 1536 bytes/workgroup (compile time only)
; SGPRBlocks: 4
; VGPRBlocks: 7
; NumSGPRsForWavesPerEU: 34
; NumVGPRsForWavesPerEU: 64
; AccumOffset: 64
; Occupancy: 8
; WaveLimiterHint : 0
; COMPUTE_PGM_RSRC2:SCRATCH_EN: 0
; COMPUTE_PGM_RSRC2:USER_SGPR: 4
; COMPUTE_PGM_RSRC2:TRAP_HANDLER: 0
; COMPUTE_PGM_RSRC2:TGID_X_EN: 1
; COMPUTE_PGM_RSRC2:TGID_Y_EN: 1
; COMPUTE_PGM_RSRC2:TGID_Z_EN: 1
; COMPUTE_PGM_RSRC2:TIDIG_COMP_CNT: 2
; COMPUTE_PGM_RSRC3_GFX90A:ACCUM_OFFSET: 15
; COMPUTE_PGM_RSRC3_GFX90A:TG_SPLIT: 0
	.section	.text._ZL13mul_mat_vec_qIL9ggml_type29ELi1ELb1ELb0EEvPKvS2_PKi31ggml_cuda_mm_fusion_args_devicePfj15HIP_vector_typeIjLj3EEjjjS8_jjjS8_jjjj,"axG",@progbits,_ZL13mul_mat_vec_qIL9ggml_type29ELi1ELb1ELb0EEvPKvS2_PKi31ggml_cuda_mm_fusion_args_devicePfj15HIP_vector_typeIjLj3EEjjjS8_jjjS8_jjjj,comdat
	.globl	_ZL13mul_mat_vec_qIL9ggml_type29ELi1ELb1ELb0EEvPKvS2_PKi31ggml_cuda_mm_fusion_args_devicePfj15HIP_vector_typeIjLj3EEjjjS8_jjjS8_jjjj ; -- Begin function _ZL13mul_mat_vec_qIL9ggml_type29ELi1ELb1ELb0EEvPKvS2_PKi31ggml_cuda_mm_fusion_args_devicePfj15HIP_vector_typeIjLj3EEjjjS8_jjjS8_jjjj
	.p2align	8
	.type	_ZL13mul_mat_vec_qIL9ggml_type29ELi1ELb1ELb0EEvPKvS2_PKi31ggml_cuda_mm_fusion_args_devicePfj15HIP_vector_typeIjLj3EEjjjS8_jjjS8_jjjj,@function
_ZL13mul_mat_vec_qIL9ggml_type29ELi1ELb1ELb0EEvPKvS2_PKi31ggml_cuda_mm_fusion_args_devicePfj15HIP_vector_typeIjLj3EEjjjS8_jjjS8_jjjj: ; @_ZL13mul_mat_vec_qIL9ggml_type29ELi1ELb1ELb0EEvPKvS2_PKi31ggml_cuda_mm_fusion_args_devicePfj15HIP_vector_typeIjLj3EEjjjS8_jjjS8_jjjj
; %bb.0:
	s_load_dwordx8 s[16:23], s[0:1], 0x0
	s_load_dwordx4 s[36:39], s[0:1], 0x20
	s_load_dwordx4 s[8:11], s[0:1], 0x40
	;; [unrolled: 1-line block ×3, first 2 shown]
	s_mov_b32 s14, s3
	s_waitcnt lgkmcnt(0)
	s_cmp_lg_u64 s[20:21], 0
	s_cselect_b64 s[6:7], -1, 0
	s_cmp_eq_u64 s[20:21], 0
	s_mov_b64 s[12:13], 0
	s_cbranch_scc1 .LBB219_5
; %bb.1:
	s_mov_b32 s15, 0
	s_lshl_b64 s[28:29], s[14:15], 2
	s_add_u32 s20, s20, s28
	s_addc_u32 s21, s21, s29
	s_load_dword s5, s[20:21], 0x0
	s_load_dword s15, s[0:1], 0x50
	;; [unrolled: 1-line block ×3, first 2 shown]
	s_andn2_b64 vcc, exec, s[12:13]
	s_cbranch_vccnz .LBB219_3
.LBB219_2:
	s_load_dwordx2 s[12:13], s[0:1], 0x5c
	s_waitcnt lgkmcnt(0)
	s_mul_hi_u32 s3, s12, s14
	s_add_i32 s3, s14, s3
	s_lshr_b32 s5, s3, s13
.LBB219_3:
	s_andn2_b64 vcc, exec, s[6:7]
	s_cbranch_vccnz .LBB219_6
; %bb.4:
	s_mul_hi_u32 s3, s9, s14
	s_add_i32 s3, s14, s3
	s_lshr_b32 s3, s3, s10
	s_mul_i32 s3, s3, s11
	s_sub_i32 s34, s14, s3
	s_waitcnt lgkmcnt(0)
	s_mov_b32 s3, s5
	s_branch .LBB219_7
.LBB219_5:
                                        ; implicit-def: $sgpr5
	s_load_dword s15, s[0:1], 0x50
	s_load_dword s33, s[0:1], 0x78
	s_branch .LBB219_2
.LBB219_6:
	s_mov_b32 s3, s14
	s_mov_b32 s34, s14
.LBB219_7:
	s_load_dwordx4 s[28:31], s[0:1], 0x80
	v_bfe_u32 v24, v0, 10, 10
	v_and_b32_e32 v21, 0x3ff, v0
	s_cmp_lg_u64 s[22:23], 0
	v_or_b32_e32 v0, v24, v21
	s_cselect_b64 s[12:13], -1, 0
	v_cmp_eq_u32_e32 vcc, 0, v0
	s_mov_b32 s21, 0
	s_and_b64 s[40:41], vcc, s[12:13]
	v_mov_b32_e32 v22, 0
	s_mul_i32 s10, s3, s26
	v_lshlrev_b32_e32 v20, 2, v21
	v_mov_b32_e32 v23, 0
	s_and_saveexec_b64 s[6:7], s[40:41]
	s_cbranch_execz .LBB219_9
; %bb.8:
	s_waitcnt lgkmcnt(0)
	s_mul_i32 s20, s4, s30
	s_lshl_b64 s[40:41], s[20:21], 2
	s_add_u32 s3, s22, s40
	s_mov_b32 s11, s21
	s_addc_u32 s9, s23, s41
	s_lshl_b64 s[20:21], s[10:11], 2
	s_add_u32 s11, s3, s20
	s_addc_u32 s9, s9, s21
	s_ashr_i32 s3, s2, 31
	s_lshl_b64 s[20:21], s[2:3], 2
	s_add_u32 s20, s11, s20
	s_addc_u32 s21, s9, s21
	global_load_dword v23, v20, s[20:21]
.LBB219_9:
	s_or_b64 exec, exec, s[6:7]
	s_cmp_lg_u64 s[36:37], 0
	s_cselect_b64 s[20:21], -1, 0
	s_cmp_lg_u64 s[38:39], 0
	s_cselect_b64 s[6:7], -1, 0
	s_and_b64 s[22:23], s[6:7], s[20:21]
	s_and_b64 s[40:41], vcc, s[22:23]
	s_and_saveexec_b64 s[22:23], s[40:41]
	s_cbranch_execz .LBB219_11
; %bb.10:
	s_waitcnt lgkmcnt(0)
	s_mul_i32 s40, s4, s30
	s_mov_b32 s41, 0
	s_lshl_b64 s[42:43], s[40:41], 2
	s_add_u32 s3, s38, s42
	s_mov_b32 s11, s41
	s_addc_u32 s9, s39, s43
	s_lshl_b64 s[10:11], s[10:11], 2
	s_add_u32 s31, s3, s10
	s_addc_u32 s9, s9, s11
	s_ashr_i32 s3, s2, 31
	s_lshl_b64 s[10:11], s[2:3], 2
	s_add_u32 s10, s31, s10
	s_addc_u32 s11, s9, s11
	global_load_dword v22, v20, s[10:11]
.LBB219_11:
	s_or_b64 exec, exec, s[22:23]
	v_lshl_add_u32 v0, v24, 6, v21
	s_lshr_b32 s3, s8, 8
	v_lshrrev_b32_e32 v26, 3, v0
	v_cndmask_b32_e64 v1, 0, 1, s[20:21]
	v_cmp_gt_u32_e32 vcc, s3, v26
	v_mov_b32_e32 v27, 0
	v_cmp_ne_u32_e64 s[8:9], 1, v1
	v_mov_b32_e32 v25, 0
	s_and_saveexec_b64 s[10:11], vcc
	s_cbranch_execz .LBB219_17
; %bb.12:
	s_mul_hi_u32 s21, s27, s4
	s_add_i32 s21, s4, s21
	s_waitcnt lgkmcnt(0)
	s_lshr_b32 s21, s21, s33
	s_mul_i32 s5, s5, s24
	s_mul_i32 s21, s21, s28
	;; [unrolled: 1-line block ×4, first 2 shown]
	s_add_i32 s5, s21, s5
	v_and_b32_e32 v1, 1, v21
	s_add_i32 s5, s5, s15
	s_mul_hi_u32 s15, s20, 36
	s_mul_i32 s20, s20, 36
	v_cmp_eq_u32_e32 vcc, 1, v1
	v_lshrrev_b32_e32 v3, 3, v0
	v_mov_b32_e32 v0, s20
	v_mov_b32_e32 v1, s15
	s_movk_i32 s15, 0x120
	s_mul_i32 s22, s4, s29
	v_mad_u64_u32 v[0:1], s[20:21], v3, s15, v[0:1]
	v_and_b32_e32 v2, 7, v21
	v_mad_u64_u32 v[0:1], s[20:21], s22, 36, v[0:1]
	v_mad_u64_u32 v[0:1], s[20:21], v2, 36, v[0:1]
	v_mov_b32_e32 v9, 0
	v_bfe_u32 v4, v21, 1, 2
	v_lshl_add_u64 v[0:1], v[0:1], 0, s[18:19]
	v_lshlrev_b32_e32 v8, 1, v2
	v_cndmask_b32_e64 v28, 0, 6, vcc
	v_lshl_add_u64 v[10:11], v[0:1], 0, 16
	s_mov_b64 s[18:19], 0
	v_lshlrev_b32_e32 v12, 2, v2
	s_mov_b32 s15, 0x40008
	s_movk_i32 s21, 0xf000
	v_lshlrev_b32_e32 v14, 1, v4
	s_movk_i32 s23, 0x700
	s_mov_b32 s20, 0x3d000000
	s_mov_b32 s22, 0xbf600000
	s_mov_b64 s[24:25], 0x1200
	v_mov_b32_e32 v13, v9
	v_mov_b32_e32 v15, v9
	;; [unrolled: 1-line block ×5, first 2 shown]
	s_branch .LBB219_14
.LBB219_13:                             ;   in Loop: Header=BB219_14 Depth=1
	s_waitcnt vmcnt(3)
	v_and_b32_e32 v41, 0xf0f0f0f, v38
	v_lshrrev_b32_e32 v38, 4, v38
	v_mov_b32_e32 v42, 0
	v_and_b32_e32 v38, 0xf0f0f0f, v38
	v_dot4c_i32_i8_e32 v42, v41, v5
	v_dot4c_i32_i8_e32 v42, v38, v6
	s_waitcnt vmcnt(2)
	v_and_b32_e32 v5, 0xf0f0f0f, v37
	v_lshrrev_b32_e32 v6, 4, v37
	v_and_b32_e32 v6, 0xf0f0f0f, v6
	v_dot4c_i32_i8_e32 v42, v5, v7
	v_dot4c_i32_i8_e32 v42, v6, v0
	s_waitcnt vmcnt(1)
	v_and_b32_e32 v0, 0xf0f0f0f, v36
	v_lshrrev_b32_e32 v5, 4, v36
	v_mov_b32_e32 v36, 0
	v_and_b32_e32 v35, 0xf0f, v35
	v_and_b32_e32 v5, 0xf0f0f0f, v5
	v_dot4c_i32_i8_e32 v36, v0, v1
	v_lshrrev_b16_sdwa v39, v29, v35 dst_sel:DWORD dst_unused:UNUSED_PAD src0_sel:DWORD src1_sel:WORD_0
	v_dot4c_i32_i8_e32 v36, v5, v2
	s_waitcnt vmcnt(0)
	v_and_b32_e32 v2, 0xf0f0f0f, v34
	v_lshrrev_b32_e32 v5, 4, v34
	v_and_b32_sdwa v1, v31, v29 dst_sel:DWORD dst_unused:UNUSED_PAD src0_sel:BYTE_1 src1_sel:DWORD
	v_and_b32_e32 v0, 8, v31
	v_and_b32_e32 v5, 0xf0f0f0f, v5
	v_dot4c_i32_i8_e32 v36, v2, v3
	v_and_b32_e32 v3, 8, v39
	v_and_b32_sdwa v2, v35, v29 dst_sel:DWORD dst_unused:UNUSED_PAD src0_sel:WORD_0 src1_sel:DWORD
	v_cvt_f32_ubyte0_e32 v0, v0
	v_cvt_f32_ubyte0_e32 v1, v1
	v_mov_b64_e32 v[6:7], s[22:23]
	v_dot4c_i32_i8_e32 v36, v5, v30
	v_cvt_f32_ubyte0_e32 v2, v2
	v_cvt_f32_ubyte0_e32 v3, v3
	v_pk_fma_f32 v[0:1], v[0:1], s[20:21], v[6:7] op_sel_hi:[1,0,0] neg_lo:[1,0,0] neg_hi:[1,0,0]
	v_pk_fma_f32 v[2:3], v[2:3], s[20:21], v[6:7] op_sel_hi:[1,0,0] neg_lo:[1,0,0] neg_hi:[1,0,0]
	v_cvt_f32_i32_e32 v7, v36
	v_cvt_f32_i32_e32 v6, v42
	v_lshrrev_b32_sdwa v32, v28, v32 dst_sel:DWORD dst_unused:UNUSED_PAD src0_sel:DWORD src1_sel:WORD_0
	v_lshlrev_b32_e32 v40, 1, v32
	v_lshrrev_b32_e32 v32, 2, v32
	v_pk_fma_f32 v[0:1], v[0:1], v[18:19], 0 op_sel_hi:[1,1,0]
	v_add_u32_e32 v26, 16, v26
	v_pk_fma_f32 v[0:1], v[2:3], v[16:17], v[0:1]
	v_and_or_b32 v2, v40, 14, 1
	v_and_or_b32 v3, v32, 14, 1
	v_pk_add_f32 v[0:1], v[0:1], v[6:7]
	v_cvt_f32_ubyte0_e32 v3, v3
	v_cvt_f32_ubyte0_e32 v2, v2
	v_pk_mul_f32 v[0:1], v[0:1], v[2:3]
	v_cmp_le_u32_e32 vcc, s3, v26
	v_add_f32_e32 v0, v0, v1
	v_mul_f32_e32 v1, v33, v4
	v_fmac_f32_e32 v27, v1, v0
	s_or_b64 s[18:19], vcc, s[18:19]
	v_lshl_add_u64 v[10:11], v[10:11], 0, s[24:25]
	s_andn2_b64 exec, exec, s[18:19]
	s_cbranch_execz .LBB219_16
.LBB219_14:                             ; =>This Inner Loop Header: Depth=1
	v_add_u32_e32 v39, s5, v26
	v_mad_i64_i32 v[16:17], s[28:29], v39, 56, s[16:17]
	v_lshl_add_u64 v[0:1], v[16:17], 0, v[12:13]
	global_load_dword v33, v[0:1], off
	v_lshl_add_u64 v[0:1], v[16:17], 0, v[8:9]
	global_load_ushort v31, v[0:1], off offset:32
	global_load_dwordx4 v[4:7], v[10:11], off offset:-16
	v_lshl_add_u64 v[18:19], v[16:17], 0, v[14:15]
	global_load_ushort v32, v[18:19], off offset:48
	global_load_dword v30, v[10:11], off offset:16
	global_load_dwordx4 v[0:3], v[10:11], off
	global_load_dwordx2 v[40:41], v[16:17], off offset:48
	s_getpc_b64 s[28:29]
	s_add_u32 s28, s28, _ZL13iq1s_grid_gpu@rel32@lo+4
	s_addc_u32 s29, s29, _ZL13iq1s_grid_gpu@rel32@hi+12
	v_mov_b32_e32 v42, 0
	s_and_b64 vcc, exec, s[8:9]
	s_waitcnt vmcnt(6)
	v_and_b32_e32 v16, 0xff, v33
	s_waitcnt vmcnt(5)
	v_lshlrev_b32_e32 v19, 8, v31
	v_lshrrev_b16_e32 v35, 4, v31
	v_lshrrev_b16_e32 v36, 12, v31
	v_and_or_b32 v16, v19, s23, v16
	v_and_b32_e32 v19, 15, v35
	v_bfe_u32 v17, v33, 8, 8
	v_bfe_u32 v18, v33, 16, 8
	v_lshlrev_b32_sdwa v34, v29, v31 dst_sel:DWORD dst_unused:UNUSED_PAD src0_sel:DWORD src1_sel:BYTE_1
	v_alignbit_b32 v33, v36, v33, 24
	v_lshlrev_b32_e32 v19, 8, v19
	v_and_or_b32 v18, v34, s23, v18
	v_lshlrev_b32_e32 v16, 2, v16
	v_and_b32_e32 v33, 0x7ff, v33
	v_and_or_b32 v17, v19, s23, v17
	v_lshlrev_b32_e32 v18, 2, v18
	v_lshlrev_b32_e32 v19, 2, v33
	;; [unrolled: 1-line block ×3, first 2 shown]
	global_load_dword v38, v16, s[28:29]
	global_load_dword v37, v17, s[28:29]
	;; [unrolled: 1-line block ×4, first 2 shown]
	v_mov_b32_e32 v16, 0
	v_mov_b32_e32 v33, 0
	s_waitcnt vmcnt(8)
	v_dot4c_i32_i8_e32 v16, 0x1010101, v5
	v_dot4c_i32_i8_e32 v33, 0x1010101, v7
	;; [unrolled: 1-line block ×3, first 2 shown]
	s_waitcnt vmcnt(5)
	v_dot4c_i32_i8_e32 v33, 0x1010101, v0
	v_mov_b32_e32 v17, 0
	v_dot4c_i32_i8_e32 v17, 0x1010101, v1
	v_cvt_f32_i32_e32 v18, v16
	v_cvt_f32_i32_e32 v16, v33
	s_waitcnt vmcnt(4)
	v_alignbit_b32 v33, v41, v40, 16
	v_pk_lshrrev_b16 v33, s15, v33
	v_lshrrev_b16_e32 v40, 12, v40
	v_and_b32_e32 v33, 0xf0000f0, v33
	v_or_b32_e32 v40, v33, v40
	v_dot4c_i32_i8_e32 v42, 0x1010101, v3
	v_or_b32_sdwa v33, v40, v33 dst_sel:DWORD dst_unused:UNUSED_PAD src0_sel:DWORD src1_sel:WORD_1
	v_and_b32_sdwa v40, v41, s21 dst_sel:DWORD dst_unused:UNUSED_PAD src0_sel:WORD_1 src1_sel:DWORD
	v_dot4c_i32_i8_e32 v17, 0x1010101, v2
	v_dot4c_i32_i8_e32 v42, 0x1010101, v30
	v_or_b32_e32 v33, v33, v40
	v_cvt_f32_f16_e32 v33, v33
	v_cvt_f32_i32_e32 v19, v17
	v_cvt_f32_i32_e32 v17, v42
	v_cvt_f32_f16_e32 v4, v4
	s_cbranch_vccnz .LBB219_13
; %bb.15:                               ;   in Loop: Header=BB219_14 Depth=1
	v_mad_i64_i32 v[40:41], s[34:35], v39, 56, s[36:37]
	v_lshl_add_u64 v[42:43], v[40:41], 0, v[12:13]
	global_load_dword v39, v[42:43], off
	v_lshl_add_u64 v[42:43], v[40:41], 0, v[8:9]
	global_load_ushort v46, v[42:43], off offset:32
	global_load_dwordx2 v[44:45], v[40:41], off offset:48
	v_lshl_add_u64 v[40:41], v[40:41], 0, v[14:15]
	global_load_ushort v42, v[40:41], off offset:48
	v_mov_b32_e32 v52, 0
	v_mov_b32_e32 v53, 0
	s_waitcnt vmcnt(3)
	v_and_b32_e32 v40, 0xff, v39
	s_waitcnt vmcnt(2)
	v_lshrrev_b16_e32 v48, 12, v46
	v_bfe_u32 v41, v39, 8, 8
	v_bfe_u32 v43, v39, 16, 8
	v_lshlrev_b32_e32 v47, 8, v46
	v_lshlrev_b32_sdwa v50, v29, v46 dst_sel:DWORD dst_unused:UNUSED_PAD src0_sel:DWORD src1_sel:BYTE_1
	v_alignbit_b32 v39, v48, v39, 24
	v_lshrrev_b16_e32 v49, 4, v46
	v_and_or_b32 v40, v47, s23, v40
	v_and_or_b32 v43, v50, s23, v43
	v_and_b32_e32 v39, 0x7ff, v39
	v_and_b32_e32 v47, 15, v49
	v_lshlrev_b32_e32 v40, 2, v40
	v_lshlrev_b32_e32 v43, 2, v43
	;; [unrolled: 1-line block ×3, first 2 shown]
	global_load_dword v50, v40, s[28:29]
	global_load_dword v51, v43, s[28:29]
	s_waitcnt vmcnt(3)
	v_alignbit_b32 v43, v45, v44, 16
	global_load_dword v39, v39, s[28:29]
	v_lshlrev_b32_e32 v40, 8, v47
	v_and_or_b32 v40, v40, s23, v41
	v_lshlrev_b32_e32 v40, 2, v40
	global_load_dword v47, v40, s[28:29]
	v_lshrrev_b16_e32 v54, 12, v44
	v_and_b32_sdwa v55, v45, s21 dst_sel:DWORD dst_unused:UNUSED_PAD src0_sel:WORD_1 src1_sel:DWORD
	s_waitcnt vmcnt(4)
	v_lshrrev_b32_e32 v42, v28, v42
	v_and_b32_sdwa v44, v46, v29 dst_sel:DWORD dst_unused:UNUSED_PAD src0_sel:BYTE_1 src1_sel:DWORD
	v_and_b32_e32 v45, 8, v46
	v_pk_lshrrev_b16 v46, s15, v43
	v_lshlrev_b32_e32 v56, 1, v42
	v_lshrrev_b32_e32 v57, 2, v42
	v_cvt_f32_ubyte0_e32 v42, v45
	v_cvt_f32_ubyte0_e32 v43, v44
	v_and_b32_e32 v44, 8, v49
	v_and_b32_e32 v45, 8, v48
	;; [unrolled: 1-line block ×3, first 2 shown]
	v_mov_b64_e32 v[40:41], s[22:23]
	v_cvt_f32_ubyte0_e32 v45, v45
	v_cvt_f32_ubyte0_e32 v44, v44
	v_or_b32_e32 v54, v46, v54
	v_pk_fma_f32 v[42:43], v[42:43], s[20:21], v[40:41] op_sel_hi:[1,0,0] neg_lo:[1,0,0] neg_hi:[1,0,0]
	v_pk_fma_f32 v[40:41], v[44:45], s[20:21], v[40:41] op_sel_hi:[1,0,0] neg_lo:[1,0,0] neg_hi:[1,0,0]
	v_or_b32_sdwa v44, v54, v46 dst_sel:DWORD dst_unused:UNUSED_PAD src0_sel:DWORD src1_sel:WORD_1
	v_or_b32_e32 v44, v44, v55
	v_cvt_f32_f16_e32 v46, v44
	v_pk_fma_f32 v[42:43], v[42:43], v[18:19], 0 op_sel_hi:[1,1,0]
	v_and_or_b32 v48, v56, 14, 1
	v_and_or_b32 v49, v57, 14, 1
	v_pk_fma_f32 v[40:41], v[40:41], v[16:17], v[42:43]
	s_waitcnt vmcnt(3)
	v_and_b32_e32 v44, 0xf0f0f0f, v50
	v_lshrrev_b32_e32 v45, 4, v50
	v_and_b32_e32 v45, 0xf0f0f0f, v45
	v_dot4c_i32_i8_e32 v52, v44, v5
	v_dot4c_i32_i8_e32 v52, v45, v6
	s_waitcnt vmcnt(2)
	v_lshrrev_b32_e32 v50, 4, v51
	s_waitcnt vmcnt(0)
	v_and_b32_e32 v44, 0xf0f0f0f, v47
	v_lshrrev_b32_e32 v45, 4, v47
	v_and_b32_e32 v47, 0xf0f0f0f, v51
	v_dot4c_i32_i8_e32 v52, v44, v7
	v_and_b32_e32 v44, 0xf0f0f0f, v50
	v_dot4c_i32_i8_e32 v53, v47, v1
	v_and_b32_e32 v51, 0xf0f0f0f, v39
	v_lshrrev_b32_e32 v39, 4, v39
	v_dot4c_i32_i8_e32 v53, v44, v2
	v_and_b32_e32 v45, 0xf0f0f0f, v45
	v_and_b32_e32 v39, 0xf0f0f0f, v39
	v_dot4c_i32_i8_e32 v53, v51, v3
	v_dot4c_i32_i8_e32 v52, v45, v0
	;; [unrolled: 1-line block ×3, first 2 shown]
	v_cvt_f32_ubyte0_e32 v47, v49
	v_mul_f32_e32 v39, v4, v46
	v_cvt_f32_i32_e32 v44, v52
	v_cvt_f32_i32_e32 v45, v53
	v_cvt_f32_ubyte0_e32 v46, v48
	v_pk_add_f32 v[40:41], v[40:41], v[44:45]
	s_nop 0
	v_pk_mul_f32 v[40:41], v[40:41], v[46:47]
	s_nop 0
	v_add_f32_e32 v40, v40, v41
	v_fmac_f32_e32 v25, v39, v40
	s_branch .LBB219_13
.LBB219_16:
	s_or_b64 exec, exec, s[18:19]
.LBB219_17:
	s_or_b64 exec, exec, s[10:11]
	s_load_dword s3, s[0:1], 0x30
	v_cmp_eq_u32_e64 s[10:11], 0, v24
	v_cmp_ne_u32_e32 vcc, 0, v24
	s_and_saveexec_b64 s[16:17], vcc
	s_cbranch_execz .LBB219_20
; %bb.18:
	v_add_u32_e32 v0, -1, v24
	v_lshl_add_u32 v0, v0, 8, v20
	s_and_b64 vcc, exec, s[8:9]
	ds_write_b32 v0, v27
	s_cbranch_vccnz .LBB219_20
; %bb.19:
	ds_write_b32 v0, v25 offset:256
.LBB219_20:
	s_or_b64 exec, exec, s[16:17]
	s_waitcnt lgkmcnt(0)
	s_barrier
	s_and_saveexec_b64 s[16:17], s[10:11]
	s_cbranch_execz .LBB219_49
; %bb.21:
	ds_read_b32 v0, v20
	s_and_b64 vcc, exec, s[8:9]
	s_cbranch_vccnz .LBB219_23
; %bb.22:
	ds_read_b32 v1, v20 offset:256
	s_waitcnt lgkmcnt(0)
	v_add_f32_e32 v25, v25, v1
.LBB219_23:
	s_waitcnt lgkmcnt(0)
	v_add_f32_e32 v1, v27, v0
	v_mbcnt_lo_u32_b32 v0, -1, 0
	v_mbcnt_hi_u32_b32 v4, -1, v0
	v_and_b32_e32 v0, 64, v4
	v_add_u32_e32 v7, 64, v0
	v_xor_b32_e32 v0, 32, v4
	v_cmp_lt_i32_e32 vcc, v0, v7
	v_xor_b32_e32 v3, 16, v4
	v_xor_b32_e32 v5, 8, v4
	v_cndmask_b32_e32 v0, v4, v0, vcc
	v_lshlrev_b32_e32 v0, 2, v0
	ds_bpermute_b32 v2, v0, v1
	v_cmp_lt_i32_e32 vcc, v3, v7
	v_xor_b32_e32 v6, 4, v4
	v_xor_b32_e32 v8, 2, v4
	;; [unrolled: 1-line block ×3, first 2 shown]
	s_waitcnt lgkmcnt(0)
	v_add_f32_e32 v2, v1, v2
	v_cndmask_b32_e32 v1, v4, v3, vcc
	v_lshlrev_b32_e32 v1, 2, v1
	ds_bpermute_b32 v3, v1, v2
	v_cmp_lt_i32_e32 vcc, v5, v7
	s_waitcnt lgkmcnt(0)
	v_add_f32_e32 v2, v2, v3
	v_cndmask_b32_e32 v3, v4, v5, vcc
	v_lshlrev_b32_e32 v3, 2, v3
	ds_bpermute_b32 v5, v3, v2
	v_cmp_lt_i32_e32 vcc, v6, v7
	;; [unrolled: 6-line block ×4, first 2 shown]
	s_waitcnt lgkmcnt(0)
	v_add_f32_e32 v2, v2, v8
	v_cndmask_b32_e32 v4, v4, v9, vcc
	v_lshlrev_b32_e32 v7, 2, v4
	ds_bpermute_b32 v4, v7, v2
	s_and_b64 vcc, exec, s[8:9]
	s_cbranch_vccnz .LBB219_25
; %bb.24:
	ds_bpermute_b32 v0, v0, v25
	s_waitcnt lgkmcnt(0)
	v_add_f32_e32 v0, v25, v0
	ds_bpermute_b32 v1, v1, v0
	s_waitcnt lgkmcnt(0)
	v_add_f32_e32 v0, v0, v1
	;; [unrolled: 3-line block ×6, first 2 shown]
.LBB219_25:
	v_cmp_eq_u32_e32 vcc, 0, v21
	s_and_b64 exec, exec, vcc
	s_cbranch_execz .LBB219_49
; %bb.26:
	s_waitcnt lgkmcnt(0)
	v_add_f32_e32 v0, v2, v4
	s_waitcnt vmcnt(0)
	v_add_f32_e32 v1, v23, v0
	s_and_b64 vcc, exec, s[8:9]
	v_cndmask_b32_e64 v0, v0, v1, s[12:13]
	s_cbranch_vccnz .LBB219_48
; %bb.27:
	v_add_f32_e32 v1, v22, v25
	v_cndmask_b32_e64 v1, v25, v1, s[6:7]
	s_cmp_lt_i32 s3, 2
	s_mov_b64 s[6:7], 0
	s_cbranch_scc1 .LBB219_31
; %bb.28:
	s_cmp_gt_i32 s3, 2
	s_cbranch_scc0 .LBB219_32
; %bb.29:
	s_cmp_eq_u32 s3, 3
	s_cbranch_scc0 .LBB219_33
; %bb.30:
	v_max_f32_e32 v2, v1, v1
	v_min_f32_e32 v4, 0x40e00000, v2
	v_mul_f32_e32 v3, 0xbfd9db23, v4
	s_mov_b32 s5, 0x3fb8aa3b
	v_mul_f32_e32 v2, 0x3fb8aa3b, v3
	v_fma_f32 v5, v3, s5, -v2
	v_rndne_f32_e32 v6, v2
	v_fmamk_f32 v5, v3, 0x32a5705f, v5
	v_sub_f32_e32 v2, v2, v6
	v_add_f32_e32 v2, v2, v5
	v_exp_f32_e32 v5, v2
	v_cvt_i32_f32_e32 v6, v6
	s_mov_b32 s5, 0xc2ce8ed0
	v_max_f32_e32 v2, v0, v0
	v_cmp_ngt_f32_e32 vcc, s5, v3
	v_ldexp_f32 v5, v5, v6
	s_mov_b32 s5, 0x42b17218
	v_min_f32_e32 v2, 0x40e00000, v2
	v_cndmask_b32_e32 v5, 0, v5, vcc
	v_mov_b32_e32 v6, 0x7f800000
	v_cmp_nlt_f32_e32 vcc, s5, v3
	v_max_f32_e32 v2, 0xc0e00000, v2
	s_nop 0
	v_cndmask_b32_e32 v3, v6, v5, vcc
	v_pk_add_f32 v[2:3], v[2:3], 1.0 op_sel_hi:[1,0]
	s_nop 0
	v_div_scale_f32 v5, s[8:9], v3, v3, v4
	v_rcp_f32_e32 v6, v5
	s_mov_b64 s[8:9], 0
	v_fma_f32 v7, -v5, v6, 1.0
	v_fmac_f32_e32 v6, v7, v6
	v_div_scale_f32 v7, vcc, v4, v3, v4
	v_mul_f32_e32 v8, v7, v6
	v_fma_f32 v9, -v5, v8, v7
	v_fmac_f32_e32 v8, v9, v6
	v_fma_f32 v5, -v5, v8, v7
	v_div_fmas_f32 v5, v5, v6, v8
	v_div_fixup_f32 v3, v5, v3, v4
	v_mul_f32_e32 v2, v2, v3
	s_branch .LBB219_34
.LBB219_31:
                                        ; implicit-def: $vgpr2
	s_mov_b64 s[8:9], 0
	s_cbranch_execnz .LBB219_38
	s_branch .LBB219_39
.LBB219_32:
	s_mov_b64 s[10:11], -1
	s_mov_b64 s[8:9], 0
                                        ; implicit-def: $vgpr2
	s_branch .LBB219_35
.LBB219_33:
	s_mov_b64 s[8:9], -1
                                        ; implicit-def: $vgpr2
.LBB219_34:
	s_mov_b64 s[10:11], 0
.LBB219_35:
	s_and_b64 vcc, exec, s[10:11]
	s_cbranch_vccz .LBB219_37
; %bb.36:
	v_mul_f32_e32 v2, 0xbfb8aa3b, v1
	s_mov_b32 s5, 0xbfb8aa3b
	v_rndne_f32_e32 v3, v2
	v_sub_f32_e32 v4, v2, v3
	v_fma_f32 v2, v1, s5, -v2
	v_fmamk_f32 v2, v1, 0xb2a5705f, v2
	v_add_f32_e32 v2, v4, v2
	v_exp_f32_e32 v2, v2
	v_cvt_i32_f32_e32 v3, v3
	s_mov_b32 s5, 0x42ce8ed0
	v_cmp_nlt_f32_e32 vcc, s5, v1
	s_mov_b32 s5, 0xc2b17218
	v_ldexp_f32 v2, v2, v3
	v_cndmask_b32_e32 v2, 0, v2, vcc
	v_mov_b32_e32 v3, 0x7f800000
	v_cmp_ngt_f32_e32 vcc, s5, v1
	s_nop 1
	v_cndmask_b32_e32 v2, v3, v2, vcc
	v_add_f32_e32 v2, 1.0, v2
	v_div_scale_f32 v3, s[10:11], v2, v2, v1
	v_rcp_f32_e32 v4, v3
	s_nop 0
	v_fma_f32 v5, -v3, v4, 1.0
	v_fmac_f32_e32 v4, v5, v4
	v_div_scale_f32 v5, vcc, v1, v2, v1
	v_mul_f32_e32 v6, v5, v4
	v_fma_f32 v7, -v3, v6, v5
	v_fmac_f32_e32 v6, v7, v4
	v_fma_f32 v3, -v3, v6, v5
	v_div_fmas_f32 v3, v3, v4, v6
	v_div_fixup_f32 v2, v3, v2, v1
	v_mul_f32_e32 v2, v0, v2
.LBB219_37:
	s_branch .LBB219_39
.LBB219_38:
	s_cmp_lg_u32 s3, 1
	s_mov_b64 s[6:7], -1
	s_cselect_b64 s[8:9], -1, 0
                                        ; implicit-def: $vgpr2
.LBB219_39:
	s_andn2_b64 vcc, exec, s[8:9]
	s_cbranch_vccz .LBB219_41
; %bb.40:
	s_andn2_b64 vcc, exec, s[6:7]
	s_cbranch_vccz .LBB219_42
	s_branch .LBB219_47
.LBB219_41:
	v_mul_f32_e32 v2, v0, v1
	s_cbranch_execnz .LBB219_47
.LBB219_42:
	v_mul_f32_e32 v3, 0x3d372713, v1
	v_mul_f32_e32 v2, 0x3f4c422a, v1
	v_fma_f32 v3, v1, v3, 1.0
	v_mul_f32_e32 v2, v2, v3
	s_mov_b32 s3, 0x3f200000
	v_cmp_nlt_f32_e64 s[6:7], |v2|, s3
                                        ; implicit-def: $vgpr3
	s_and_saveexec_b64 s[8:9], s[6:7]
	s_xor_b64 s[6:7], exec, s[8:9]
	s_cbranch_execz .LBB219_44
; %bb.43:
	v_add_f32_e64 v3, |v2|, |v2|
	v_mul_f32_e32 v4, 0x3fb8aa3b, v3
	s_mov_b32 s3, 0x3fb8aa3b
	v_rndne_f32_e32 v5, v4
	v_sub_f32_e32 v6, v4, v5
	v_fma_f32 v4, v3, s3, -v4
	v_fmamk_f32 v4, v3, 0x32a5705f, v4
	v_add_f32_e32 v4, v6, v4
	v_exp_f32_e32 v4, v4
	v_cvt_i32_f32_e32 v5, v5
	s_mov_b32 s3, 0xc2ce8ed0
	v_cmp_ngt_f32_e32 vcc, s3, v3
	s_mov_b32 s3, 0x42b17218
	v_ldexp_f32 v4, v4, v5
	v_cndmask_b32_e32 v4, 0, v4, vcc
	v_mov_b32_e32 v5, 0x7f800000
	v_cmp_nlt_f32_e32 vcc, s3, v3
	s_nop 1
	v_cndmask_b32_e32 v3, v5, v4, vcc
	v_add_f32_e32 v3, 1.0, v3
	v_rcp_f32_e32 v3, v3
	s_nop 0
	v_fma_f32 v3, v3, -2.0, 1.0
.LBB219_44:
	s_andn2_saveexec_b64 s[6:7], s[6:7]
; %bb.45:
	v_mul_f32_e32 v3, v2, v2
	v_mov_b32_e32 v4, 0x3ca908c9
	v_fmac_f32_e32 v4, 0xbbbac73d, v3
	v_fmaak_f32 v4, v3, v4, 0xbd5c1c4e
	v_fmaak_f32 v4, v3, v4, 0x3e088382
	;; [unrolled: 1-line block ×3, first 2 shown]
	v_mul_f32_e64 v4, |v2|, v4
	v_fma_f32 v3, v3, v4, |v2|
; %bb.46:
	s_or_b64 exec, exec, s[6:7]
	s_brev_b32 s3, -2
	v_bfi_b32 v2, s3, v3, v2
	v_mul_f32_e32 v1, 0.5, v1
	v_add_f32_e32 v2, 1.0, v2
	v_mul_f32_e32 v1, v1, v2
	v_mul_f32_e32 v2, v0, v1
.LBB219_47:
	v_mov_b32_e32 v0, v2
.LBB219_48:
	s_load_dwordx2 s[0:1], s[0:1], 0x38
	s_mul_i32 s3, s14, s26
	s_mul_i32 s4, s4, s30
	s_add_i32 s2, s3, s2
	s_add_i32 s2, s2, s4
	s_mov_b32 s3, 0
	s_lshl_b64 s[2:3], s[2:3], 2
	s_waitcnt lgkmcnt(0)
	s_add_u32 s0, s0, s2
	s_addc_u32 s1, s1, s3
	global_store_dword v20, v0, s[0:1]
.LBB219_49:
	s_endpgm
	.section	.rodata,"a",@progbits
	.p2align	6, 0x0
	.amdhsa_kernel _ZL13mul_mat_vec_qIL9ggml_type29ELi1ELb1ELb0EEvPKvS2_PKi31ggml_cuda_mm_fusion_args_devicePfj15HIP_vector_typeIjLj3EEjjjS8_jjjS8_jjjj
		.amdhsa_group_segment_fixed_size 512
		.amdhsa_private_segment_fixed_size 0
		.amdhsa_kernarg_size 144
		.amdhsa_user_sgpr_count 2
		.amdhsa_user_sgpr_dispatch_ptr 0
		.amdhsa_user_sgpr_queue_ptr 0
		.amdhsa_user_sgpr_kernarg_segment_ptr 1
		.amdhsa_user_sgpr_dispatch_id 0
		.amdhsa_user_sgpr_kernarg_preload_length 0
		.amdhsa_user_sgpr_kernarg_preload_offset 0
		.amdhsa_user_sgpr_private_segment_size 0
		.amdhsa_uses_dynamic_stack 0
		.amdhsa_enable_private_segment 0
		.amdhsa_system_sgpr_workgroup_id_x 1
		.amdhsa_system_sgpr_workgroup_id_y 1
		.amdhsa_system_sgpr_workgroup_id_z 1
		.amdhsa_system_sgpr_workgroup_info 0
		.amdhsa_system_vgpr_workitem_id 1
		.amdhsa_next_free_vgpr 58
		.amdhsa_next_free_sgpr 44
		.amdhsa_accum_offset 60
		.amdhsa_reserve_vcc 1
		.amdhsa_float_round_mode_32 0
		.amdhsa_float_round_mode_16_64 0
		.amdhsa_float_denorm_mode_32 3
		.amdhsa_float_denorm_mode_16_64 3
		.amdhsa_dx10_clamp 1
		.amdhsa_ieee_mode 1
		.amdhsa_fp16_overflow 0
		.amdhsa_tg_split 0
		.amdhsa_exception_fp_ieee_invalid_op 0
		.amdhsa_exception_fp_denorm_src 0
		.amdhsa_exception_fp_ieee_div_zero 0
		.amdhsa_exception_fp_ieee_overflow 0
		.amdhsa_exception_fp_ieee_underflow 0
		.amdhsa_exception_fp_ieee_inexact 0
		.amdhsa_exception_int_div_zero 0
	.end_amdhsa_kernel
	.section	.text._ZL13mul_mat_vec_qIL9ggml_type29ELi1ELb1ELb0EEvPKvS2_PKi31ggml_cuda_mm_fusion_args_devicePfj15HIP_vector_typeIjLj3EEjjjS8_jjjS8_jjjj,"axG",@progbits,_ZL13mul_mat_vec_qIL9ggml_type29ELi1ELb1ELb0EEvPKvS2_PKi31ggml_cuda_mm_fusion_args_devicePfj15HIP_vector_typeIjLj3EEjjjS8_jjjS8_jjjj,comdat
.Lfunc_end219:
	.size	_ZL13mul_mat_vec_qIL9ggml_type29ELi1ELb1ELb0EEvPKvS2_PKi31ggml_cuda_mm_fusion_args_devicePfj15HIP_vector_typeIjLj3EEjjjS8_jjjS8_jjjj, .Lfunc_end219-_ZL13mul_mat_vec_qIL9ggml_type29ELi1ELb1ELb0EEvPKvS2_PKi31ggml_cuda_mm_fusion_args_devicePfj15HIP_vector_typeIjLj3EEjjjS8_jjjS8_jjjj
                                        ; -- End function
	.section	.AMDGPU.csdata,"",@progbits
; Kernel info:
; codeLenInByte = 3424
; NumSgprs: 50
; NumVgprs: 58
; NumAgprs: 0
; TotalNumVgprs: 58
; ScratchSize: 0
; MemoryBound: 0
; FloatMode: 240
; IeeeMode: 1
; LDSByteSize: 512 bytes/workgroup (compile time only)
; SGPRBlocks: 6
; VGPRBlocks: 7
; NumSGPRsForWavesPerEU: 50
; NumVGPRsForWavesPerEU: 58
; AccumOffset: 60
; Occupancy: 8
; WaveLimiterHint : 0
; COMPUTE_PGM_RSRC2:SCRATCH_EN: 0
; COMPUTE_PGM_RSRC2:USER_SGPR: 2
; COMPUTE_PGM_RSRC2:TRAP_HANDLER: 0
; COMPUTE_PGM_RSRC2:TGID_X_EN: 1
; COMPUTE_PGM_RSRC2:TGID_Y_EN: 1
; COMPUTE_PGM_RSRC2:TGID_Z_EN: 1
; COMPUTE_PGM_RSRC2:TIDIG_COMP_CNT: 1
; COMPUTE_PGM_RSRC3_GFX90A:ACCUM_OFFSET: 14
; COMPUTE_PGM_RSRC3_GFX90A:TG_SPLIT: 0
	.section	.text._ZL13mul_mat_vec_qIL9ggml_type29ELi1ELb0ELb0EEvPKvS2_PKi31ggml_cuda_mm_fusion_args_devicePfj15HIP_vector_typeIjLj3EEjjjS8_jjjS8_jjjj,"axG",@progbits,_ZL13mul_mat_vec_qIL9ggml_type29ELi1ELb0ELb0EEvPKvS2_PKi31ggml_cuda_mm_fusion_args_devicePfj15HIP_vector_typeIjLj3EEjjjS8_jjjS8_jjjj,comdat
	.globl	_ZL13mul_mat_vec_qIL9ggml_type29ELi1ELb0ELb0EEvPKvS2_PKi31ggml_cuda_mm_fusion_args_devicePfj15HIP_vector_typeIjLj3EEjjjS8_jjjS8_jjjj ; -- Begin function _ZL13mul_mat_vec_qIL9ggml_type29ELi1ELb0ELb0EEvPKvS2_PKi31ggml_cuda_mm_fusion_args_devicePfj15HIP_vector_typeIjLj3EEjjjS8_jjjS8_jjjj
	.p2align	8
	.type	_ZL13mul_mat_vec_qIL9ggml_type29ELi1ELb0ELb0EEvPKvS2_PKi31ggml_cuda_mm_fusion_args_devicePfj15HIP_vector_typeIjLj3EEjjjS8_jjjS8_jjjj,@function
_ZL13mul_mat_vec_qIL9ggml_type29ELi1ELb0ELb0EEvPKvS2_PKi31ggml_cuda_mm_fusion_args_devicePfj15HIP_vector_typeIjLj3EEjjjS8_jjjS8_jjjj: ; @_ZL13mul_mat_vec_qIL9ggml_type29ELi1ELb0ELb0EEvPKvS2_PKi31ggml_cuda_mm_fusion_args_devicePfj15HIP_vector_typeIjLj3EEjjjS8_jjjS8_jjjj
; %bb.0:
	s_load_dwordx2 s[8:9], s[0:1], 0x10
	s_load_dwordx4 s[16:19], s[0:1], 0x40
	s_mov_b32 s20, s3
	s_mov_b64 s[12:13], 0
	s_waitcnt lgkmcnt(0)
	s_cmp_lg_u64 s[8:9], 0
	s_cselect_b64 s[6:7], -1, 0
	s_cmp_eq_u64 s[8:9], 0
	s_cbranch_scc1 .LBB220_5
; %bb.1:
	s_mov_b32 s21, 0
	s_lshl_b64 s[10:11], s[20:21], 2
	s_add_u32 s8, s8, s10
	s_addc_u32 s9, s9, s11
	s_load_dword s5, s[8:9], 0x0
	s_nop 0
	s_load_dwordx4 s[8:11], s[0:1], 0x68
	s_load_dword s21, s[0:1], 0x50
	s_andn2_b64 vcc, exec, s[12:13]
	s_cbranch_vccnz .LBB220_3
.LBB220_2:
	s_load_dwordx2 s[12:13], s[0:1], 0x5c
	s_waitcnt lgkmcnt(0)
	s_mul_hi_u32 s3, s12, s20
	s_add_i32 s3, s20, s3
	s_lshr_b32 s5, s3, s13
.LBB220_3:
	s_load_dword s22, s[0:1], 0x78
	s_andn2_b64 vcc, exec, s[6:7]
	s_cbranch_vccnz .LBB220_6
; %bb.4:
	s_mul_hi_u32 s3, s17, s20
	s_add_i32 s3, s20, s3
	s_lshr_b32 s3, s3, s18
	s_mul_i32 s3, s3, s19
	s_sub_i32 s23, s20, s3
	s_branch .LBB220_7
.LBB220_5:
                                        ; implicit-def: $sgpr5
	s_load_dwordx4 s[8:11], s[0:1], 0x68
	s_load_dword s21, s[0:1], 0x50
	s_branch .LBB220_2
.LBB220_6:
	s_mov_b32 s23, s20
.LBB220_7:
	s_load_dwordx4 s[12:15], s[0:1], 0x80
	v_bfe_u32 v11, v0, 10, 10
	v_and_b32_e32 v10, 0x3ff, v0
	v_lshl_add_u32 v2, v11, 6, v10
	s_lshr_b32 s3, s16, 8
	v_lshrrev_b32_e32 v12, 3, v2
	v_cmp_gt_u32_e32 vcc, s3, v12
	v_mov_b32_e32 v13, 0
	s_and_saveexec_b64 s[6:7], vcc
	s_cbranch_execz .LBB220_11
; %bb.8:
	s_waitcnt lgkmcnt(0)
	s_mul_i32 s5, s5, s8
	s_mul_hi_u32 s8, s11, s4
	s_add_i32 s8, s4, s8
	s_lshr_b32 s8, s8, s22
	s_mul_i32 s9, s23, s9
	s_mul_i32 s8, s8, s12
	s_load_dwordx4 s[16:19], s[0:1], 0x0
	v_and_b32_e32 v3, 1, v10
	s_add_i32 s5, s8, s5
	s_mul_hi_u32 s8, s9, 36
	s_mul_i32 s9, s9, 36
	v_cmp_eq_u32_e32 vcc, 1, v3
	v_lshrrev_b32_e32 v5, 3, v2
	v_mov_b32_e32 v2, s9
	v_mov_b32_e32 v3, s8
	s_movk_i32 s8, 0x120
	s_mul_i32 s13, s4, s13
	v_mad_u64_u32 v[2:3], s[8:9], v5, s8, v[2:3]
	v_and_b32_e32 v4, 7, v10
	v_mad_u64_u32 v[2:3], s[8:9], s13, 36, v[2:3]
	v_mad_u64_u32 v[2:3], s[8:9], v4, 36, v[2:3]
	s_mul_i32 s15, s2, s21
	v_mov_b32_e32 v1, 0
	v_bfe_u32 v6, v10, 1, 2
	s_waitcnt lgkmcnt(0)
	v_lshl_add_u64 v[2:3], v[2:3], 0, s[18:19]
	s_mov_b32 s18, 0xbf600000
	v_lshlrev_b32_e32 v0, 1, v4
	v_cndmask_b32_e64 v14, 0, 6, vcc
	s_add_i32 s5, s5, s15
	v_lshl_add_u64 v[2:3], v[2:3], 0, 16
	s_mov_b64 s[8:9], 0
	v_lshlrev_b32_e32 v4, 2, v4
	s_mov_b32 s11, 0x40008
	s_movk_i32 s13, 0xf000
	v_lshlrev_b32_e32 v6, 1, v6
	s_movk_i32 s15, 0x700
	s_mov_b32 s12, 0x3d000000
	v_mov_b64_e32 v[8:9], s[18:19]
	s_mov_b64 s[18:19], 0x1200
	v_mov_b32_e32 v5, v1
	v_mov_b32_e32 v7, v1
	;; [unrolled: 1-line block ×4, first 2 shown]
.LBB220_9:                              ; =>This Inner Loop Header: Depth=1
	v_add_u32_e32 v16, s5, v12
	v_mad_i64_i32 v[24:25], s[22:23], v16, 56, s[16:17]
	v_lshl_add_u64 v[26:27], v[24:25], 0, v[4:5]
	v_lshl_add_u64 v[28:29], v[24:25], 0, v[0:1]
	;; [unrolled: 1-line block ×3, first 2 shown]
	global_load_dword v32, v[26:27], off
	global_load_ushort v33, v[28:29], off offset:32
	global_load_ushort v34, v[30:31], off offset:48
	global_load_dwordx4 v[16:19], v[2:3], off offset:-16
	global_load_dwordx4 v[20:23], v[2:3], off
	s_getpc_b64 s[22:23]
	s_add_u32 s22, s22, _ZL13iq1s_grid_gpu@rel32@lo+4
	s_addc_u32 s23, s23, _ZL13iq1s_grid_gpu@rel32@hi+12
	global_load_dwordx2 v[24:25], v[24:25], off offset:48
	v_mov_b32_e32 v39, 0
	v_mov_b32_e32 v40, 0
	v_add_u32_e32 v12, 16, v12
	v_cmp_le_u32_e32 vcc, s3, v12
	s_or_b64 s[8:9], vcc, s[8:9]
	s_waitcnt vmcnt(5)
	v_and_b32_e32 v26, 0xff, v32
	s_waitcnt vmcnt(4)
	v_lshlrev_b32_e32 v29, 8, v33
	v_lshrrev_b16_e32 v31, 4, v33
	v_lshrrev_b16_e32 v30, 12, v33
	v_and_or_b32 v26, v29, s15, v26
	v_and_b32_e32 v29, 15, v31
	v_bfe_u32 v27, v32, 8, 8
	v_bfe_u32 v28, v32, 16, 8
	v_alignbit_b32 v32, v30, v32, 24
	v_lshlrev_b32_e32 v29, 8, v29
	v_lshlrev_b32_sdwa v35, v15, v33 dst_sel:DWORD dst_unused:UNUSED_PAD src0_sel:DWORD src1_sel:BYTE_1
	v_lshlrev_b32_e32 v26, 2, v26
	v_and_b32_e32 v32, 0x7ff, v32
	v_and_or_b32 v27, v29, s15, v27
	v_and_or_b32 v28, v35, s15, v28
	v_lshlrev_b32_e32 v29, 2, v32
	global_load_dword v32, v26, s[22:23]
	v_lshlrev_b32_e32 v26, 2, v27
	v_lshlrev_b32_e32 v28, 2, v28
	global_load_dword v35, v26, s[22:23]
	global_load_dword v36, v28, s[22:23]
	;; [unrolled: 1-line block ×3, first 2 shown]
	global_load_dword v38, v[2:3], off offset:16
	v_mov_b32_e32 v26, 0
	v_mov_b32_e32 v27, 0
	;; [unrolled: 1-line block ×4, first 2 shown]
	s_waitcnt vmcnt(7)
	v_dot4c_i32_i8_e32 v26, 0x1010101, v17
	s_waitcnt vmcnt(6)
	v_dot4c_i32_i8_e32 v27, 0x1010101, v21
	v_dot4c_i32_i8_e32 v28, 0x1010101, v19
	v_dot4c_i32_i8_e32 v29, 0x1010101, v23
	v_dot4c_i32_i8_e32 v26, 0x1010101, v18
	v_dot4c_i32_i8_e32 v27, 0x1010101, v22
	v_cvt_f32_f16_e32 v41, v16
	v_dot4c_i32_i8_e32 v28, 0x1010101, v20
	v_cvt_f32_i32_e32 v26, v26
	v_cvt_f32_i32_e32 v27, v27
	s_waitcnt vmcnt(5)
	v_alignbit_b32 v16, v25, v24, 16
	v_cvt_f32_i32_e32 v28, v28
	v_lshrrev_b16_e32 v42, 12, v24
	v_and_b32_sdwa v43, v25, s13 dst_sel:DWORD dst_unused:UNUSED_PAD src0_sel:WORD_1 src1_sel:DWORD
	v_lshrrev_b32_e32 v24, v14, v34
	v_and_b32_sdwa v25, v33, v15 dst_sel:DWORD dst_unused:UNUSED_PAD src0_sel:BYTE_1 src1_sel:DWORD
	v_and_b32_e32 v33, 8, v33
	v_pk_lshrrev_b16 v16, s11, v16
	v_lshlrev_b32_e32 v34, 1, v24
	v_lshrrev_b32_e32 v44, 2, v24
	v_cvt_f32_ubyte0_e32 v24, v33
	v_cvt_f32_ubyte0_e32 v25, v25
	v_and_b32_e32 v33, 8, v31
	v_and_b32_e32 v30, 8, v30
	;; [unrolled: 1-line block ×3, first 2 shown]
	v_pk_fma_f32 v[24:25], v[24:25], s[12:13], v[8:9] op_sel_hi:[1,0,0] neg_lo:[1,0,0] neg_hi:[1,0,0]
	v_cvt_f32_ubyte0_e32 v31, v30
	v_cvt_f32_ubyte0_e32 v30, v33
	v_or_b32_e32 v42, v16, v42
	v_pk_fma_f32 v[24:25], v[24:25], v[26:27], 0 op_sel_hi:[1,1,0]
	v_pk_fma_f32 v[26:27], v[30:31], s[12:13], v[8:9] op_sel_hi:[1,0,0] neg_lo:[1,0,0] neg_hi:[1,0,0]
	v_or_b32_sdwa v16, v42, v16 dst_sel:DWORD dst_unused:UNUSED_PAD src0_sel:DWORD src1_sel:WORD_1
	v_and_or_b32 v33, v34, 14, 1
	v_and_or_b32 v34, v44, 14, 1
	v_cvt_f32_ubyte0_e32 v31, v34
	v_cvt_f32_ubyte0_e32 v30, v33
	v_lshl_add_u64 v[2:3], v[2:3], 0, s[18:19]
	s_waitcnt vmcnt(0)
	v_dot4c_i32_i8_e32 v29, 0x1010101, v38
	s_nop 2
	v_cvt_f32_i32_e32 v29, v29
	v_pk_fma_f32 v[24:25], v[26:27], v[28:29], v[24:25]
	v_or_b32_e32 v26, v16, v43
	v_and_b32_e32 v16, 0xf0f0f0f, v32
	v_lshrrev_b32_e32 v27, 4, v32
	v_and_b32_e32 v27, 0xf0f0f0f, v27
	v_dot4c_i32_i8_e32 v39, v16, v17
	v_dot4c_i32_i8_e32 v39, v27, v18
	v_and_b32_e32 v16, 0xf0f0f0f, v35
	v_and_b32_e32 v18, 0xf0f0f0f, v36
	v_lshrrev_b32_e32 v27, 4, v36
	v_dot4c_i32_i8_e32 v39, v16, v19
	v_and_b32_e32 v16, 0xf0f0f0f, v27
	v_dot4c_i32_i8_e32 v40, v18, v21
	v_lshrrev_b32_e32 v17, 4, v35
	v_and_b32_e32 v28, 0xf0f0f0f, v37
	v_lshrrev_b32_e32 v29, 4, v37
	v_dot4c_i32_i8_e32 v40, v16, v22
	v_and_b32_e32 v17, 0xf0f0f0f, v17
	v_and_b32_e32 v18, 0xf0f0f0f, v29
	v_dot4c_i32_i8_e32 v40, v28, v23
	v_dot4c_i32_i8_e32 v39, v17, v20
	;; [unrolled: 1-line block ×3, first 2 shown]
	v_cvt_f32_f16_e32 v18, v26
	v_mul_f32_e32 v18, v18, v41
	v_cvt_f32_i32_e32 v16, v39
	v_cvt_f32_i32_e32 v17, v40
	v_pk_add_f32 v[16:17], v[24:25], v[16:17]
	s_nop 0
	v_pk_mul_f32 v[16:17], v[16:17], v[30:31]
	s_nop 0
	v_add_f32_e32 v16, v16, v17
	v_fmac_f32_e32 v13, v18, v16
	s_andn2_b64 exec, exec, s[8:9]
	s_cbranch_execnz .LBB220_9
; %bb.10:
	s_or_b64 exec, exec, s[8:9]
.LBB220_11:
	s_or_b64 exec, exec, s[6:7]
	v_cmp_eq_u32_e32 vcc, 0, v11
	v_cmp_ne_u32_e64 s[6:7], 0, v11
	v_lshlrev_b32_e32 v0, 2, v10
	s_waitcnt lgkmcnt(0)
	s_and_saveexec_b64 s[8:9], s[6:7]
	s_cbranch_execz .LBB220_13
; %bb.12:
	v_lshlrev_b32_e32 v1, 8, v11
	s_movk_i32 s3, 0xff00
	v_add3_u32 v1, v1, v0, s3
	ds_write_b32 v1, v13
.LBB220_13:
	s_or_b64 exec, exec, s[8:9]
	s_waitcnt lgkmcnt(0)
	s_barrier
	s_and_saveexec_b64 s[6:7], vcc
	s_cbranch_execz .LBB220_16
; %bb.14:
	v_mbcnt_lo_u32_b32 v1, -1, 0
	ds_read_b32 v0, v0
	v_mbcnt_hi_u32_b32 v1, -1, v1
	v_and_b32_e32 v2, 64, v1
	v_add_u32_e32 v2, 64, v2
	v_xor_b32_e32 v3, 32, v1
	v_cmp_lt_i32_e32 vcc, v3, v2
	s_waitcnt lgkmcnt(0)
	v_add_f32_e32 v0, v13, v0
	s_mov_b32 s3, 0
	v_cndmask_b32_e32 v3, v1, v3, vcc
	v_lshlrev_b32_e32 v3, 2, v3
	ds_bpermute_b32 v3, v3, v0
	s_waitcnt lgkmcnt(0)
	v_add_f32_e32 v0, v0, v3
	v_xor_b32_e32 v3, 16, v1
	v_cmp_lt_i32_e32 vcc, v3, v2
	s_nop 1
	v_cndmask_b32_e32 v3, v1, v3, vcc
	v_lshlrev_b32_e32 v3, 2, v3
	ds_bpermute_b32 v3, v3, v0
	s_waitcnt lgkmcnt(0)
	v_add_f32_e32 v0, v0, v3
	v_xor_b32_e32 v3, 8, v1
	v_cmp_lt_i32_e32 vcc, v3, v2
	s_nop 1
	;; [unrolled: 8-line block ×5, first 2 shown]
	v_cndmask_b32_e32 v1, v1, v3, vcc
	v_lshlrev_b32_e32 v1, 2, v1
	ds_bpermute_b32 v1, v1, v0
	v_cmp_eq_u32_e32 vcc, 0, v10
	s_and_b64 exec, exec, vcc
	s_cbranch_execz .LBB220_16
; %bb.15:
	s_load_dwordx2 s[0:1], s[0:1], 0x38
	s_mul_i32 s5, s20, s10
	s_mul_i32 s4, s4, s14
	s_add_i32 s2, s5, s2
	s_add_i32 s2, s2, s4
	s_lshl_b64 s[2:3], s[2:3], 2
	s_waitcnt lgkmcnt(0)
	s_add_u32 s0, s0, s2
	s_addc_u32 s1, s1, s3
	v_mov_b32_e32 v2, 0
	v_add_f32_e32 v0, v0, v1
	global_store_dword v2, v0, s[0:1]
.LBB220_16:
	s_endpgm
	.section	.rodata,"a",@progbits
	.p2align	6, 0x0
	.amdhsa_kernel _ZL13mul_mat_vec_qIL9ggml_type29ELi1ELb0ELb0EEvPKvS2_PKi31ggml_cuda_mm_fusion_args_devicePfj15HIP_vector_typeIjLj3EEjjjS8_jjjS8_jjjj
		.amdhsa_group_segment_fixed_size 256
		.amdhsa_private_segment_fixed_size 0
		.amdhsa_kernarg_size 144
		.amdhsa_user_sgpr_count 2
		.amdhsa_user_sgpr_dispatch_ptr 0
		.amdhsa_user_sgpr_queue_ptr 0
		.amdhsa_user_sgpr_kernarg_segment_ptr 1
		.amdhsa_user_sgpr_dispatch_id 0
		.amdhsa_user_sgpr_kernarg_preload_length 0
		.amdhsa_user_sgpr_kernarg_preload_offset 0
		.amdhsa_user_sgpr_private_segment_size 0
		.amdhsa_uses_dynamic_stack 0
		.amdhsa_enable_private_segment 0
		.amdhsa_system_sgpr_workgroup_id_x 1
		.amdhsa_system_sgpr_workgroup_id_y 1
		.amdhsa_system_sgpr_workgroup_id_z 1
		.amdhsa_system_sgpr_workgroup_info 0
		.amdhsa_system_vgpr_workitem_id 1
		.amdhsa_next_free_vgpr 45
		.amdhsa_next_free_sgpr 24
		.amdhsa_accum_offset 48
		.amdhsa_reserve_vcc 1
		.amdhsa_float_round_mode_32 0
		.amdhsa_float_round_mode_16_64 0
		.amdhsa_float_denorm_mode_32 3
		.amdhsa_float_denorm_mode_16_64 3
		.amdhsa_dx10_clamp 1
		.amdhsa_ieee_mode 1
		.amdhsa_fp16_overflow 0
		.amdhsa_tg_split 0
		.amdhsa_exception_fp_ieee_invalid_op 0
		.amdhsa_exception_fp_denorm_src 0
		.amdhsa_exception_fp_ieee_div_zero 0
		.amdhsa_exception_fp_ieee_overflow 0
		.amdhsa_exception_fp_ieee_underflow 0
		.amdhsa_exception_fp_ieee_inexact 0
		.amdhsa_exception_int_div_zero 0
	.end_amdhsa_kernel
	.section	.text._ZL13mul_mat_vec_qIL9ggml_type29ELi1ELb0ELb0EEvPKvS2_PKi31ggml_cuda_mm_fusion_args_devicePfj15HIP_vector_typeIjLj3EEjjjS8_jjjS8_jjjj,"axG",@progbits,_ZL13mul_mat_vec_qIL9ggml_type29ELi1ELb0ELb0EEvPKvS2_PKi31ggml_cuda_mm_fusion_args_devicePfj15HIP_vector_typeIjLj3EEjjjS8_jjjS8_jjjj,comdat
.Lfunc_end220:
	.size	_ZL13mul_mat_vec_qIL9ggml_type29ELi1ELb0ELb0EEvPKvS2_PKi31ggml_cuda_mm_fusion_args_devicePfj15HIP_vector_typeIjLj3EEjjjS8_jjjS8_jjjj, .Lfunc_end220-_ZL13mul_mat_vec_qIL9ggml_type29ELi1ELb0ELb0EEvPKvS2_PKi31ggml_cuda_mm_fusion_args_devicePfj15HIP_vector_typeIjLj3EEjjjS8_jjjS8_jjjj
                                        ; -- End function
	.section	.AMDGPU.csdata,"",@progbits
; Kernel info:
; codeLenInByte = 1600
; NumSgprs: 30
; NumVgprs: 45
; NumAgprs: 0
; TotalNumVgprs: 45
; ScratchSize: 0
; MemoryBound: 0
; FloatMode: 240
; IeeeMode: 1
; LDSByteSize: 256 bytes/workgroup (compile time only)
; SGPRBlocks: 3
; VGPRBlocks: 5
; NumSGPRsForWavesPerEU: 30
; NumVGPRsForWavesPerEU: 45
; AccumOffset: 48
; Occupancy: 8
; WaveLimiterHint : 0
; COMPUTE_PGM_RSRC2:SCRATCH_EN: 0
; COMPUTE_PGM_RSRC2:USER_SGPR: 2
; COMPUTE_PGM_RSRC2:TRAP_HANDLER: 0
; COMPUTE_PGM_RSRC2:TGID_X_EN: 1
; COMPUTE_PGM_RSRC2:TGID_Y_EN: 1
; COMPUTE_PGM_RSRC2:TGID_Z_EN: 1
; COMPUTE_PGM_RSRC2:TIDIG_COMP_CNT: 1
; COMPUTE_PGM_RSRC3_GFX90A:ACCUM_OFFSET: 11
; COMPUTE_PGM_RSRC3_GFX90A:TG_SPLIT: 0
	.section	.text._ZL13mul_mat_vec_qIL9ggml_type29ELi2ELb0ELb0EEvPKvS2_PKi31ggml_cuda_mm_fusion_args_devicePfj15HIP_vector_typeIjLj3EEjjjS8_jjjS8_jjjj,"axG",@progbits,_ZL13mul_mat_vec_qIL9ggml_type29ELi2ELb0ELb0EEvPKvS2_PKi31ggml_cuda_mm_fusion_args_devicePfj15HIP_vector_typeIjLj3EEjjjS8_jjjS8_jjjj,comdat
	.globl	_ZL13mul_mat_vec_qIL9ggml_type29ELi2ELb0ELb0EEvPKvS2_PKi31ggml_cuda_mm_fusion_args_devicePfj15HIP_vector_typeIjLj3EEjjjS8_jjjS8_jjjj ; -- Begin function _ZL13mul_mat_vec_qIL9ggml_type29ELi2ELb0ELb0EEvPKvS2_PKi31ggml_cuda_mm_fusion_args_devicePfj15HIP_vector_typeIjLj3EEjjjS8_jjjS8_jjjj
	.p2align	8
	.type	_ZL13mul_mat_vec_qIL9ggml_type29ELi2ELb0ELb0EEvPKvS2_PKi31ggml_cuda_mm_fusion_args_devicePfj15HIP_vector_typeIjLj3EEjjjS8_jjjS8_jjjj,@function
_ZL13mul_mat_vec_qIL9ggml_type29ELi2ELb0ELb0EEvPKvS2_PKi31ggml_cuda_mm_fusion_args_devicePfj15HIP_vector_typeIjLj3EEjjjS8_jjjS8_jjjj: ; @_ZL13mul_mat_vec_qIL9ggml_type29ELi2ELb0ELb0EEvPKvS2_PKi31ggml_cuda_mm_fusion_args_devicePfj15HIP_vector_typeIjLj3EEjjjS8_jjjS8_jjjj
; %bb.0:
	s_load_dwordx2 s[20:21], s[0:1], 0x4
	s_load_dword s22, s[2:3], 0x40
	s_load_dwordx4 s[8:11], s[2:3], 0x50
	s_load_dword s27, s[2:3], 0x60
	s_load_dwordx4 s[12:15], s[2:3], 0x68
	;; [unrolled: 2-line block ×3, first 2 shown]
	s_waitcnt lgkmcnt(0)
	s_lshr_b32 s0, s20, 16
	v_bfe_u32 v43, v0, 10, 10
	v_and_b32_e32 v25, 0x3ff, v0
	s_mul_i32 s0, s0, s21
	v_mul_u32_u24_e32 v1, s21, v43
	v_mad_u32_u24 v1, s0, v25, v1
	v_bfe_u32 v0, v0, 20, 10
	v_lshl_add_u32 v5, v43, 6, v25
	v_add_lshl_u32 v4, v1, v0, 4
	s_lshr_b32 s19, s22, 8
	v_mov_b32_e32 v0, 0
	v_lshrrev_b32_e32 v44, 3, v5
	v_add_u32_e32 v42, 0x400, v4
	s_lshl_b32 s7, s4, 1
	v_mov_b32_e32 v1, v0
	v_mov_b32_e32 v2, v0
	;; [unrolled: 1-line block ×3, first 2 shown]
	v_cmp_gt_u32_e32 vcc, s19, v44
	ds_write_b128 v4, v[0:3] offset:1024
	s_and_saveexec_b64 s[0:1], vcc
	s_cbranch_execz .LBB221_4
; %bb.1:
	s_load_dwordx4 s[20:23], s[2:3], 0x0
	s_mul_i32 s4, s6, s17
	s_mul_i32 s24, s4, 36
	;; [unrolled: 1-line block ×3, first 2 shown]
	s_mul_hi_u32 s17, s4, 36
	s_waitcnt lgkmcnt(0)
	s_add_u32 s24, s22, s24
	s_addc_u32 s17, s23, s17
	s_mul_i32 s28, s13, 36
	s_mul_hi_u32 s29, s13, 36
	s_add_u32 s24, s24, s28
	s_mul_hi_u32 s11, s11, s5
	s_addc_u32 s25, s17, s29
	s_add_i32 s11, s5, s11
	s_lshr_b32 s11, s11, s27
	s_mul_i32 s11, s11, s12
	s_mul_hi_u32 s12, s15, s6
	s_add_i32 s12, s6, s12
	s_lshr_b32 s12, s12, s26
	s_mul_i32 s12, s12, s16
	s_add_i32 s15, s12, s11
	s_add_i32 s12, s7, 1
	s_mul_i32 s13, s7, s8
	s_mul_i32 s8, s8, s12
	s_add_i32 s11, s15, s13
	s_add_i32 s15, s15, s8
	s_movk_i32 s8, 0x120
	v_mov_b64_e32 v[2:3], s[28:29]
	v_lshl_add_u32 v45, v44, 3, s9
	v_mad_u64_u32 v[2:3], s[8:9], v44, s8, v[2:3]
	v_and_b32_e32 v20, 7, v25
	v_and_b32_e32 v1, 1, v25
	v_mad_u64_u32 v[2:3], s[8:9], s4, 36, v[2:3]
	v_cmp_eq_u32_e32 vcc, 1, v1
	v_mad_u64_u32 v[2:3], s[8:9], v20, 36, v[2:3]
	v_mov_b32_e32 v23, 0
	v_bfe_u32 v0, v25, 1, 2
	v_cndmask_b32_e64 v24, 0, 6, vcc
	v_lshl_add_u64 v[2:3], v[2:3], 0, s[22:23]
	s_mov_b32 s12, 0xbf600000
	v_lshlrev_b32_e32 v22, 1, v20
	v_mov_b32_e32 v21, v24
	v_lshl_add_u64 v[26:27], v[2:3], 0, 16
	s_mov_b64 s[8:9], 0
	v_lshlrev_b32_e32 v28, 2, v20
	s_movk_i32 s22, 0x700
	v_lshlrev_b32_e32 v30, 1, v0
	s_mov_b32 s4, 0x3d000000
	v_mov_b64_e32 v[32:33], s[12:13]
	s_mov_b32 s23, 0x5040100
	s_mov_b32 s26, 0x7060302
	;; [unrolled: 1-line block ×3, first 2 shown]
	s_mov_b64 s[12:13], 0x1200
	v_mov_b32_e32 v29, v23
	v_mov_b32_e32 v46, 8
	;; [unrolled: 1-line block ×8, first 2 shown]
.LBB221_2:                              ; =>This Inner Loop Header: Depth=1
	global_load_dwordx4 v[8:11], v[26:27], off offset:-16
	global_load_dwordx4 v[4:7], v[26:27], off
	v_mad_u64_u32 v[14:15], s[28:29], v45, 36, s[24:25]
	v_add_u32_e32 v12, s11, v44
	v_add_u32_e32 v13, s15, v44
	v_mad_u64_u32 v[52:53], s[28:29], v20, 36, v[14:15]
	global_load_dword v66, v[26:27], off offset:16
	v_mad_i64_i32 v[40:41], s[28:29], v12, 56, s[20:21]
	v_mad_i64_i32 v[50:51], s[28:29], v13, 56, s[20:21]
	global_load_dwordx4 v[16:19], v[52:53], off
	global_load_dwordx4 v[12:15], v[52:53], off offset:16
	global_load_dword v67, v[52:53], off offset:32
	v_lshl_add_u64 v[54:55], v[40:41], 0, v[28:29]
	v_lshl_add_u64 v[56:57], v[40:41], 0, v[22:23]
	;; [unrolled: 1-line block ×6, first 2 shown]
	global_load_ushort v68, v[56:57], off offset:32
	global_load_ushort v69, v[60:61], off offset:32
	global_load_dword v70, v[54:55], off
	global_load_ushort v71, v[52:53], off offset:48
                                        ; kill: killed $vgpr56_vgpr57
                                        ; kill: killed $vgpr54_vgpr55
                                        ; kill: killed $vgpr60_vgpr61
                                        ; kill: killed $vgpr52_vgpr53
	s_nop 0
	global_load_dwordx2 v[52:53], v[40:41], off offset:48
	global_load_ushort v60, v[62:63], off offset:48
	global_load_dwordx2 v[54:55], v[50:51], off offset:48
	global_load_dword v61, v[58:59], off
	v_mov_b32_e32 v35, 0
	v_mov_b32_e32 v34, 0
	;; [unrolled: 1-line block ×8, first 2 shown]
	s_getpc_b64 s[16:17]
	s_add_u32 s16, s16, _ZL13iq1s_grid_gpu@rel32@lo+4
	s_addc_u32 s17, s17, _ZL13iq1s_grid_gpu@rel32@hi+12
	v_mov_b32_e32 v48, 0
	v_mov_b32_e32 v49, 0
	v_add_u32_e32 v44, 16, v44
	v_cmp_le_u32_e32 vcc, s19, v44
	v_add_u32_e32 v45, 0x80, v45
	v_lshl_add_u64 v[26:27], v[26:27], 0, s[12:13]
	s_or_b64 s[8:9], vcc, s[8:9]
	s_waitcnt vmcnt(13)
	v_dot4c_i32_i8_e32 v35, 0x1010101, v9
	v_dot4c_i32_i8_e32 v34, 0x1010101, v11
	;; [unrolled: 1-line block ×3, first 2 shown]
	s_waitcnt vmcnt(12)
	v_dot4c_i32_i8_e32 v34, 0x1010101, v4
	v_dot4c_i32_i8_e32 v36, 0x1010101, v5
	;; [unrolled: 1-line block ×3, first 2 shown]
	v_cvt_f32_i32_e32 v40, v35
	v_cvt_f32_i32_e32 v34, v34
	v_dot4c_i32_i8_e32 v38, 0x1010101, v7
	s_waitcnt vmcnt(7)
	v_and_b32_e32 v35, 8, v68
	s_waitcnt vmcnt(6)
	v_and_b32_e32 v41, 8, v69
	v_lshrrev_b32_e32 v56, 4, v68
	v_lshrrev_b32_e32 v57, 4, v69
	v_cvt_f32_ubyte0_e32 v51, v41
	v_cvt_f32_ubyte0_e32 v50, v35
	v_and_b32_e32 v35, 8, v56
	v_and_b32_e32 v41, 8, v57
	v_cvt_f32_ubyte0_e32 v57, v41
	v_cvt_f32_ubyte0_e32 v56, v35
	v_dot4c_i32_i8_e32 v37, 0x1010101, v17
	v_pk_fma_f32 v[50:51], v[50:51], s[4:5], v[32:33] op_sel_hi:[1,0,0] neg_lo:[1,0,0] neg_hi:[1,0,0]
	v_pk_fma_f32 v[56:57], v[56:57], s[4:5], v[32:33] op_sel_hi:[1,0,0] neg_lo:[1,0,0] neg_hi:[1,0,0]
	v_pk_fma_f32 v[40:41], v[50:51], v[40:41], 0 op_sel_hi:[1,0,0]
	v_dot4c_i32_i8_e32 v37, 0x1010101, v18
	v_pk_fma_f32 v[34:35], v[56:57], v[34:35], v[40:41] op_sel_hi:[1,0,1]
	v_cvt_f32_i32_e32 v40, v36
	v_dot4c_i32_i8_e32 v39, 0x1010101, v19
	v_cvt_f32_i32_e32 v36, v37
	v_dot4c_i32_i8_e32 v39, 0x1010101, v12
	v_dot4c_i32_i8_e32 v38, 0x1010101, v66
	v_and_b32_sdwa v41, v68, v46 dst_sel:DWORD dst_unused:UNUSED_PAD src0_sel:BYTE_1 src1_sel:DWORD
	v_pk_fma_f32 v[36:37], v[50:51], v[36:37], 0 op_sel_hi:[1,0,0]
	v_cvt_f32_i32_e32 v50, v39
	v_and_b32_sdwa v39, v69, v46 dst_sel:DWORD dst_unused:UNUSED_PAD src0_sel:BYTE_1 src1_sel:DWORD
	v_cvt_f32_i32_e32 v38, v38
	v_dot4c_i32_i8_e32 v64, 0x1010101, v13
	v_pk_fma_f32 v[36:37], v[56:57], v[50:51], v[36:37] op_sel_hi:[1,0,1]
	v_lshrrev_b32_sdwa v56, v47, v68 dst_sel:DWORD dst_unused:UNUSED_PAD src0_sel:DWORD src1_sel:BYTE_1
	v_lshrrev_b32_sdwa v57, v47, v69 dst_sel:DWORD dst_unused:UNUSED_PAD src0_sel:DWORD src1_sel:BYTE_1
	v_cvt_f32_ubyte0_e32 v51, v39
	v_cvt_f32_ubyte0_e32 v50, v41
	v_and_b32_e32 v39, 8, v56
	v_and_b32_e32 v41, 8, v57
	v_cvt_f32_ubyte0_e32 v57, v41
	v_cvt_f32_ubyte0_e32 v56, v39
	v_pk_fma_f32 v[50:51], v[50:51], s[4:5], v[32:33] op_sel_hi:[1,0,0] neg_lo:[1,0,0] neg_hi:[1,0,0]
	v_pk_fma_f32 v[56:57], v[56:57], s[4:5], v[32:33] op_sel_hi:[1,0,0] neg_lo:[1,0,0] neg_hi:[1,0,0]
	v_pk_fma_f32 v[40:41], v[50:51], v[40:41], 0 op_sel_hi:[1,0,0]
	v_dot4c_i32_i8_e32 v64, 0x1010101, v14
	v_pk_fma_f32 v[38:39], v[56:57], v[38:39], v[40:41] op_sel_hi:[1,0,1]
	v_dot4c_i32_i8_e32 v65, 0x1010101, v15
	v_dot4c_i32_i8_e32 v65, 0x1010101, v67
	v_cvt_f32_i32_e32 v40, v64
	s_waitcnt vmcnt(5)
	v_bfe_u32 v59, v70, 16, 8
	v_lshlrev_b32_sdwa v62, v46, v68 dst_sel:DWORD dst_unused:UNUSED_PAD src0_sel:DWORD src1_sel:BYTE_1
	v_lshrrev_b32_e32 v58, 24, v70
	v_pk_fma_f32 v[40:41], v[50:51], v[40:41], 0 op_sel_hi:[1,0,0]
	v_cvt_f32_i32_e32 v50, v65
	v_and_b32_e32 v51, 0xff, v70
	v_lshlrev_b32_sdwa v63, v47, v68 dst_sel:DWORD dst_unused:UNUSED_PAD src0_sel:DWORD src1_sel:BYTE_1
	v_and_or_b32 v59, v62, s22, v59
	v_pk_fma_f32 v[40:41], v[56:57], v[50:51], v[40:41] op_sel_hi:[1,0,1]
	s_waitcnt vmcnt(1)
	v_perm_b32 v56, v54, v52, s23
	v_perm_b32 v52, v54, v52, s26
	;; [unrolled: 1-line block ×4, first 2 shown]
	v_bfe_u32 v55, v70, 8, 8
	v_lshlrev_b32_e32 v57, 4, v68
	v_and_or_b32 v55, v57, s22, v55
	s_waitcnt vmcnt(0)
	v_and_b32_e32 v57, 0xff, v61
	v_lshlrev_b32_e32 v62, 8, v69
	v_lshlrev_b32_e32 v50, 8, v68
	v_and_or_b32 v58, v63, s22, v58
	v_bfe_u32 v63, v61, 8, 8
	v_and_or_b32 v57, v62, s22, v57
	v_lshlrev_b32_e32 v62, 4, v69
	v_and_or_b32 v50, v50, s22, v51
	v_lshrrev_b32_e32 v51, 24, v61
	v_bfe_u32 v61, v61, 16, 8
	v_and_or_b32 v62, v62, s22, v63
	v_lshlrev_b32_sdwa v63, v46, v69 dst_sel:DWORD dst_unused:UNUSED_PAD src0_sel:DWORD src1_sel:BYTE_1
	v_lshlrev_b32_sdwa v64, v47, v69 dst_sel:DWORD dst_unused:UNUSED_PAD src0_sel:DWORD src1_sel:BYTE_1
	v_and_or_b32 v61, v63, s22, v61
	v_and_or_b32 v51, v64, s22, v51
	v_lshlrev_b32_e32 v50, 2, v50
	v_lshlrev_b32_e32 v55, 2, v55
	;; [unrolled: 1-line block ×8, first 2 shown]
	global_load_dword v63, v50, s[16:17]
	global_load_dword v64, v57, s[16:17]
	;; [unrolled: 1-line block ×6, first 2 shown]
                                        ; kill: killed $vgpr50
                                        ; kill: killed $vgpr57
                                        ; kill: killed $vgpr62
                                        ; kill: killed $vgpr55
                                        ; kill: killed $vgpr59
                                        ; kill: killed $vgpr61
	s_nop 0
	global_load_dword v55, v58, s[16:17]
	global_load_dword v57, v51, s[16:17]
	v_cvt_f32_f16_e32 v8, v8
	v_cvt_f32_f16_e32 v16, v16
	s_waitcnt vmcnt(7)
	v_and_b32_e32 v58, 0xf0f0f0f, v63
	v_lshrrev_b32_e32 v50, 4, v63
	s_waitcnt vmcnt(6)
	v_and_b32_e32 v59, 0xf0f0f0f, v64
	v_lshrrev_b32_e32 v51, 4, v64
	v_and_b32_e32 v61, 0xf0f0f0f, v50
	v_dot4c_i32_i8_e32 v48, v58, v9
	v_and_b32_e32 v62, 0xf0f0f0f, v51
	v_dot4c_i32_i8_e32 v49, v59, v9
	v_dot4c_i32_i8_e32 v48, v61, v10
	;; [unrolled: 1-line block ×3, first 2 shown]
	s_waitcnt vmcnt(5)
	v_and_b32_e32 v63, 0xf0f0f0f, v65
	s_waitcnt vmcnt(4)
	v_and_b32_e32 v64, 0xf0f0f0f, v68
	v_dot4c_i32_i8_e32 v48, v63, v11
	v_dot4c_i32_i8_e32 v49, v64, v11
	v_pk_lshrrev_b16 v9, 12, v56 op_sel_hi:[0,1]
	v_pk_lshrrev_b16 v10, 8, v52 op_sel_hi:[0,1]
	;; [unrolled: 1-line block ×3, first 2 shown]
	v_and_b32_e32 v50, 0xf000f000, v53
	v_and_or_b32 v9, v10, s27, v9
	v_and_b32_e32 v10, 0xf000f00, v11
	v_or3_b32 v9, v9, v10, v50
	v_cvt_f32_f16_e32 v10, v9
	v_cvt_f32_f16_sdwa v11, v9 dst_sel:DWORD dst_unused:UNUSED_PAD src0_sel:WORD_1
	v_lshrrev_b32_e32 v53, v21, v60
	v_mov_b32_e32 v54, 0
	s_waitcnt vmcnt(3)
	v_and_b32_e32 v56, 0xf0f0f0f, v69
	v_pk_mul_f32 v[8:9], v[8:9], v[10:11] op_sel_hi:[0,1]
	v_pk_mul_f32 v[10:11], v[16:17], v[10:11] op_sel_hi:[0,1]
	v_lshlrev_b32_e32 v16, 1, v53
	v_and_or_b32 v16, v16, 14, 1
	v_cvt_f32_ubyte0_e32 v51, v16
	v_lshrrev_b32_e32 v16, 2, v53
	v_and_or_b32 v16, v16, 14, 1
	v_cvt_f32_ubyte0_e32 v53, v16
	v_mov_b32_e32 v16, 0
	v_dot4c_i32_i8_e32 v16, v58, v17
	v_mov_b32_e32 v58, 0
	v_dot4c_i32_i8_e32 v54, v56, v5
	v_dot4c_i32_i8_e32 v58, v56, v13
	v_mov_b32_e32 v56, 0
	v_dot4c_i32_i8_e32 v56, v59, v17
	v_mov_b32_e32 v17, 0
	s_waitcnt vmcnt(2)
	v_and_b32_e32 v59, 0xf0f0f0f, v70
	v_dot4c_i32_i8_e32 v17, v59, v5
	v_lshrrev_b32_e32 v5, 4, v69
	v_and_b32_e32 v5, 0xf0f0f0f, v5
	v_mov_b32_e32 v60, 0
	v_dot4c_i32_i8_e32 v54, v5, v6
	v_dot4c_i32_i8_e32 v58, v5, v14
	v_lshrrev_b32_e32 v5, 4, v70
	v_dot4c_i32_i8_e32 v60, v59, v13
	v_and_b32_e32 v5, 0xf0f0f0f, v5
	s_waitcnt vmcnt(1)
	v_and_b32_e32 v13, 0xf0f0f0f, v55
	v_dot4c_i32_i8_e32 v16, v61, v18
	v_dot4c_i32_i8_e32 v56, v62, v18
	;; [unrolled: 1-line block ×6, first 2 shown]
	s_waitcnt vmcnt(0)
	v_and_b32_e32 v13, 0xf0f0f0f, v57
	v_lshrrev_b32_e32 v14, 4, v55
	v_lshrrev_b32_e32 v18, 4, v57
	;; [unrolled: 1-line block ×4, first 2 shown]
	v_and_b32_e32 v14, 0xf0f0f0f, v14
	v_and_b32_e32 v18, 0xf0f0f0f, v18
	v_dot4c_i32_i8_e32 v17, v13, v7
	v_dot4c_i32_i8_e32 v60, v13, v15
	;; [unrolled: 1-line block ×3, first 2 shown]
	v_and_b32_e32 v5, 0xf0f0f0f, v5
	v_and_b32_e32 v6, 0xf0f0f0f, v6
	v_dot4c_i32_i8_e32 v56, v64, v19
	v_dot4c_i32_i8_e32 v54, v14, v66
	;; [unrolled: 1-line block ×9, first 2 shown]
	v_cvt_f32_i32_e32 v7, v17
	v_cvt_f32_i32_e32 v6, v54
	;; [unrolled: 1-line block ×4, first 2 shown]
	v_lshrrev_b32_e32 v52, v24, v71
	v_cvt_f32_i32_e32 v5, v49
	v_cvt_f32_i32_e32 v4, v48
	;; [unrolled: 1-line block ×4, first 2 shown]
	v_lshlrev_b32_e32 v50, 1, v52
	v_lshrrev_b32_e32 v52, 2, v52
	v_and_or_b32 v52, v52, 14, 1
	v_and_or_b32 v50, v50, 14, 1
	v_cvt_f32_ubyte0_e32 v52, v52
	v_pk_add_f32 v[6:7], v[38:39], v[6:7]
	v_pk_add_f32 v[14:15], v[40:41], v[14:15]
	v_cvt_f32_ubyte0_e32 v50, v50
	v_pk_add_f32 v[4:5], v[34:35], v[4:5]
	v_pk_add_f32 v[12:13], v[36:37], v[12:13]
	v_pk_mul_f32 v[6:7], v[6:7], v[52:53]
	v_pk_mul_f32 v[14:15], v[14:15], v[52:53]
	v_pk_fma_f32 v[4:5], v[4:5], v[50:51], v[6:7]
	v_pk_fma_f32 v[6:7], v[12:13], v[50:51], v[14:15]
	;; [unrolled: 1-line block ×4, first 2 shown]
	s_andn2_b64 exec, exec, s[8:9]
	s_cbranch_execnz .LBB221_2
; %bb.3:
	s_or_b64 exec, exec, s[8:9]
	ds_write_b128 v42, v[0:3]
.LBB221_4:
	s_or_b64 exec, exec, s[0:1]
	v_cmp_eq_u32_e32 vcc, 0, v43
	v_cmp_ne_u32_e64 s[0:1], 0, v43
	v_lshlrev_b32_e32 v4, 2, v25
	s_and_saveexec_b64 s[8:9], s[0:1]
	s_cbranch_execz .LBB221_6
; %bb.5:
	v_lshl_or_b32 v5, v43, 10, v4
	v_add_u32_e32 v5, 0xfffffc00, v5
	ds_write2st64_b32 v5, v0, v1 offset1:1
	ds_write2st64_b32 v5, v2, v3 offset0:2 offset1:3
.LBB221_6:
	s_or_b64 exec, exec, s[8:9]
	s_waitcnt lgkmcnt(0)
	s_barrier
	s_and_saveexec_b64 s[0:1], vcc
	s_cbranch_execz .LBB221_11
; %bb.7:
	v_mbcnt_lo_u32_b32 v0, -1, 0
	v_mbcnt_hi_u32_b32 v12, -1, v0
	ds_read2st64_b32 v[2:3], v4 offset1:1
	ds_read_b64 v[6:7], v42
	v_and_b32_e32 v0, 64, v12
	v_add_u32_e32 v13, 64, v0
	v_xor_b32_e32 v0, 32, v12
	v_cmp_lt_i32_e32 vcc, v0, v13
	s_waitcnt lgkmcnt(0)
	v_pk_add_f32 v[2:3], v[2:3], v[6:7]
	v_xor_b32_e32 v1, 16, v12
	v_cndmask_b32_e32 v0, v12, v0, vcc
	v_lshlrev_b32_e32 v0, 2, v0
	ds_bpermute_b32 v6, v0, v2
	ds_bpermute_b32 v7, v0, v3
	v_cmp_lt_i32_e32 vcc, v1, v13
	v_xor_b32_e32 v5, 2, v12
	s_load_dwordx2 s[0:1], s[2:3], 0x38
	v_cndmask_b32_e32 v1, v12, v1, vcc
	v_lshlrev_b32_e32 v1, 2, v1
	s_waitcnt lgkmcnt(0)
	v_pk_add_f32 v[6:7], v[2:3], v[6:7]
	ds_bpermute_b32 v8, v1, v6
	ds_bpermute_b32 v9, v1, v7
	v_xor_b32_e32 v2, 8, v12
	v_cmp_lt_i32_e32 vcc, v2, v13
	v_xor_b32_e32 v3, 4, v12
	s_mul_i32 s2, s5, s14
	v_cndmask_b32_e32 v2, v12, v2, vcc
	v_lshlrev_b32_e32 v2, 2, v2
	s_waitcnt lgkmcnt(0)
	v_pk_add_f32 v[6:7], v[6:7], v[8:9]
	ds_bpermute_b32 v8, v2, v6
	ds_bpermute_b32 v9, v2, v7
	v_cmp_lt_i32_e32 vcc, v3, v13
	s_mul_i32 s6, s6, s18
	s_add_i32 s2, s2, s7
	v_cndmask_b32_e32 v3, v12, v3, vcc
	v_lshlrev_b32_e32 v3, 2, v3
	s_waitcnt lgkmcnt(0)
	v_pk_add_f32 v[6:7], v[6:7], v[8:9]
	ds_bpermute_b32 v8, v3, v6
	ds_bpermute_b32 v9, v3, v7
	v_cmp_lt_i32_e32 vcc, v5, v13
	s_add_i32 s2, s2, s6
	s_mov_b32 s3, 0
	v_cndmask_b32_e32 v5, v12, v5, vcc
	v_lshlrev_b32_e32 v5, 2, v5
	s_waitcnt lgkmcnt(0)
	v_pk_add_f32 v[8:9], v[6:7], v[8:9]
	ds_bpermute_b32 v10, v5, v8
	ds_bpermute_b32 v11, v5, v9
	v_xor_b32_e32 v6, 1, v12
	v_cmp_lt_i32_e32 vcc, v6, v13
	s_lshl_b64 s[2:3], s[2:3], 2
	s_add_u32 s2, s0, s2
	v_cndmask_b32_e32 v6, v12, v6, vcc
	v_lshlrev_b32_e32 v6, 2, v6
	s_waitcnt lgkmcnt(0)
	v_pk_add_f32 v[8:9], v[8:9], v[10:11]
	ds_bpermute_b32 v10, v6, v8
	ds_bpermute_b32 v11, v6, v9
	v_or_b32_e32 v7, s7, v25
	s_addc_u32 s3, s1, s3
	v_cmp_gt_u32_e32 vcc, 2, v25
	v_cmp_gt_u32_e64 s[0:1], s10, v7
	s_and_b64 s[0:1], vcc, s[0:1]
	s_waitcnt lgkmcnt(0)
	v_pk_add_f32 v[8:9], v[8:9], v[10:11]
	ds_write_b64 v42, v[8:9]
	s_and_saveexec_b64 s[4:5], s[0:1]
	s_cbranch_execz .LBB221_9
; %bb.8:
	v_add_u32_e32 v7, v42, v4
	ds_read_b32 v7, v7
	s_waitcnt lgkmcnt(0)
	global_store_dword v4, v7, s[2:3]
.LBB221_9:
	s_or_b64 exec, exec, s[4:5]
	ds_read2st64_b32 v[8:9], v4 offset0:2 offset1:3
	ds_read_b64 v[10:11], v42 offset:8
	s_waitcnt lgkmcnt(0)
	v_pk_add_f32 v[8:9], v[8:9], v[10:11]
	ds_bpermute_b32 v10, v0, v8
	ds_bpermute_b32 v11, v0, v9
	s_waitcnt lgkmcnt(0)
	v_pk_add_f32 v[8:9], v[8:9], v[10:11]
	ds_bpermute_b32 v0, v1, v8
	ds_bpermute_b32 v1, v1, v9
	;; [unrolled: 4-line block ×6, first 2 shown]
	s_waitcnt lgkmcnt(0)
	v_pk_add_f32 v[0:1], v[0:1], v[2:3]
	ds_write_b64 v42, v[0:1] offset:8
	s_and_b64 exec, exec, s[0:1]
	s_cbranch_execz .LBB221_11
; %bb.10:
	v_lshl_add_u32 v0, v25, 2, v42
	ds_read_b32 v2, v0 offset:8
	v_add_u32_e32 v0, s10, v25
	v_mov_b32_e32 v1, 0
	v_lshl_add_u64 v[0:1], v[0:1], 2, s[2:3]
	s_waitcnt lgkmcnt(0)
	global_store_dword v[0:1], v2, off
.LBB221_11:
	s_endpgm
	.section	.rodata,"a",@progbits
	.p2align	6, 0x0
	.amdhsa_kernel _ZL13mul_mat_vec_qIL9ggml_type29ELi2ELb0ELb0EEvPKvS2_PKi31ggml_cuda_mm_fusion_args_devicePfj15HIP_vector_typeIjLj3EEjjjS8_jjjS8_jjjj
		.amdhsa_group_segment_fixed_size 3072
		.amdhsa_private_segment_fixed_size 0
		.amdhsa_kernarg_size 144
		.amdhsa_user_sgpr_count 4
		.amdhsa_user_sgpr_dispatch_ptr 1
		.amdhsa_user_sgpr_queue_ptr 0
		.amdhsa_user_sgpr_kernarg_segment_ptr 1
		.amdhsa_user_sgpr_dispatch_id 0
		.amdhsa_user_sgpr_kernarg_preload_length 0
		.amdhsa_user_sgpr_kernarg_preload_offset 0
		.amdhsa_user_sgpr_private_segment_size 0
		.amdhsa_uses_dynamic_stack 0
		.amdhsa_enable_private_segment 0
		.amdhsa_system_sgpr_workgroup_id_x 1
		.amdhsa_system_sgpr_workgroup_id_y 1
		.amdhsa_system_sgpr_workgroup_id_z 1
		.amdhsa_system_sgpr_workgroup_info 0
		.amdhsa_system_vgpr_workitem_id 2
		.amdhsa_next_free_vgpr 72
		.amdhsa_next_free_sgpr 30
		.amdhsa_accum_offset 72
		.amdhsa_reserve_vcc 1
		.amdhsa_float_round_mode_32 0
		.amdhsa_float_round_mode_16_64 0
		.amdhsa_float_denorm_mode_32 3
		.amdhsa_float_denorm_mode_16_64 3
		.amdhsa_dx10_clamp 1
		.amdhsa_ieee_mode 1
		.amdhsa_fp16_overflow 0
		.amdhsa_tg_split 0
		.amdhsa_exception_fp_ieee_invalid_op 0
		.amdhsa_exception_fp_denorm_src 0
		.amdhsa_exception_fp_ieee_div_zero 0
		.amdhsa_exception_fp_ieee_overflow 0
		.amdhsa_exception_fp_ieee_underflow 0
		.amdhsa_exception_fp_ieee_inexact 0
		.amdhsa_exception_int_div_zero 0
	.end_amdhsa_kernel
	.section	.text._ZL13mul_mat_vec_qIL9ggml_type29ELi2ELb0ELb0EEvPKvS2_PKi31ggml_cuda_mm_fusion_args_devicePfj15HIP_vector_typeIjLj3EEjjjS8_jjjS8_jjjj,"axG",@progbits,_ZL13mul_mat_vec_qIL9ggml_type29ELi2ELb0ELb0EEvPKvS2_PKi31ggml_cuda_mm_fusion_args_devicePfj15HIP_vector_typeIjLj3EEjjjS8_jjjS8_jjjj,comdat
.Lfunc_end221:
	.size	_ZL13mul_mat_vec_qIL9ggml_type29ELi2ELb0ELb0EEvPKvS2_PKi31ggml_cuda_mm_fusion_args_devicePfj15HIP_vector_typeIjLj3EEjjjS8_jjjS8_jjjj, .Lfunc_end221-_ZL13mul_mat_vec_qIL9ggml_type29ELi2ELb0ELb0EEvPKvS2_PKi31ggml_cuda_mm_fusion_args_devicePfj15HIP_vector_typeIjLj3EEjjjS8_jjjS8_jjjj
                                        ; -- End function
	.section	.AMDGPU.csdata,"",@progbits
; Kernel info:
; codeLenInByte = 2852
; NumSgprs: 36
; NumVgprs: 72
; NumAgprs: 0
; TotalNumVgprs: 72
; ScratchSize: 0
; MemoryBound: 0
; FloatMode: 240
; IeeeMode: 1
; LDSByteSize: 3072 bytes/workgroup (compile time only)
; SGPRBlocks: 4
; VGPRBlocks: 8
; NumSGPRsForWavesPerEU: 36
; NumVGPRsForWavesPerEU: 72
; AccumOffset: 72
; Occupancy: 7
; WaveLimiterHint : 0
; COMPUTE_PGM_RSRC2:SCRATCH_EN: 0
; COMPUTE_PGM_RSRC2:USER_SGPR: 4
; COMPUTE_PGM_RSRC2:TRAP_HANDLER: 0
; COMPUTE_PGM_RSRC2:TGID_X_EN: 1
; COMPUTE_PGM_RSRC2:TGID_Y_EN: 1
; COMPUTE_PGM_RSRC2:TGID_Z_EN: 1
; COMPUTE_PGM_RSRC2:TIDIG_COMP_CNT: 2
; COMPUTE_PGM_RSRC3_GFX90A:ACCUM_OFFSET: 17
; COMPUTE_PGM_RSRC3_GFX90A:TG_SPLIT: 0
	.section	.text._ZL13mul_mat_vec_qIL9ggml_type29ELi3ELb0ELb0EEvPKvS2_PKi31ggml_cuda_mm_fusion_args_devicePfj15HIP_vector_typeIjLj3EEjjjS8_jjjS8_jjjj,"axG",@progbits,_ZL13mul_mat_vec_qIL9ggml_type29ELi3ELb0ELb0EEvPKvS2_PKi31ggml_cuda_mm_fusion_args_devicePfj15HIP_vector_typeIjLj3EEjjjS8_jjjS8_jjjj,comdat
	.globl	_ZL13mul_mat_vec_qIL9ggml_type29ELi3ELb0ELb0EEvPKvS2_PKi31ggml_cuda_mm_fusion_args_devicePfj15HIP_vector_typeIjLj3EEjjjS8_jjjS8_jjjj ; -- Begin function _ZL13mul_mat_vec_qIL9ggml_type29ELi3ELb0ELb0EEvPKvS2_PKi31ggml_cuda_mm_fusion_args_devicePfj15HIP_vector_typeIjLj3EEjjjS8_jjjS8_jjjj
	.p2align	8
	.type	_ZL13mul_mat_vec_qIL9ggml_type29ELi3ELb0ELb0EEvPKvS2_PKi31ggml_cuda_mm_fusion_args_devicePfj15HIP_vector_typeIjLj3EEjjjS8_jjjS8_jjjj,@function
_ZL13mul_mat_vec_qIL9ggml_type29ELi3ELb0ELb0EEvPKvS2_PKi31ggml_cuda_mm_fusion_args_devicePfj15HIP_vector_typeIjLj3EEjjjS8_jjjS8_jjjj: ; @_ZL13mul_mat_vec_qIL9ggml_type29ELi3ELb0ELb0EEvPKvS2_PKi31ggml_cuda_mm_fusion_args_devicePfj15HIP_vector_typeIjLj3EEjjjS8_jjjS8_jjjj
; %bb.0:
	v_bfe_u32 v35, v0, 10, 10
	v_and_b32_e32 v19, 0x3ff, v0
	s_load_dword s6, s[0:1], 0x40
	s_load_dwordx4 s[8:11], s[0:1], 0x50
	s_load_dword s27, s[0:1], 0x60
	s_load_dwordx4 s[12:15], s[0:1], 0x68
	s_load_dword s26, s[0:1], 0x78
	s_load_dwordx4 s[16:19], s[0:1], 0x80
	v_lshl_add_u32 v4, v35, 6, v19
	s_waitcnt lgkmcnt(0)
	s_lshr_b32 s19, s6, 8
	v_mov_b32_e32 v0, 0
	v_lshrrev_b32_e32 v37, 3, v4
	s_lshl_b32 s5, s2, 1
	v_mov_b32_e32 v1, v0
	v_mov_b32_e32 v2, v0
	;; [unrolled: 1-line block ×3, first 2 shown]
	v_cmp_gt_u32_e32 vcc, s19, v37
	v_mov_b32_e32 v17, v0
	v_mov_b32_e32 v16, v0
	scratch_store_dwordx2 off, v[0:1], off offset:16
	scratch_store_dwordx4 off, v[0:3], off
	s_and_saveexec_b64 s[6:7], vcc
	s_cbranch_execz .LBB222_4
; %bb.1:
	s_load_dwordx4 s[20:23], s[0:1], 0x0
	s_mul_i32 s2, s4, s17
	s_mul_i32 s24, s2, 36
	s_mul_i32 s13, s3, s13
	s_mul_hi_u32 s17, s2, 36
	s_waitcnt lgkmcnt(0)
	s_add_u32 s24, s22, s24
	s_addc_u32 s17, s23, s17
	s_mul_i32 s28, s13, 36
	s_mul_hi_u32 s29, s13, 36
	s_add_u32 s24, s24, s28
	s_mul_hi_u32 s11, s11, s3
	s_addc_u32 s25, s17, s29
	s_add_i32 s11, s3, s11
	s_lshr_b32 s11, s11, s27
	s_mul_i32 s11, s11, s12
	s_mul_hi_u32 s12, s15, s4
	s_add_i32 s12, s4, s12
	s_lshr_b32 s12, s12, s26
	s_mul_i32 s12, s12, s16
	s_add_i32 s15, s12, s11
	s_add_i32 s12, s5, 1
	v_and_b32_e32 v1, 1, v19
	s_mul_i32 s13, s5, s8
	s_mul_i32 s8, s8, s12
	v_cmp_eq_u32_e32 vcc, 1, v1
	s_add_i32 s11, s15, s13
	s_add_i32 s15, s15, s8
	v_lshlrev_b32_e32 v1, 3, v37
	s_movk_i32 s8, 0x120
	v_mov_b64_e32 v[2:3], s[28:29]
	v_add_u32_e32 v39, s9, v1
	v_lshl_add_u32 v42, s9, 1, v1
	v_mad_u64_u32 v[2:3], s[8:9], v37, s8, v[2:3]
	v_and_b32_e32 v12, 7, v19
	v_mad_u64_u32 v[2:3], s[8:9], s2, 36, v[2:3]
	v_mad_u64_u32 v[2:3], s[8:9], v12, 36, v[2:3]
	v_mov_b32_e32 v15, 0
	v_bfe_u32 v0, v19, 1, 2
	v_cndmask_b32_e64 v18, 0, 6, vcc
	v_lshl_add_u64 v[2:3], v[2:3], 0, s[22:23]
	s_mov_b32 s12, 0xbf600000
	v_lshlrev_b32_e32 v14, 1, v12
	v_mov_b32_e32 v13, v18
	v_lshl_add_u64 v[20:21], v[2:3], 0, 32
	s_mov_b64 s[8:9], 0
	v_lshlrev_b32_e32 v22, 2, v12
	s_movk_i32 s22, 0x700
	v_lshlrev_b32_e32 v24, 1, v0
	s_mov_b32 s2, 0x3d000000
	v_mov_b64_e32 v[26:27], s[12:13]
	s_mov_b32 s23, 0x5040100
	s_mov_b32 s26, 0x7060302
	;; [unrolled: 1-line block ×3, first 2 shown]
	s_mov_b64 s[12:13], 0x1200
	v_mov_b32_e32 v23, v15
	v_mov_b32_e32 v43, 8
	;; [unrolled: 1-line block ×10, first 2 shown]
.LBB222_2:                              ; =>This Inner Loop Header: Depth=1
	global_load_dwordx4 v[8:11], v[20:21], off offset:-32
	global_load_dword v61, v[20:21], off
	global_load_dwordx4 v[4:7], v[20:21], off offset:-16
	v_mov_b32_e32 v30, 0
	v_add_u32_e32 v29, s11, v37
	v_mov_b32_e32 v64, 0
	v_mov_b32_e32 v68, 0
	;; [unrolled: 1-line block ×7, first 2 shown]
	v_lshl_add_u64 v[20:21], v[20:21], 0, s[12:13]
	s_waitcnt vmcnt(2)
	v_dot4c_i32_i8_e32 v30, 0x1010101, v11
	v_dot4c_i32_i8_e32 v28, 0x1010101, v9
	s_waitcnt vmcnt(0)
	v_dot4c_i32_i8_e32 v30, 0x1010101, v4
	v_dot4c_i32_i8_e32 v28, 0x1010101, v10
	v_cvt_f32_f16_e32 v8, v8
	s_nop 0
	v_cvt_f32_i32_e32 v36, v30
	v_mov_b32_e32 v30, 0
	v_dot4c_i32_i8_e32 v30, 0x1010101, v5
	v_dot4c_i32_i8_e32 v30, 0x1010101, v6
	v_cvt_f32_i32_e32 v28, v28
	s_nop 1
	v_cvt_f32_i32_e32 v38, v30
	v_mov_b32_e32 v30, 0
	v_dot4c_i32_i8_e32 v30, 0x1010101, v7
	v_dot4c_i32_i8_e32 v30, 0x1010101, v61
	s_nop 2
	v_cvt_f32_i32_e32 v34, v30
	v_mad_i64_i32 v[30:31], s[16:17], v29, 56, s[20:21]
	v_lshl_add_u64 v[32:33], v[30:31], 0, v[22:23]
	global_load_dword v29, v[32:33], off
	v_lshl_add_u64 v[32:33], v[30:31], 0, v[14:15]
	global_load_ushort v32, v[32:33], off offset:32
	s_getpc_b64 s[16:17]
	s_add_u32 s16, s16, _ZL13iq1s_grid_gpu@rel32@lo+4
	s_addc_u32 s17, s17, _ZL13iq1s_grid_gpu@rel32@hi+12
	s_waitcnt vmcnt(1)
	v_and_b32_e32 v33, 0xff, v29
	v_lshrrev_b32_e32 v40, 24, v29
	s_waitcnt vmcnt(0)
	v_lshlrev_b32_e32 v41, 8, v32
	v_and_or_b32 v33, v41, s22, v33
	v_lshlrev_b32_e32 v33, 2, v33
	global_load_dword v33, v33, s[16:17]
	v_lshlrev_b32_e32 v41, 4, v32
	v_and_b32_e32 v62, 8, v32
	v_lshrrev_b32_e32 v63, 4, v32
	v_lshrrev_b32_sdwa v65, v44, v32 dst_sel:DWORD dst_unused:UNUSED_PAD src0_sel:DWORD src1_sel:BYTE_1
	s_waitcnt vmcnt(0)
	v_and_b32_e32 v45, 0xf0f0f0f, v33
	v_lshrrev_b32_e32 v33, 4, v33
	v_and_b32_e32 v46, 0xf0f0f0f, v33
	v_bfe_u32 v33, v29, 8, 8
	v_and_or_b32 v33, v41, s22, v33
	v_lshlrev_b32_e32 v33, 2, v33
	global_load_dword v33, v33, s[16:17]
	v_bfe_u32 v29, v29, 16, 8
	v_dot4c_i32_i8_e32 v64, v45, v9
	v_dot4c_i32_i8_e32 v64, v46, v10
	s_waitcnt vmcnt(0)
	v_and_b32_e32 v47, 0xf0f0f0f, v33
	v_lshrrev_b32_e32 v33, 4, v33
	v_and_b32_e32 v48, 0xf0f0f0f, v33
	v_lshlrev_b32_sdwa v33, v43, v32 dst_sel:DWORD dst_unused:UNUSED_PAD src0_sel:DWORD src1_sel:BYTE_1
	v_and_or_b32 v29, v33, s22, v29
	v_lshlrev_b32_e32 v29, 2, v29
	global_load_dword v29, v29, s[16:17]
	v_dot4c_i32_i8_e32 v64, v47, v11
	v_dot4c_i32_i8_e32 v64, v48, v4
	s_waitcnt vmcnt(0)
	v_and_b32_e32 v49, 0xf0f0f0f, v29
	v_lshrrev_b32_e32 v29, 4, v29
	v_and_b32_e32 v50, 0xf0f0f0f, v29
	v_and_b32_sdwa v29, v32, v43 dst_sel:DWORD dst_unused:UNUSED_PAD src0_sel:BYTE_1 src1_sel:DWORD
	v_lshlrev_b32_sdwa v32, v44, v32 dst_sel:DWORD dst_unused:UNUSED_PAD src0_sel:DWORD src1_sel:BYTE_1
	v_and_or_b32 v32, v32, s22, v40
	v_lshlrev_b32_e32 v32, 2, v32
	global_load_dword v32, v32, s[16:17]
	v_dot4c_i32_i8_e32 v66, v49, v5
	global_load_dwordx2 v[40:41], v[30:31], off offset:48
	v_lshl_add_u64 v[30:31], v[30:31], 0, v[24:25]
	global_load_ushort v67, v[30:31], off offset:48
	v_add_u32_e32 v30, s15, v37
	v_mad_i64_i32 v[30:31], s[28:29], v30, 56, s[20:21]
	v_dot4c_i32_i8_e32 v66, v50, v6
	s_waitcnt vmcnt(2)
	v_and_b32_e32 v51, 0xf0f0f0f, v32
	v_lshrrev_b32_e32 v32, 4, v32
	v_and_b32_e32 v52, 0xf0f0f0f, v32
	v_lshl_add_u64 v[32:33], v[30:31], 0, v[22:23]
	global_load_dword v57, v[32:33], off
	v_lshl_add_u64 v[32:33], v[30:31], 0, v[14:15]
	global_load_ushort v32, v[32:33], off offset:32
	v_dot4c_i32_i8_e32 v66, v51, v7
	v_dot4c_i32_i8_e32 v66, v52, v61
	s_waitcnt vmcnt(1)
	v_and_b32_e32 v33, 0xff, v57
	v_lshrrev_b32_e32 v59, 24, v57
	s_waitcnt vmcnt(0)
	v_lshlrev_b32_e32 v53, 8, v32
	v_and_or_b32 v33, v53, s22, v33
	v_lshlrev_b32_e32 v33, 2, v33
	global_load_dword v33, v33, s[16:17]
	v_lshlrev_b32_e32 v55, 4, v32
	v_and_b32_sdwa v70, v32, v43 dst_sel:DWORD dst_unused:UNUSED_PAD src0_sel:BYTE_1 src1_sel:DWORD
	v_lshrrev_b32_sdwa v71, v44, v32 dst_sel:DWORD dst_unused:UNUSED_PAD src0_sel:DWORD src1_sel:BYTE_1
	s_waitcnt vmcnt(0)
	v_and_b32_e32 v53, 0xf0f0f0f, v33
	v_lshrrev_b32_e32 v33, 4, v33
	v_and_b32_e32 v54, 0xf0f0f0f, v33
	v_bfe_u32 v33, v57, 8, 8
	v_and_or_b32 v33, v55, s22, v33
	v_lshlrev_b32_e32 v33, 2, v33
	global_load_dword v33, v33, s[16:17]
	v_dot4c_i32_i8_e32 v68, v53, v9
	v_dot4c_i32_i8_e32 v68, v54, v10
	v_and_b32_e32 v9, 8, v32
	v_lshrrev_b32_e32 v10, 4, v32
	v_and_b32_e32 v10, 8, v10
	s_waitcnt vmcnt(0)
	v_and_b32_e32 v55, 0xf0f0f0f, v33
	v_lshrrev_b32_e32 v33, 4, v33
	v_and_b32_e32 v56, 0xf0f0f0f, v33
	v_dot4c_i32_i8_e32 v68, v55, v11
	v_dot4c_i32_i8_e32 v68, v56, v4
	v_bfe_u32 v4, v57, 16, 8
	v_lshlrev_b32_sdwa v11, v43, v32 dst_sel:DWORD dst_unused:UNUSED_PAD src0_sel:DWORD src1_sel:BYTE_1
	v_and_or_b32 v4, v11, s22, v4
	v_lshlrev_b32_e32 v4, 2, v4
	global_load_dword v4, v4, s[16:17]
	v_cvt_f32_ubyte0_e32 v11, v10
	s_waitcnt vmcnt(0)
	v_and_b32_e32 v57, 0xf0f0f0f, v4
	v_lshrrev_b32_e32 v4, 4, v4
	v_and_b32_e32 v58, 0xf0f0f0f, v4
	v_lshlrev_b32_sdwa v4, v44, v32 dst_sel:DWORD dst_unused:UNUSED_PAD src0_sel:DWORD src1_sel:BYTE_1
	v_and_or_b32 v4, v4, s22, v59
	v_lshlrev_b32_e32 v4, 2, v4
	global_load_dword v4, v4, s[16:17]
	v_dot4c_i32_i8_e32 v69, v57, v5
	v_dot4c_i32_i8_e32 v69, v58, v6
	s_waitcnt vmcnt(0)
	v_and_b32_e32 v59, 0xf0f0f0f, v4
	v_lshrrev_b32_e32 v4, 4, v4
	v_and_b32_e32 v60, 0xf0f0f0f, v4
	global_load_dwordx2 v[4:5], v[30:31], off offset:48
	v_dot4c_i32_i8_e32 v69, v59, v7
	v_lshl_add_u64 v[6:7], v[30:31], 0, v[24:25]
	v_dot4c_i32_i8_e32 v69, v60, v61
	global_load_ushort v61, v[6:7], off offset:48
	v_cvt_f32_ubyte0_e32 v7, v9
	v_and_b32_e32 v9, 8, v63
	v_cvt_f32_ubyte0_e32 v6, v62
	v_cvt_f32_ubyte0_e32 v10, v9
	v_pk_fma_f32 v[32:33], v[6:7], s[2:3], v[26:27] op_sel_hi:[1,0,0] neg_lo:[1,0,0] neg_hi:[1,0,0]
	v_pk_fma_f32 v[30:31], v[10:11], s[2:3], v[26:27] op_sel_hi:[1,0,0] neg_lo:[1,0,0] neg_hi:[1,0,0]
	v_cvt_f32_ubyte0_e32 v11, v70
	v_cvt_f32_ubyte0_e32 v10, v29
	v_pk_fma_f32 v[6:7], v[32:33], v[28:29], 0 op_sel_hi:[1,0,0]
	v_pk_fma_f32 v[28:29], v[10:11], s[2:3], v[26:27] op_sel_hi:[1,0,0] neg_lo:[1,0,0] neg_hi:[1,0,0]
	v_and_b32_e32 v9, 8, v65
	v_and_b32_e32 v10, 8, v71
	v_cvt_f32_ubyte0_e32 v11, v10
	v_cvt_f32_ubyte0_e32 v10, v9
	v_pk_fma_f32 v[62:63], v[28:29], v[38:39], 0 op_sel_hi:[1,0,0]
	v_pk_fma_f32 v[10:11], v[10:11], s[2:3], v[26:27] op_sel_hi:[1,0,0] neg_lo:[1,0,0] neg_hi:[1,0,0]
	v_pk_fma_f32 v[6:7], v[30:31], v[36:37], v[6:7] op_sel_hi:[1,0,1]
	v_pk_fma_f32 v[62:63], v[10:11], v[34:35], v[62:63] op_sel_hi:[1,0,1]
	v_mov_b32_e32 v70, 0
	v_mov_b32_e32 v71, 0
	s_waitcnt vmcnt(1)
	v_perm_b32 v9, v4, v40, s23
	v_perm_b32 v4, v4, v40, s26
	v_pk_lshrrev_b16 v9, 12, v9 op_sel_hi:[0,1]
	v_pk_lshrrev_b16 v4, 8, v4 op_sel_hi:[0,1]
	v_and_or_b32 v4, v4, s27, v9
	v_perm_b32 v9, v5, v41, s23
	v_pk_lshrrev_b16 v9, 4, v9 op_sel_hi:[0,1]
	v_perm_b32 v5, v5, v41, s26
	v_and_b32_e32 v9, 0xf000f00, v9
	v_and_b32_e32 v5, 0xf000f000, v5
	v_or3_b32 v5, v4, v9, v5
	v_cvt_f32_f16_e32 v4, v5
	v_cvt_f32_f16_sdwa v5, v5 dst_sel:DWORD dst_unused:UNUSED_PAD src0_sel:WORD_1
	v_pk_mul_f32 v[40:41], v[8:9], v[4:5] op_sel_hi:[0,1]
	v_lshrrev_b32_e32 v8, v18, v67
	s_waitcnt vmcnt(0)
	v_lshrrev_b32_e32 v9, v13, v61
	v_lshlrev_b32_e32 v34, 1, v9
	v_lshlrev_b32_e32 v36, 1, v8
	v_lshrrev_b32_e32 v9, 2, v9
	v_lshrrev_b32_e32 v8, 2, v8
	v_and_or_b32 v38, v8, 14, 1
	v_and_or_b32 v61, v9, 14, 1
	v_cvt_f32_i32_e32 v9, v68
	v_cvt_f32_i32_e32 v8, v64
	v_and_or_b32 v36, v36, 14, 1
	v_and_or_b32 v34, v34, 14, 1
	v_pk_add_f32 v[64:65], v[6:7], v[8:9]
	v_cvt_f32_i32_e32 v9, v69
	v_cvt_f32_i32_e32 v8, v66
	v_cvt_f32_ubyte0_e32 v7, v34
	v_cvt_f32_ubyte0_e32 v6, v36
	v_mov_b32_e32 v34, 0
	v_pk_add_f32 v[62:63], v[62:63], v[8:9]
	v_cvt_f32_ubyte0_e32 v9, v61
	v_cvt_f32_ubyte0_e32 v8, v38
	v_pk_mul_f32 v[62:63], v[62:63], v[8:9]
	v_mov_b32_e32 v38, 0
	v_pk_fma_f32 v[62:63], v[64:65], v[6:7], v[62:63]
	v_mov_b32_e32 v36, 0
	v_pk_fma_f32 v[0:1], v[40:41], v[62:63], v[0:1]
	v_mad_u64_u32 v[40:41], s[16:17], v39, 36, s[24:25]
	v_mad_u64_u32 v[40:41], s[16:17], v12, 36, v[40:41]
	global_load_dwordx4 v[62:65], v[40:41], off
	global_load_dword v61, v[40:41], off offset:32
	global_load_dwordx4 v[66:69], v[40:41], off offset:16
	v_mov_b32_e32 v40, 0
	s_waitcnt vmcnt(2)
	v_dot4c_i32_i8_e32 v34, 0x1010101, v63
	v_dot4c_i32_i8_e32 v70, v45, v63
	s_waitcnt vmcnt(0)
	v_dot4c_i32_i8_e32 v38, 0x1010101, v67
	v_dot4c_i32_i8_e32 v38, 0x1010101, v68
	;; [unrolled: 1-line block ×5, first 2 shown]
	v_cvt_f32_i32_e32 v38, v38
	v_dot4c_i32_i8_e32 v34, 0x1010101, v64
	v_cvt_f32_i32_e32 v40, v40
	v_dot4c_i32_i8_e32 v36, 0x1010101, v65
	v_dot4c_i32_i8_e32 v70, v46, v64
	;; [unrolled: 1-line block ×3, first 2 shown]
	v_cvt_f32_i32_e32 v34, v34
	v_dot4c_i32_i8_e32 v36, 0x1010101, v66
	v_dot4c_i32_i8_e32 v70, v47, v65
	;; [unrolled: 1-line block ×4, first 2 shown]
	v_cvt_f32_i32_e32 v36, v36
	v_dot4c_i32_i8_e32 v71, v49, v67
	v_dot4c_i32_i8_e32 v72, v56, v66
	;; [unrolled: 1-line block ×3, first 2 shown]
	v_pk_fma_f32 v[66:67], v[28:29], v[38:39], 0 op_sel_hi:[1,0,0]
	v_dot4c_i32_i8_e32 v71, v50, v68
	v_pk_fma_f32 v[40:41], v[10:11], v[40:41], v[66:67] op_sel_hi:[1,0,1]
	v_cvt_f32_i32_e32 v67, v72
	v_cvt_f32_i32_e32 v66, v70
	v_dot4c_i32_i8_e32 v73, v58, v68
	v_dot4c_i32_i8_e32 v71, v51, v69
	;; [unrolled: 1-line block ×3, first 2 shown]
	v_pk_fma_f32 v[64:65], v[32:33], v[34:35], 0 op_sel_hi:[1,0,0]
	v_dot4c_i32_i8_e32 v71, v52, v61
	v_dot4c_i32_i8_e32 v73, v60, v61
	v_pk_fma_f32 v[64:65], v[30:31], v[36:37], v[64:65] op_sel_hi:[1,0,1]
	v_cvt_f32_f16_e32 v62, v62
	v_pk_add_f32 v[64:65], v[64:65], v[66:67]
	v_cvt_f32_i32_e32 v67, v73
	v_cvt_f32_i32_e32 v66, v71
	v_pk_mul_f32 v[62:63], v[62:63], v[4:5] op_sel_hi:[0,1]
	v_mov_b32_e32 v34, 0
	v_pk_add_f32 v[40:41], v[40:41], v[66:67]
	s_nop 0
	v_pk_mul_f32 v[40:41], v[40:41], v[8:9]
	s_nop 0
	v_pk_fma_f32 v[40:41], v[64:65], v[6:7], v[40:41]
	s_nop 0
	v_pk_fma_f32 v[2:3], v[62:63], v[40:41], v[2:3]
	v_mad_u64_u32 v[40:41], s[16:17], v42, 36, s[24:25]
	v_mad_u64_u32 v[40:41], s[16:17], v12, 36, v[40:41]
	global_load_dwordx4 v[62:65], v[40:41], off
	global_load_dword v61, v[40:41], off offset:32
	global_load_dwordx4 v[66:69], v[40:41], off offset:16
	v_mov_b32_e32 v40, 0
	v_mov_b32_e32 v41, 0
	v_add_u32_e32 v42, 0x80, v42
	s_waitcnt vmcnt(2)
	v_dot4c_i32_i8_e32 v34, 0x1010101, v63
	v_dot4c_i32_i8_e32 v34, 0x1010101, v64
	v_dot4c_i32_i8_e32 v40, v45, v63
	v_mov_b32_e32 v45, 0
	v_dot4c_i32_i8_e32 v45, v53, v63
	v_cvt_f32_i32_e32 v70, v34
	v_mov_b32_e32 v34, 0
	v_dot4c_i32_i8_e32 v34, 0x1010101, v65
	s_waitcnt vmcnt(0)
	v_dot4c_i32_i8_e32 v34, 0x1010101, v66
	v_dot4c_i32_i8_e32 v40, v46, v64
	;; [unrolled: 1-line block ×4, first 2 shown]
	v_cvt_f32_i32_e32 v72, v34
	v_mov_b32_e32 v34, 0
	v_dot4c_i32_i8_e32 v34, 0x1010101, v67
	v_dot4c_i32_i8_e32 v34, 0x1010101, v68
	;; [unrolled: 1-line block ×5, first 2 shown]
	v_cvt_f32_i32_e32 v38, v34
	v_mov_b32_e32 v34, 0
	v_dot4c_i32_i8_e32 v34, 0x1010101, v69
	v_dot4c_i32_i8_e32 v34, 0x1010101, v61
	v_mov_b32_e32 v46, 0
	v_pk_fma_f32 v[28:29], v[28:29], v[38:39], 0 op_sel_hi:[1,0,0]
	v_dot4c_i32_i8_e32 v41, v49, v67
	v_cvt_f32_i32_e32 v36, v34
	v_dot4c_i32_i8_e32 v46, v57, v67
	v_dot4c_i32_i8_e32 v41, v50, v68
	;; [unrolled: 1-line block ×3, first 2 shown]
	v_pk_fma_f32 v[10:11], v[10:11], v[36:37], v[28:29] op_sel_hi:[1,0,1]
	v_cvt_f32_i32_e32 v29, v45
	v_cvt_f32_i32_e32 v28, v40
	v_dot4c_i32_i8_e32 v41, v51, v69
	v_dot4c_i32_i8_e32 v46, v59, v69
	v_pk_fma_f32 v[32:33], v[32:33], v[70:71], 0 op_sel_hi:[1,0,0]
	v_dot4c_i32_i8_e32 v41, v52, v61
	v_dot4c_i32_i8_e32 v46, v60, v61
	v_pk_fma_f32 v[30:31], v[30:31], v[72:73], v[32:33] op_sel_hi:[1,0,1]
	v_cvt_f32_f16_e32 v34, v62
	v_pk_add_f32 v[28:29], v[30:31], v[28:29]
	v_cvt_f32_i32_e32 v31, v46
	v_cvt_f32_i32_e32 v30, v41
	v_add_u32_e32 v37, 16, v37
	v_pk_mul_f32 v[4:5], v[34:35], v[4:5] op_sel_hi:[0,1]
	v_cmp_le_u32_e32 vcc, s19, v37
	v_pk_add_f32 v[10:11], v[10:11], v[30:31]
	v_add_u32_e32 v39, 0x80, v39
	v_pk_mul_f32 v[8:9], v[10:11], v[8:9]
	s_or_b64 s[8:9], vcc, s[8:9]
	v_pk_fma_f32 v[6:7], v[28:29], v[6:7], v[8:9]
	s_nop 0
	v_pk_fma_f32 v[16:17], v[4:5], v[6:7], v[16:17]
	s_andn2_b64 exec, exec, s[8:9]
	s_cbranch_execnz .LBB222_2
; %bb.3:
	s_or_b64 exec, exec, s[8:9]
	scratch_store_dwordx4 off, v[0:3], off
	scratch_store_dwordx2 off, v[16:17], off offset:16
.LBB222_4:
	s_or_b64 exec, exec, s[6:7]
	v_cmp_eq_u32_e32 vcc, 0, v35
	v_cmp_ne_u32_e64 s[6:7], 0, v35
	v_lshlrev_b32_e32 v4, 2, v19
	s_and_saveexec_b64 s[8:9], s[6:7]
	s_cbranch_execz .LBB222_6
; %bb.5:
	v_mul_u32_u24_e32 v5, 0x600, v35
	s_movk_i32 s2, 0xfa00
	v_add3_u32 v5, v5, v4, s2
	ds_write2st64_b32 v5, v0, v1 offset1:1
	ds_write2st64_b32 v5, v2, v3 offset0:2 offset1:3
	ds_write2st64_b32 v5, v16, v17 offset0:4 offset1:5
.LBB222_6:
	s_or_b64 exec, exec, s[8:9]
	s_waitcnt lgkmcnt(0)
	s_barrier
	s_and_saveexec_b64 s[6:7], vcc
	s_cbranch_execz .LBB222_13
; %bb.7:
	scratch_load_dwordx2 v[2:3], off, off
	v_mbcnt_lo_u32_b32 v0, -1, 0
	ds_read2st64_b32 v[6:7], v4 offset1:1
	v_mbcnt_hi_u32_b32 v12, -1, v0
	v_and_b32_e32 v0, 64, v12
	v_xor_b32_e32 v1, 32, v12
	v_add_u32_e32 v13, 64, v0
	v_cmp_lt_i32_e32 vcc, v1, v13
	v_xor_b32_e32 v5, 16, v12
	v_xor_b32_e32 v10, 8, v12
	v_cndmask_b32_e32 v0, v12, v1, vcc
	v_lshlrev_b32_e32 v0, 2, v0
	v_cmp_lt_i32_e32 vcc, v5, v13
	v_xor_b32_e32 v11, 4, v12
	v_xor_b32_e32 v14, 1, v12
	v_cndmask_b32_e32 v1, v12, v5, vcc
	v_lshlrev_b32_e32 v1, 2, v1
	v_cmp_lt_i32_e32 vcc, v10, v13
	v_xor_b32_e32 v5, 2, v12
	s_load_dwordx2 s[0:1], s[0:1], 0x38
	s_mul_i32 s2, s3, s14
	s_mul_i32 s4, s4, s18
	s_add_i32 s2, s2, s5
	s_mov_b32 s3, 0
	s_add_i32 s2, s2, s4
	s_lshl_b64 s[2:3], s[2:3], 2
	s_waitcnt lgkmcnt(0)
	s_add_u32 s2, s0, s2
	s_addc_u32 s3, s1, s3
	s_waitcnt vmcnt(0)
	v_pk_add_f32 v[2:3], v[6:7], v[2:3]
	ds_bpermute_b32 v6, v0, v2
	ds_bpermute_b32 v7, v0, v3
	s_waitcnt lgkmcnt(0)
	v_pk_add_f32 v[6:7], v[2:3], v[6:7]
	ds_bpermute_b32 v8, v1, v6
	ds_bpermute_b32 v9, v1, v7
	v_cndmask_b32_e32 v2, v12, v10, vcc
	v_lshlrev_b32_e32 v2, 2, v2
	v_cmp_lt_i32_e32 vcc, v11, v13
	s_waitcnt lgkmcnt(0)
	v_pk_add_f32 v[6:7], v[6:7], v[8:9]
	ds_bpermute_b32 v8, v2, v6
	ds_bpermute_b32 v9, v2, v7
	v_cndmask_b32_e32 v3, v12, v11, vcc
	v_lshlrev_b32_e32 v3, 2, v3
	v_cmp_lt_i32_e32 vcc, v5, v13
	;; [unrolled: 7-line block ×3, first 2 shown]
	s_waitcnt lgkmcnt(0)
	v_pk_add_f32 v[8:9], v[6:7], v[8:9]
	ds_bpermute_b32 v10, v5, v8
	ds_bpermute_b32 v11, v5, v9
	v_cndmask_b32_e32 v6, v12, v14, vcc
	v_lshlrev_b32_e32 v6, 2, v6
	v_or_b32_e32 v7, s5, v19
	v_cmp_gt_u32_e32 vcc, 2, v19
	s_waitcnt lgkmcnt(0)
	v_pk_add_f32 v[8:9], v[8:9], v[10:11]
	ds_bpermute_b32 v10, v6, v8
	ds_bpermute_b32 v11, v6, v9
	v_cmp_gt_u32_e64 s[0:1], s10, v7
	s_and_b64 s[0:1], vcc, s[0:1]
	s_waitcnt lgkmcnt(0)
	v_pk_add_f32 v[8:9], v[8:9], v[10:11]
	scratch_store_dwordx2 off, v[8:9], off
	s_and_saveexec_b64 s[4:5], s[0:1]
	s_cbranch_execz .LBB222_9
; %bb.8:
	scratch_load_dword v7, v4, off
	s_waitcnt vmcnt(0)
	global_store_dword v4, v7, s[2:3]
.LBB222_9:
	s_or_b64 exec, exec, s[4:5]
	scratch_load_dwordx2 v[8:9], off, off offset:8
	ds_read2st64_b32 v[10:11], v4 offset0:2 offset1:3
	s_waitcnt vmcnt(0) lgkmcnt(0)
	v_pk_add_f32 v[8:9], v[10:11], v[8:9]
	ds_bpermute_b32 v10, v0, v8
	ds_bpermute_b32 v11, v0, v9
	s_waitcnt lgkmcnt(0)
	v_pk_add_f32 v[8:9], v[8:9], v[10:11]
	ds_bpermute_b32 v10, v1, v8
	ds_bpermute_b32 v11, v1, v9
	s_waitcnt lgkmcnt(0)
	;; [unrolled: 4-line block ×6, first 2 shown]
	v_pk_add_f32 v[8:9], v[8:9], v[10:11]
	scratch_store_dwordx2 off, v[8:9], off offset:8
	s_and_saveexec_b64 s[4:5], s[0:1]
	s_cbranch_execz .LBB222_11
; %bb.10:
	scratch_load_dword v7, v4, off offset:8
	v_add_u32_e32 v8, s10, v19
	v_mov_b32_e32 v9, 0
	v_lshl_add_u64 v[8:9], v[8:9], 2, s[2:3]
	s_waitcnt vmcnt(0)
	global_store_dword v[8:9], v7, off
.LBB222_11:
	s_or_b64 exec, exec, s[4:5]
	scratch_load_dwordx2 v[8:9], off, off offset:16
	ds_read2st64_b32 v[10:11], v4 offset0:4 offset1:5
	s_waitcnt vmcnt(0) lgkmcnt(0)
	v_pk_add_f32 v[8:9], v[10:11], v[8:9]
	ds_bpermute_b32 v10, v0, v8
	ds_bpermute_b32 v11, v0, v9
	s_waitcnt lgkmcnt(0)
	v_pk_add_f32 v[8:9], v[8:9], v[10:11]
	ds_bpermute_b32 v0, v1, v8
	ds_bpermute_b32 v1, v1, v9
	s_waitcnt lgkmcnt(0)
	;; [unrolled: 4-line block ×6, first 2 shown]
	v_pk_add_f32 v[0:1], v[0:1], v[2:3]
	scratch_store_dwordx2 off, v[0:1], off offset:16
	s_and_b64 exec, exec, s[0:1]
	s_cbranch_execz .LBB222_13
; %bb.12:
	scratch_load_dword v2, v4, off offset:16
	v_lshl_or_b32 v0, s10, 1, v19
	v_mov_b32_e32 v1, 0
	v_lshl_add_u64 v[0:1], v[0:1], 2, s[2:3]
	s_waitcnt vmcnt(0)
	global_store_dword v[0:1], v2, off
.LBB222_13:
	s_endpgm
	.section	.rodata,"a",@progbits
	.p2align	6, 0x0
	.amdhsa_kernel _ZL13mul_mat_vec_qIL9ggml_type29ELi3ELb0ELb0EEvPKvS2_PKi31ggml_cuda_mm_fusion_args_devicePfj15HIP_vector_typeIjLj3EEjjjS8_jjjS8_jjjj
		.amdhsa_group_segment_fixed_size 1536
		.amdhsa_private_segment_fixed_size 32
		.amdhsa_kernarg_size 144
		.amdhsa_user_sgpr_count 2
		.amdhsa_user_sgpr_dispatch_ptr 0
		.amdhsa_user_sgpr_queue_ptr 0
		.amdhsa_user_sgpr_kernarg_segment_ptr 1
		.amdhsa_user_sgpr_dispatch_id 0
		.amdhsa_user_sgpr_kernarg_preload_length 0
		.amdhsa_user_sgpr_kernarg_preload_offset 0
		.amdhsa_user_sgpr_private_segment_size 0
		.amdhsa_uses_dynamic_stack 0
		.amdhsa_enable_private_segment 1
		.amdhsa_system_sgpr_workgroup_id_x 1
		.amdhsa_system_sgpr_workgroup_id_y 1
		.amdhsa_system_sgpr_workgroup_id_z 1
		.amdhsa_system_sgpr_workgroup_info 0
		.amdhsa_system_vgpr_workitem_id 1
		.amdhsa_next_free_vgpr 74
		.amdhsa_next_free_sgpr 30
		.amdhsa_accum_offset 76
		.amdhsa_reserve_vcc 1
		.amdhsa_float_round_mode_32 0
		.amdhsa_float_round_mode_16_64 0
		.amdhsa_float_denorm_mode_32 3
		.amdhsa_float_denorm_mode_16_64 3
		.amdhsa_dx10_clamp 1
		.amdhsa_ieee_mode 1
		.amdhsa_fp16_overflow 0
		.amdhsa_tg_split 0
		.amdhsa_exception_fp_ieee_invalid_op 0
		.amdhsa_exception_fp_denorm_src 0
		.amdhsa_exception_fp_ieee_div_zero 0
		.amdhsa_exception_fp_ieee_overflow 0
		.amdhsa_exception_fp_ieee_underflow 0
		.amdhsa_exception_fp_ieee_inexact 0
		.amdhsa_exception_int_div_zero 0
	.end_amdhsa_kernel
	.section	.text._ZL13mul_mat_vec_qIL9ggml_type29ELi3ELb0ELb0EEvPKvS2_PKi31ggml_cuda_mm_fusion_args_devicePfj15HIP_vector_typeIjLj3EEjjjS8_jjjS8_jjjj,"axG",@progbits,_ZL13mul_mat_vec_qIL9ggml_type29ELi3ELb0ELb0EEvPKvS2_PKi31ggml_cuda_mm_fusion_args_devicePfj15HIP_vector_typeIjLj3EEjjjS8_jjjS8_jjjj,comdat
.Lfunc_end222:
	.size	_ZL13mul_mat_vec_qIL9ggml_type29ELi3ELb0ELb0EEvPKvS2_PKi31ggml_cuda_mm_fusion_args_devicePfj15HIP_vector_typeIjLj3EEjjjS8_jjjS8_jjjj, .Lfunc_end222-_ZL13mul_mat_vec_qIL9ggml_type29ELi3ELb0ELb0EEvPKvS2_PKi31ggml_cuda_mm_fusion_args_devicePfj15HIP_vector_typeIjLj3EEjjjS8_jjjS8_jjjj
                                        ; -- End function
	.section	.AMDGPU.csdata,"",@progbits
; Kernel info:
; codeLenInByte = 3464
; NumSgprs: 36
; NumVgprs: 74
; NumAgprs: 0
; TotalNumVgprs: 74
; ScratchSize: 32
; MemoryBound: 0
; FloatMode: 240
; IeeeMode: 1
; LDSByteSize: 1536 bytes/workgroup (compile time only)
; SGPRBlocks: 4
; VGPRBlocks: 9
; NumSGPRsForWavesPerEU: 36
; NumVGPRsForWavesPerEU: 74
; AccumOffset: 76
; Occupancy: 6
; WaveLimiterHint : 0
; COMPUTE_PGM_RSRC2:SCRATCH_EN: 1
; COMPUTE_PGM_RSRC2:USER_SGPR: 2
; COMPUTE_PGM_RSRC2:TRAP_HANDLER: 0
; COMPUTE_PGM_RSRC2:TGID_X_EN: 1
; COMPUTE_PGM_RSRC2:TGID_Y_EN: 1
; COMPUTE_PGM_RSRC2:TGID_Z_EN: 1
; COMPUTE_PGM_RSRC2:TIDIG_COMP_CNT: 1
; COMPUTE_PGM_RSRC3_GFX90A:ACCUM_OFFSET: 18
; COMPUTE_PGM_RSRC3_GFX90A:TG_SPLIT: 0
	.section	.text._ZL13mul_mat_vec_qIL9ggml_type29ELi4ELb0ELb0EEvPKvS2_PKi31ggml_cuda_mm_fusion_args_devicePfj15HIP_vector_typeIjLj3EEjjjS8_jjjS8_jjjj,"axG",@progbits,_ZL13mul_mat_vec_qIL9ggml_type29ELi4ELb0ELb0EEvPKvS2_PKi31ggml_cuda_mm_fusion_args_devicePfj15HIP_vector_typeIjLj3EEjjjS8_jjjS8_jjjj,comdat
	.globl	_ZL13mul_mat_vec_qIL9ggml_type29ELi4ELb0ELb0EEvPKvS2_PKi31ggml_cuda_mm_fusion_args_devicePfj15HIP_vector_typeIjLj3EEjjjS8_jjjS8_jjjj ; -- Begin function _ZL13mul_mat_vec_qIL9ggml_type29ELi4ELb0ELb0EEvPKvS2_PKi31ggml_cuda_mm_fusion_args_devicePfj15HIP_vector_typeIjLj3EEjjjS8_jjjS8_jjjj
	.p2align	8
	.type	_ZL13mul_mat_vec_qIL9ggml_type29ELi4ELb0ELb0EEvPKvS2_PKi31ggml_cuda_mm_fusion_args_devicePfj15HIP_vector_typeIjLj3EEjjjS8_jjjS8_jjjj,@function
_ZL13mul_mat_vec_qIL9ggml_type29ELi4ELb0ELb0EEvPKvS2_PKi31ggml_cuda_mm_fusion_args_devicePfj15HIP_vector_typeIjLj3EEjjjS8_jjjS8_jjjj: ; @_ZL13mul_mat_vec_qIL9ggml_type29ELi4ELb0ELb0EEvPKvS2_PKi31ggml_cuda_mm_fusion_args_devicePfj15HIP_vector_typeIjLj3EEjjjS8_jjjS8_jjjj
; %bb.0:
	s_mov_b32 s20, 0
	v_bfe_u32 v19, v0, 10, 10
	v_and_b32_e32 v16, 0x3ff, v0
	s_mov_b32 s21, s20
	s_load_dword s6, s[0:1], 0x40
	s_load_dwordx4 s[8:11], s[0:1], 0x50
	s_load_dword s27, s[0:1], 0x60
	s_load_dwordx4 s[12:15], s[0:1], 0x68
	;; [unrolled: 2-line block ×3, first 2 shown]
	v_lshl_add_u32 v4, v19, 6, v16
	s_mov_b32 s22, s20
	s_mov_b32 s23, s20
	v_mov_b64_e32 v[0:1], s[20:21]
	s_waitcnt lgkmcnt(0)
	s_lshr_b32 s19, s6, 8
	v_mov_b64_e32 v[2:3], s[22:23]
	v_lshrrev_b32_e32 v23, 3, v4
	s_lshl_b32 s5, s2, 1
	scratch_store_dwordx4 off, v[0:3], off offset:16
	scratch_store_dwordx4 off, v[0:3], off
	v_cmp_gt_u32_e32 vcc, s19, v23
	v_mov_b32_e32 v7, 0
	v_mov_b32_e32 v0, 0
	;; [unrolled: 1-line block ×8, first 2 shown]
	s_and_saveexec_b64 s[6:7], vcc
	s_cbranch_execz .LBB223_4
; %bb.1:
	s_load_dwordx4 s[20:23], s[0:1], 0x0
	s_mul_i32 s2, s4, s17
	s_mul_i32 s24, s2, 36
	;; [unrolled: 1-line block ×3, first 2 shown]
	s_mul_hi_u32 s17, s2, 36
	s_waitcnt lgkmcnt(0)
	s_add_u32 s24, s22, s24
	s_addc_u32 s17, s23, s17
	s_mul_i32 s28, s13, 36
	s_mul_hi_u32 s29, s13, 36
	s_add_u32 s24, s24, s28
	s_mul_hi_u32 s11, s11, s3
	s_addc_u32 s25, s17, s29
	s_add_i32 s11, s3, s11
	s_lshr_b32 s11, s11, s27
	s_mul_i32 s11, s11, s12
	s_mul_hi_u32 s12, s15, s4
	s_add_i32 s12, s4, s12
	s_lshr_b32 s12, s12, s26
	s_mul_i32 s12, s12, s16
	s_mul_i32 s13, s5, s8
	s_add_i32 s15, s12, s11
	s_add_i32 s12, s5, 1
	v_lshlrev_b32_e32 v2, 3, v23
	s_add_i32 s11, s15, s13
	s_mul_i32 s8, s8, s12
	v_mad_u64_u32 v[24:25], s[12:13], s9, 3, v[2:3]
	s_add_i32 s15, s15, s8
	v_add_u32_e32 v41, s9, v2
	v_lshl_add_u32 v25, s9, 1, v2
	s_movk_i32 s8, 0x120
	v_mov_b64_e32 v[2:3], s[28:29]
	v_mad_u64_u32 v[2:3], s[8:9], v23, s8, v[2:3]
	v_and_b32_e32 v18, 7, v16
	v_and_b32_e32 v1, 1, v16
	v_mad_u64_u32 v[2:3], s[8:9], s2, 36, v[2:3]
	v_cmp_eq_u32_e32 vcc, 1, v1
	v_mad_u64_u32 v[2:3], s[8:9], v18, 36, v[2:3]
	v_mov_b32_e32 v21, 0
	v_bfe_u32 v0, v16, 1, 2
	v_cndmask_b32_e64 v22, 0, 6, vcc
	v_lshl_add_u64 v[2:3], v[2:3], 0, s[22:23]
	s_mov_b32 s12, 0xbf600000
	v_lshlrev_b32_e32 v20, 1, v18
	v_mov_b32_e32 v17, v22
	v_lshl_add_u64 v[26:27], v[2:3], 0, 32
	s_mov_b64 s[8:9], 0
	v_lshlrev_b32_e32 v28, 2, v18
	s_movk_i32 s22, 0x700
	v_lshlrev_b32_e32 v30, 1, v0
	s_mov_b32 s2, 0x3d000000
	v_mov_b64_e32 v[32:33], s[12:13]
	s_mov_b32 s23, 0x5040100
	s_mov_b32 s26, 0x7060302
	s_mov_b32 s27, 0xf000f0
	s_mov_b64 s[12:13], 0x1200
	v_mov_b32_e32 v29, v21
	v_mov_b32_e32 v43, 8
	;; [unrolled: 1-line block ×12, first 2 shown]
.LBB223_2:                              ; =>This Inner Loop Header: Depth=1
	global_load_dwordx4 v[12:15], v[26:27], off offset:-32
	global_load_dword v48, v[26:27], off
	global_load_dwordx4 v[8:11], v[26:27], off offset:-16
	v_mov_b32_e32 v36, 0
	v_add_u32_e32 v35, s11, v23
	v_mov_b32_e32 v65, 0
	v_mov_b32_e32 v71, 0
	;; [unrolled: 1-line block ×8, first 2 shown]
	v_lshl_add_u64 v[26:27], v[26:27], 0, s[12:13]
	s_waitcnt vmcnt(2)
	v_dot4c_i32_i8_e32 v36, 0x1010101, v15
	v_dot4c_i32_i8_e32 v34, 0x1010101, v13
	s_waitcnt vmcnt(0)
	v_dot4c_i32_i8_e32 v36, 0x1010101, v8
	v_dot4c_i32_i8_e32 v34, 0x1010101, v14
	v_cvt_f32_f16_e32 v12, v12
	s_nop 0
	v_cvt_f32_i32_e32 v40, v36
	v_mov_b32_e32 v36, 0
	v_dot4c_i32_i8_e32 v36, 0x1010101, v9
	v_dot4c_i32_i8_e32 v36, 0x1010101, v10
	v_cvt_f32_i32_e32 v34, v34
	s_nop 1
	v_cvt_f32_i32_e32 v42, v36
	v_mov_b32_e32 v36, 0
	v_dot4c_i32_i8_e32 v36, 0x1010101, v11
	v_dot4c_i32_i8_e32 v36, 0x1010101, v48
	s_nop 2
	v_cvt_f32_i32_e32 v44, v36
	v_mad_i64_i32 v[36:37], s[16:17], v35, 56, s[20:21]
	v_lshl_add_u64 v[38:39], v[36:37], 0, v[28:29]
	global_load_dword v35, v[38:39], off
	v_lshl_add_u64 v[38:39], v[36:37], 0, v[20:21]
	global_load_ushort v38, v[38:39], off offset:32
	s_getpc_b64 s[16:17]
	s_add_u32 s16, s16, _ZL13iq1s_grid_gpu@rel32@lo+4
	s_addc_u32 s17, s17, _ZL13iq1s_grid_gpu@rel32@hi+12
	s_waitcnt vmcnt(1)
	v_and_b32_e32 v39, 0xff, v35
	v_lshrrev_b32_e32 v46, 24, v35
	s_waitcnt vmcnt(0)
	v_lshlrev_b32_e32 v47, 8, v38
	v_and_or_b32 v39, v47, s22, v39
	v_lshlrev_b32_e32 v39, 2, v39
	global_load_dword v39, v39, s[16:17]
	v_lshlrev_b32_e32 v47, 4, v38
	v_and_b32_e32 v66, 8, v38
	v_lshrrev_b32_e32 v67, 4, v38
	v_lshrrev_b32_sdwa v68, v45, v38 dst_sel:DWORD dst_unused:UNUSED_PAD src0_sel:DWORD src1_sel:BYTE_1
	s_waitcnt vmcnt(0)
	v_and_b32_e32 v49, 0xf0f0f0f, v39
	v_lshrrev_b32_e32 v39, 4, v39
	v_and_b32_e32 v50, 0xf0f0f0f, v39
	v_bfe_u32 v39, v35, 8, 8
	v_and_or_b32 v39, v47, s22, v39
	v_lshlrev_b32_e32 v39, 2, v39
	global_load_dword v39, v39, s[16:17]
	v_bfe_u32 v35, v35, 16, 8
	v_dot4c_i32_i8_e32 v65, v49, v13
	v_dot4c_i32_i8_e32 v65, v50, v14
	s_waitcnt vmcnt(0)
	v_and_b32_e32 v53, 0xf0f0f0f, v39
	v_lshrrev_b32_e32 v39, 4, v39
	v_and_b32_e32 v54, 0xf0f0f0f, v39
	v_lshlrev_b32_sdwa v39, v43, v38 dst_sel:DWORD dst_unused:UNUSED_PAD src0_sel:DWORD src1_sel:BYTE_1
	v_and_or_b32 v35, v39, s22, v35
	v_lshlrev_b32_e32 v35, 2, v35
	global_load_dword v35, v35, s[16:17]
	v_dot4c_i32_i8_e32 v65, v53, v15
	v_dot4c_i32_i8_e32 v65, v54, v8
	s_waitcnt vmcnt(0)
	v_and_b32_e32 v51, 0xf0f0f0f, v35
	v_lshrrev_b32_e32 v35, 4, v35
	v_and_b32_e32 v52, 0xf0f0f0f, v35
	v_and_b32_sdwa v35, v38, v43 dst_sel:DWORD dst_unused:UNUSED_PAD src0_sel:BYTE_1 src1_sel:DWORD
	v_lshlrev_b32_sdwa v38, v45, v38 dst_sel:DWORD dst_unused:UNUSED_PAD src0_sel:DWORD src1_sel:BYTE_1
	v_and_or_b32 v38, v38, s22, v46
	v_lshlrev_b32_e32 v38, 2, v38
	global_load_dword v38, v38, s[16:17]
	v_dot4c_i32_i8_e32 v70, v51, v9
	global_load_dwordx2 v[46:47], v[36:37], off offset:48
	v_lshl_add_u64 v[36:37], v[36:37], 0, v[30:31]
	global_load_ushort v69, v[36:37], off offset:48
	v_add_u32_e32 v36, s15, v23
	v_mad_i64_i32 v[36:37], s[28:29], v36, 56, s[20:21]
	v_dot4c_i32_i8_e32 v70, v52, v10
	v_add_u32_e32 v23, 16, v23
	v_cmp_le_u32_e32 vcc, s19, v23
	s_or_b64 s[8:9], vcc, s[8:9]
	s_waitcnt vmcnt(2)
	v_and_b32_e32 v55, 0xf0f0f0f, v38
	v_lshrrev_b32_e32 v38, 4, v38
	v_and_b32_e32 v56, 0xf0f0f0f, v38
	v_lshl_add_u64 v[38:39], v[36:37], 0, v[28:29]
	global_load_dword v59, v[38:39], off
	v_lshl_add_u64 v[38:39], v[36:37], 0, v[20:21]
	global_load_ushort v38, v[38:39], off offset:32
	v_dot4c_i32_i8_e32 v70, v55, v11
	v_dot4c_i32_i8_e32 v70, v56, v48
	s_waitcnt vmcnt(1)
	v_and_b32_e32 v39, 0xff, v59
	v_lshrrev_b32_e32 v63, 24, v59
	s_waitcnt vmcnt(0)
	v_lshlrev_b32_e32 v57, 8, v38
	v_and_or_b32 v39, v57, s22, v39
	v_lshlrev_b32_e32 v39, 2, v39
	global_load_dword v39, v39, s[16:17]
	v_lshlrev_b32_e32 v60, 4, v38
	v_and_b32_sdwa v73, v38, v43 dst_sel:DWORD dst_unused:UNUSED_PAD src0_sel:BYTE_1 src1_sel:DWORD
	v_lshrrev_b32_sdwa v74, v45, v38 dst_sel:DWORD dst_unused:UNUSED_PAD src0_sel:DWORD src1_sel:BYTE_1
	s_waitcnt vmcnt(0)
	v_and_b32_e32 v57, 0xf0f0f0f, v39
	v_lshrrev_b32_e32 v39, 4, v39
	v_and_b32_e32 v58, 0xf0f0f0f, v39
	v_bfe_u32 v39, v59, 8, 8
	v_and_or_b32 v39, v60, s22, v39
	v_lshlrev_b32_e32 v39, 2, v39
	global_load_dword v39, v39, s[16:17]
	v_dot4c_i32_i8_e32 v71, v57, v13
	v_dot4c_i32_i8_e32 v71, v58, v14
	v_and_b32_e32 v13, 8, v38
	v_lshrrev_b32_e32 v14, 4, v38
	v_and_b32_e32 v14, 8, v14
	s_waitcnt vmcnt(0)
	v_and_b32_e32 v61, 0xf0f0f0f, v39
	v_lshrrev_b32_e32 v39, 4, v39
	v_and_b32_e32 v62, 0xf0f0f0f, v39
	v_dot4c_i32_i8_e32 v71, v61, v15
	v_dot4c_i32_i8_e32 v71, v62, v8
	v_bfe_u32 v8, v59, 16, 8
	v_lshlrev_b32_sdwa v15, v43, v38 dst_sel:DWORD dst_unused:UNUSED_PAD src0_sel:DWORD src1_sel:BYTE_1
	v_and_or_b32 v8, v15, s22, v8
	v_lshlrev_b32_e32 v8, 2, v8
	global_load_dword v8, v8, s[16:17]
	v_cvt_f32_ubyte0_e32 v15, v14
	s_waitcnt vmcnt(0)
	v_and_b32_e32 v60, 0xf0f0f0f, v8
	v_lshrrev_b32_e32 v8, 4, v8
	v_and_b32_e32 v59, 0xf0f0f0f, v8
	v_lshlrev_b32_sdwa v8, v45, v38 dst_sel:DWORD dst_unused:UNUSED_PAD src0_sel:DWORD src1_sel:BYTE_1
	v_and_or_b32 v8, v8, s22, v63
	v_lshlrev_b32_e32 v8, 2, v8
	global_load_dword v8, v8, s[16:17]
	v_dot4c_i32_i8_e32 v72, v60, v9
	v_dot4c_i32_i8_e32 v72, v59, v10
	s_waitcnt vmcnt(0)
	v_and_b32_e32 v63, 0xf0f0f0f, v8
	v_lshrrev_b32_e32 v8, 4, v8
	v_and_b32_e32 v64, 0xf0f0f0f, v8
	global_load_dwordx2 v[8:9], v[36:37], off offset:48
	v_dot4c_i32_i8_e32 v72, v63, v11
	v_lshl_add_u64 v[10:11], v[36:37], 0, v[30:31]
	v_dot4c_i32_i8_e32 v72, v64, v48
	global_load_ushort v48, v[10:11], off offset:48
	v_cvt_f32_ubyte0_e32 v11, v13
	v_and_b32_e32 v13, 8, v67
	v_cvt_f32_ubyte0_e32 v10, v66
	v_cvt_f32_ubyte0_e32 v14, v13
	v_pk_fma_f32 v[38:39], v[10:11], s[2:3], v[32:33] op_sel_hi:[1,0,0] neg_lo:[1,0,0] neg_hi:[1,0,0]
	v_pk_fma_f32 v[36:37], v[14:15], s[2:3], v[32:33] op_sel_hi:[1,0,0] neg_lo:[1,0,0] neg_hi:[1,0,0]
	v_cvt_f32_ubyte0_e32 v15, v73
	v_cvt_f32_ubyte0_e32 v14, v35
	v_pk_fma_f32 v[10:11], v[38:39], v[34:35], 0 op_sel_hi:[1,0,0]
	v_pk_fma_f32 v[34:35], v[14:15], s[2:3], v[32:33] op_sel_hi:[1,0,0] neg_lo:[1,0,0] neg_hi:[1,0,0]
	v_and_b32_e32 v13, 8, v68
	v_and_b32_e32 v14, 8, v74
	v_cvt_f32_ubyte0_e32 v15, v14
	v_cvt_f32_ubyte0_e32 v14, v13
	v_pk_fma_f32 v[10:11], v[36:37], v[40:41], v[10:11] op_sel_hi:[1,0,1]
	v_pk_fma_f32 v[66:67], v[34:35], v[42:43], 0 op_sel_hi:[1,0,0]
	v_pk_fma_f32 v[14:15], v[14:15], s[2:3], v[32:33] op_sel_hi:[1,0,0] neg_lo:[1,0,0] neg_hi:[1,0,0]
	v_mov_b32_e32 v74, 0
	v_pk_fma_f32 v[66:67], v[14:15], v[44:45], v[66:67] op_sel_hi:[1,0,1]
	s_waitcnt vmcnt(1)
	v_perm_b32 v13, v8, v46, s23
	v_perm_b32 v8, v8, v46, s26
	v_pk_lshrrev_b16 v13, 12, v13 op_sel_hi:[0,1]
	v_pk_lshrrev_b16 v8, 8, v8 op_sel_hi:[0,1]
	v_and_or_b32 v8, v8, s27, v13
	v_perm_b32 v13, v9, v47, s23
	v_pk_lshrrev_b16 v13, 4, v13 op_sel_hi:[0,1]
	v_perm_b32 v9, v9, v47, s26
	v_and_b32_e32 v13, 0xf000f00, v13
	v_and_b32_e32 v9, 0xf000f000, v9
	v_or3_b32 v9, v8, v13, v9
	v_cvt_f32_f16_e32 v8, v9
	v_cvt_f32_f16_sdwa v9, v9 dst_sel:DWORD dst_unused:UNUSED_PAD src0_sel:WORD_1
	v_pk_mul_f32 v[46:47], v[12:13], v[8:9] op_sel_hi:[0,1]
	v_lshrrev_b32_e32 v12, v22, v69
	s_waitcnt vmcnt(0)
	v_lshrrev_b32_e32 v13, v17, v48
	v_lshlrev_b32_e32 v40, 1, v13
	v_lshlrev_b32_e32 v42, 1, v12
	v_lshrrev_b32_e32 v13, 2, v13
	v_lshrrev_b32_e32 v12, 2, v12
	v_and_or_b32 v44, v12, 14, 1
	v_and_or_b32 v48, v13, 14, 1
	v_cvt_f32_i32_e32 v13, v71
	v_cvt_f32_i32_e32 v12, v65
	v_and_or_b32 v42, v42, 14, 1
	v_and_or_b32 v40, v40, 14, 1
	v_pk_add_f32 v[68:69], v[10:11], v[12:13]
	v_cvt_f32_i32_e32 v13, v72
	v_cvt_f32_i32_e32 v12, v70
	v_cvt_f32_ubyte0_e32 v11, v40
	v_cvt_f32_ubyte0_e32 v10, v42
	v_mov_b32_e32 v40, 0
	v_pk_add_f32 v[66:67], v[66:67], v[12:13]
	v_cvt_f32_ubyte0_e32 v13, v48
	v_cvt_f32_ubyte0_e32 v12, v44
	v_pk_mul_f32 v[66:67], v[66:67], v[12:13]
	v_mov_b32_e32 v42, 0
	v_pk_fma_f32 v[66:67], v[68:69], v[10:11], v[66:67]
	v_mov_b32_e32 v44, 0
	v_pk_fma_f32 v[0:1], v[46:47], v[66:67], v[0:1]
	v_mad_u64_u32 v[46:47], s[16:17], v41, 36, s[24:25]
	v_mad_u64_u32 v[46:47], s[16:17], v18, 36, v[46:47]
	global_load_dwordx4 v[66:69], v[46:47], off
	global_load_dword v65, v[46:47], off offset:32
	global_load_dwordx4 v[70:73], v[46:47], off offset:16
	v_mov_b32_e32 v46, 0
	s_waitcnt vmcnt(2)
	v_dot4c_i32_i8_e32 v40, 0x1010101, v67
	v_dot4c_i32_i8_e32 v74, v49, v67
	;; [unrolled: 1-line block ×7, first 2 shown]
	v_cvt_f32_i32_e32 v40, v40
	s_waitcnt vmcnt(0)
	v_dot4c_i32_i8_e32 v42, 0x1010101, v70
	v_dot4c_i32_i8_e32 v74, v53, v69
	;; [unrolled: 1-line block ×4, first 2 shown]
	v_cvt_f32_i32_e32 v42, v42
	v_dot4c_i32_i8_e32 v76, v62, v70
	v_dot4c_i32_i8_e32 v44, 0x1010101, v71
	;; [unrolled: 1-line block ×4, first 2 shown]
	v_cvt_f32_i32_e32 v71, v76
	v_cvt_f32_i32_e32 v70, v74
	v_dot4c_i32_i8_e32 v44, 0x1010101, v72
	v_dot4c_i32_i8_e32 v46, 0x1010101, v73
	;; [unrolled: 1-line block ×4, first 2 shown]
	v_cvt_f32_i32_e32 v44, v44
	v_dot4c_i32_i8_e32 v46, 0x1010101, v65
	v_cvt_f32_f16_e32 v48, v66
	v_dot4c_i32_i8_e32 v75, v55, v73
	v_dot4c_i32_i8_e32 v77, v63, v73
	v_pk_fma_f32 v[66:67], v[38:39], v[40:41], 0 op_sel_hi:[1,0,0]
	v_cvt_f32_i32_e32 v46, v46
	v_dot4c_i32_i8_e32 v75, v56, v65
	v_dot4c_i32_i8_e32 v77, v64, v65
	v_pk_fma_f32 v[66:67], v[36:37], v[42:43], v[66:67] op_sel_hi:[1,0,1]
	v_pk_fma_f32 v[68:69], v[34:35], v[44:45], 0 op_sel_hi:[1,0,0]
	v_pk_add_f32 v[66:67], v[66:67], v[70:71]
	v_cvt_f32_i32_e32 v71, v77
	v_cvt_f32_i32_e32 v70, v75
	v_pk_fma_f32 v[46:47], v[14:15], v[46:47], v[68:69] op_sel_hi:[1,0,1]
	v_pk_mul_f32 v[68:69], v[48:49], v[8:9] op_sel_hi:[0,1]
	v_mov_b32_e32 v40, 0
	v_pk_add_f32 v[46:47], v[46:47], v[70:71]
	v_mov_b32_e32 v74, 0
	v_pk_mul_f32 v[46:47], v[46:47], v[12:13]
	v_mov_b32_e32 v76, 0
	v_pk_fma_f32 v[46:47], v[66:67], v[10:11], v[46:47]
	v_mov_b32_e32 v42, 0
	v_pk_fma_f32 v[2:3], v[68:69], v[46:47], v[2:3]
	v_mad_u64_u32 v[46:47], s[16:17], v25, 36, s[24:25]
	v_mad_u64_u32 v[46:47], s[16:17], v18, 36, v[46:47]
	global_load_dwordx4 v[66:69], v[46:47], off
	global_load_dword v65, v[46:47], off offset:32
	global_load_dwordx4 v[70:73], v[46:47], off offset:16
	v_mov_b32_e32 v44, 0
	v_mov_b32_e32 v75, 0
	;; [unrolled: 1-line block ×4, first 2 shown]
	v_add_u32_e32 v25, 0x80, v25
	s_waitcnt vmcnt(2)
	v_dot4c_i32_i8_e32 v40, 0x1010101, v67
	v_dot4c_i32_i8_e32 v74, v49, v67
	;; [unrolled: 1-line block ×7, first 2 shown]
	v_cvt_f32_i32_e32 v40, v40
	s_waitcnt vmcnt(0)
	v_dot4c_i32_i8_e32 v42, 0x1010101, v70
	v_dot4c_i32_i8_e32 v74, v53, v69
	v_dot4c_i32_i8_e32 v76, v61, v69
	v_dot4c_i32_i8_e32 v74, v54, v70
	v_cvt_f32_i32_e32 v42, v42
	v_dot4c_i32_i8_e32 v76, v62, v70
	v_dot4c_i32_i8_e32 v44, 0x1010101, v71
	;; [unrolled: 1-line block ×4, first 2 shown]
	v_cvt_f32_i32_e32 v71, v76
	v_cvt_f32_i32_e32 v70, v74
	v_dot4c_i32_i8_e32 v44, 0x1010101, v72
	v_dot4c_i32_i8_e32 v46, 0x1010101, v73
	;; [unrolled: 1-line block ×4, first 2 shown]
	v_cvt_f32_i32_e32 v44, v44
	v_dot4c_i32_i8_e32 v46, 0x1010101, v65
	v_cvt_f32_f16_e32 v48, v66
	v_dot4c_i32_i8_e32 v75, v55, v73
	v_dot4c_i32_i8_e32 v77, v63, v73
	v_pk_fma_f32 v[66:67], v[38:39], v[40:41], 0 op_sel_hi:[1,0,0]
	v_cvt_f32_i32_e32 v46, v46
	v_dot4c_i32_i8_e32 v75, v56, v65
	v_dot4c_i32_i8_e32 v77, v64, v65
	v_pk_fma_f32 v[66:67], v[36:37], v[42:43], v[66:67] op_sel_hi:[1,0,1]
	v_pk_fma_f32 v[68:69], v[34:35], v[44:45], 0 op_sel_hi:[1,0,0]
	v_pk_add_f32 v[66:67], v[66:67], v[70:71]
	v_cvt_f32_i32_e32 v71, v77
	v_cvt_f32_i32_e32 v70, v75
	v_pk_fma_f32 v[46:47], v[14:15], v[46:47], v[68:69] op_sel_hi:[1,0,1]
	v_pk_mul_f32 v[68:69], v[48:49], v[8:9] op_sel_hi:[0,1]
	v_mov_b32_e32 v40, 0
	v_pk_add_f32 v[46:47], v[46:47], v[70:71]
	s_nop 0
	v_pk_mul_f32 v[46:47], v[46:47], v[12:13]
	s_nop 0
	v_pk_fma_f32 v[46:47], v[66:67], v[10:11], v[46:47]
	s_nop 0
	v_pk_fma_f32 v[4:5], v[68:69], v[46:47], v[4:5]
	v_mad_u64_u32 v[46:47], s[16:17], v24, 36, s[24:25]
	v_mad_u64_u32 v[46:47], s[16:17], v18, 36, v[46:47]
	global_load_dwordx4 v[66:69], v[46:47], off
	global_load_dword v65, v[46:47], off offset:32
	global_load_dwordx4 v[70:73], v[46:47], off offset:16
	v_mov_b32_e32 v47, 0
	v_add_u32_e32 v24, 0x80, v24
	s_waitcnt vmcnt(2)
	v_dot4c_i32_i8_e32 v40, 0x1010101, v67
	v_dot4c_i32_i8_e32 v40, 0x1010101, v68
	;; [unrolled: 1-line block ×4, first 2 shown]
	v_mov_b32_e32 v50, 0
	v_cvt_f32_i32_e32 v48, v40
	v_mov_b32_e32 v40, 0
	v_dot4c_i32_i8_e32 v40, 0x1010101, v69
	s_waitcnt vmcnt(0)
	v_dot4c_i32_i8_e32 v40, 0x1010101, v70
	v_dot4c_i32_i8_e32 v50, v57, v67
	v_mov_b32_e32 v49, 0
	v_dot4c_i32_i8_e32 v50, v58, v68
	v_cvt_f32_i32_e32 v46, v40
	v_mov_b32_e32 v40, 0
	v_dot4c_i32_i8_e32 v40, 0x1010101, v71
	v_dot4c_i32_i8_e32 v40, 0x1010101, v72
	;; [unrolled: 1-line block ×5, first 2 shown]
	v_cvt_f32_i32_e32 v44, v40
	v_mov_b32_e32 v40, 0
	v_dot4c_i32_i8_e32 v40, 0x1010101, v73
	v_dot4c_i32_i8_e32 v40, 0x1010101, v65
	;; [unrolled: 1-line block ×5, first 2 shown]
	v_cvt_f32_i32_e32 v42, v40
	v_mov_b32_e32 v51, 0
	v_pk_fma_f32 v[34:35], v[34:35], v[44:45], 0 op_sel_hi:[1,0,0]
	v_dot4c_i32_i8_e32 v49, v55, v73
	v_dot4c_i32_i8_e32 v51, v60, v71
	v_pk_fma_f32 v[14:15], v[14:15], v[42:43], v[34:35] op_sel_hi:[1,0,1]
	v_cvt_f32_i32_e32 v35, v50
	v_cvt_f32_i32_e32 v34, v47
	v_dot4c_i32_i8_e32 v49, v56, v65
	v_dot4c_i32_i8_e32 v51, v59, v72
	;; [unrolled: 1-line block ×4, first 2 shown]
	v_pk_fma_f32 v[38:39], v[38:39], v[48:49], 0 op_sel_hi:[1,0,0]
	v_cvt_f32_f16_e32 v40, v66
	v_pk_fma_f32 v[36:37], v[36:37], v[46:47], v[38:39] op_sel_hi:[1,0,1]
	v_pk_mul_f32 v[8:9], v[40:41], v[8:9] op_sel_hi:[0,1]
	v_pk_add_f32 v[34:35], v[36:37], v[34:35]
	v_cvt_f32_i32_e32 v37, v51
	v_cvt_f32_i32_e32 v36, v49
	v_add_u32_e32 v41, 0x80, v41
	v_pk_add_f32 v[14:15], v[14:15], v[36:37]
	s_nop 0
	v_pk_mul_f32 v[12:13], v[14:15], v[12:13]
	s_nop 0
	v_pk_fma_f32 v[10:11], v[34:35], v[10:11], v[12:13]
	s_nop 0
	v_pk_fma_f32 v[6:7], v[8:9], v[10:11], v[6:7]
	s_andn2_b64 exec, exec, s[8:9]
	s_cbranch_execnz .LBB223_2
; %bb.3:
	s_or_b64 exec, exec, s[8:9]
	scratch_store_dwordx4 off, v[0:3], off
	scratch_store_dwordx4 off, v[4:7], off offset:16
.LBB223_4:
	s_or_b64 exec, exec, s[6:7]
	v_cmp_eq_u32_e32 vcc, 0, v19
	v_cmp_ne_u32_e64 s[6:7], 0, v19
	v_lshlrev_b32_e32 v8, 2, v16
	s_and_saveexec_b64 s[8:9], s[6:7]
	s_cbranch_execz .LBB223_6
; %bb.5:
	v_lshlrev_b32_e32 v9, 11, v19
	s_movk_i32 s2, 0xf800
	v_add3_u32 v9, v9, v8, s2
	ds_write2st64_b32 v9, v0, v1 offset1:1
	ds_write2st64_b32 v9, v2, v3 offset0:2 offset1:3
	ds_write2st64_b32 v9, v4, v5 offset0:4 offset1:5
	;; [unrolled: 1-line block ×3, first 2 shown]
.LBB223_6:
	s_or_b64 exec, exec, s[8:9]
	s_waitcnt lgkmcnt(0)
	s_barrier
	s_and_saveexec_b64 s[6:7], vcc
	s_cbranch_execz .LBB223_15
; %bb.7:
	scratch_load_dwordx2 v[2:3], off, off
	v_mbcnt_lo_u32_b32 v0, -1, 0
	ds_read2st64_b32 v[4:5], v8 offset1:1
	v_mbcnt_hi_u32_b32 v9, -1, v0
	v_and_b32_e32 v0, 64, v9
	v_xor_b32_e32 v1, 32, v9
	v_add_u32_e32 v12, 64, v0
	v_cmp_lt_i32_e32 vcc, v1, v12
	v_xor_b32_e32 v6, 16, v9
	v_xor_b32_e32 v10, 8, v9
	v_cndmask_b32_e32 v0, v9, v1, vcc
	v_lshlrev_b32_e32 v0, 2, v0
	v_cmp_lt_i32_e32 vcc, v6, v12
	v_xor_b32_e32 v11, 4, v9
	v_xor_b32_e32 v13, 2, v9
	v_cndmask_b32_e32 v1, v9, v6, vcc
	v_lshlrev_b32_e32 v1, 2, v1
	v_cmp_lt_i32_e32 vcc, v10, v12
	v_xor_b32_e32 v14, 1, v9
	s_load_dwordx2 s[0:1], s[0:1], 0x38
	s_mul_i32 s2, s3, s14
	s_mul_i32 s4, s4, s18
	s_add_i32 s2, s2, s5
	s_mov_b32 s3, 0
	s_add_i32 s2, s2, s4
	s_lshl_b64 s[2:3], s[2:3], 2
	s_waitcnt lgkmcnt(0)
	s_add_u32 s2, s0, s2
	s_addc_u32 s3, s1, s3
	s_waitcnt vmcnt(0)
	v_pk_add_f32 v[2:3], v[4:5], v[2:3]
	ds_bpermute_b32 v4, v0, v2
	ds_bpermute_b32 v5, v0, v3
	s_waitcnt lgkmcnt(0)
	v_pk_add_f32 v[4:5], v[2:3], v[4:5]
	ds_bpermute_b32 v6, v1, v4
	ds_bpermute_b32 v7, v1, v5
	v_cndmask_b32_e32 v2, v9, v10, vcc
	v_lshlrev_b32_e32 v2, 2, v2
	v_cmp_lt_i32_e32 vcc, v11, v12
	s_waitcnt lgkmcnt(0)
	v_pk_add_f32 v[4:5], v[4:5], v[6:7]
	ds_bpermute_b32 v6, v2, v4
	ds_bpermute_b32 v7, v2, v5
	v_cndmask_b32_e32 v3, v9, v11, vcc
	v_lshlrev_b32_e32 v3, 2, v3
	v_cmp_lt_i32_e32 vcc, v13, v12
	;; [unrolled: 7-line block ×3, first 2 shown]
	s_waitcnt lgkmcnt(0)
	v_pk_add_f32 v[6:7], v[6:7], v[10:11]
	ds_bpermute_b32 v10, v4, v6
	ds_bpermute_b32 v11, v4, v7
	v_cndmask_b32_e32 v5, v9, v14, vcc
	v_lshlrev_b32_e32 v5, 2, v5
	v_or_b32_e32 v9, s5, v16
	v_cmp_gt_u32_e32 vcc, 2, v16
	s_waitcnt lgkmcnt(0)
	v_pk_add_f32 v[6:7], v[6:7], v[10:11]
	ds_bpermute_b32 v10, v5, v6
	ds_bpermute_b32 v11, v5, v7
	v_cmp_gt_u32_e64 s[0:1], s10, v9
	s_and_b64 s[0:1], vcc, s[0:1]
	s_waitcnt lgkmcnt(0)
	v_pk_add_f32 v[6:7], v[6:7], v[10:11]
	scratch_store_dwordx2 off, v[6:7], off
	s_and_saveexec_b64 s[4:5], s[0:1]
	s_cbranch_execz .LBB223_9
; %bb.8:
	scratch_load_dword v6, v8, off
	s_waitcnt vmcnt(0)
	global_store_dword v8, v6, s[2:3]
.LBB223_9:
	s_or_b64 exec, exec, s[4:5]
	scratch_load_dwordx2 v[6:7], off, off offset:8
	ds_read2st64_b32 v[10:11], v8 offset0:2 offset1:3
	s_waitcnt vmcnt(0) lgkmcnt(0)
	v_pk_add_f32 v[6:7], v[10:11], v[6:7]
	ds_bpermute_b32 v10, v0, v6
	ds_bpermute_b32 v11, v0, v7
	s_waitcnt lgkmcnt(0)
	v_pk_add_f32 v[6:7], v[6:7], v[10:11]
	ds_bpermute_b32 v10, v1, v6
	ds_bpermute_b32 v11, v1, v7
	s_waitcnt lgkmcnt(0)
	;; [unrolled: 4-line block ×6, first 2 shown]
	v_pk_add_f32 v[6:7], v[6:7], v[10:11]
	scratch_store_dwordx2 off, v[6:7], off offset:8
	s_and_saveexec_b64 s[4:5], s[0:1]
	s_cbranch_execz .LBB223_11
; %bb.10:
	scratch_load_dword v9, v8, off offset:8
	v_add_u32_e32 v6, s10, v16
	v_mov_b32_e32 v7, 0
	v_lshl_add_u64 v[6:7], v[6:7], 2, s[2:3]
	s_waitcnt vmcnt(0)
	global_store_dword v[6:7], v9, off
.LBB223_11:
	s_or_b64 exec, exec, s[4:5]
	scratch_load_dwordx2 v[6:7], off, off offset:16
	ds_read2st64_b32 v[10:11], v8 offset0:4 offset1:5
	s_waitcnt vmcnt(0) lgkmcnt(0)
	v_pk_add_f32 v[6:7], v[10:11], v[6:7]
	ds_bpermute_b32 v10, v0, v6
	ds_bpermute_b32 v11, v0, v7
	s_waitcnt lgkmcnt(0)
	v_pk_add_f32 v[6:7], v[6:7], v[10:11]
	ds_bpermute_b32 v10, v1, v6
	ds_bpermute_b32 v11, v1, v7
	s_waitcnt lgkmcnt(0)
	;; [unrolled: 4-line block ×6, first 2 shown]
	v_pk_add_f32 v[6:7], v[6:7], v[10:11]
	scratch_store_dwordx2 off, v[6:7], off offset:16
	s_and_saveexec_b64 s[4:5], s[0:1]
	s_cbranch_execz .LBB223_13
; %bb.12:
	scratch_load_dword v9, v8, off offset:16
	v_lshl_or_b32 v6, s10, 1, v16
	v_mov_b32_e32 v7, 0
	v_lshl_add_u64 v[6:7], v[6:7], 2, s[2:3]
	s_waitcnt vmcnt(0)
	global_store_dword v[6:7], v9, off
.LBB223_13:
	s_or_b64 exec, exec, s[4:5]
	scratch_load_dwordx2 v[6:7], off, off offset:24
	ds_read2st64_b32 v[10:11], v8 offset0:6 offset1:7
	s_waitcnt vmcnt(0) lgkmcnt(0)
	v_pk_add_f32 v[6:7], v[10:11], v[6:7]
	ds_bpermute_b32 v10, v0, v6
	ds_bpermute_b32 v11, v0, v7
	s_waitcnt lgkmcnt(0)
	v_pk_add_f32 v[6:7], v[6:7], v[10:11]
	ds_bpermute_b32 v0, v1, v6
	ds_bpermute_b32 v1, v1, v7
	s_waitcnt lgkmcnt(0)
	;; [unrolled: 4-line block ×6, first 2 shown]
	v_pk_add_f32 v[0:1], v[0:1], v[2:3]
	scratch_store_dwordx2 off, v[0:1], off offset:24
	s_and_b64 exec, exec, s[0:1]
	s_cbranch_execz .LBB223_15
; %bb.14:
	scratch_load_dword v2, v8, off offset:24
	v_mad_u64_u32 v[0:1], s[0:1], s10, 3, v[16:17]
	v_mov_b32_e32 v1, 0
	v_lshl_add_u64 v[0:1], v[0:1], 2, s[2:3]
	s_waitcnt vmcnt(0)
	global_store_dword v[0:1], v2, off
.LBB223_15:
	s_endpgm
	.section	.rodata,"a",@progbits
	.p2align	6, 0x0
	.amdhsa_kernel _ZL13mul_mat_vec_qIL9ggml_type29ELi4ELb0ELb0EEvPKvS2_PKi31ggml_cuda_mm_fusion_args_devicePfj15HIP_vector_typeIjLj3EEjjjS8_jjjS8_jjjj
		.amdhsa_group_segment_fixed_size 2048
		.amdhsa_private_segment_fixed_size 48
		.amdhsa_kernarg_size 144
		.amdhsa_user_sgpr_count 2
		.amdhsa_user_sgpr_dispatch_ptr 0
		.amdhsa_user_sgpr_queue_ptr 0
		.amdhsa_user_sgpr_kernarg_segment_ptr 1
		.amdhsa_user_sgpr_dispatch_id 0
		.amdhsa_user_sgpr_kernarg_preload_length 0
		.amdhsa_user_sgpr_kernarg_preload_offset 0
		.amdhsa_user_sgpr_private_segment_size 0
		.amdhsa_uses_dynamic_stack 0
		.amdhsa_enable_private_segment 1
		.amdhsa_system_sgpr_workgroup_id_x 1
		.amdhsa_system_sgpr_workgroup_id_y 1
		.amdhsa_system_sgpr_workgroup_id_z 1
		.amdhsa_system_sgpr_workgroup_info 0
		.amdhsa_system_vgpr_workitem_id 1
		.amdhsa_next_free_vgpr 78
		.amdhsa_next_free_sgpr 30
		.amdhsa_accum_offset 80
		.amdhsa_reserve_vcc 1
		.amdhsa_float_round_mode_32 0
		.amdhsa_float_round_mode_16_64 0
		.amdhsa_float_denorm_mode_32 3
		.amdhsa_float_denorm_mode_16_64 3
		.amdhsa_dx10_clamp 1
		.amdhsa_ieee_mode 1
		.amdhsa_fp16_overflow 0
		.amdhsa_tg_split 0
		.amdhsa_exception_fp_ieee_invalid_op 0
		.amdhsa_exception_fp_denorm_src 0
		.amdhsa_exception_fp_ieee_div_zero 0
		.amdhsa_exception_fp_ieee_overflow 0
		.amdhsa_exception_fp_ieee_underflow 0
		.amdhsa_exception_fp_ieee_inexact 0
		.amdhsa_exception_int_div_zero 0
	.end_amdhsa_kernel
	.section	.text._ZL13mul_mat_vec_qIL9ggml_type29ELi4ELb0ELb0EEvPKvS2_PKi31ggml_cuda_mm_fusion_args_devicePfj15HIP_vector_typeIjLj3EEjjjS8_jjjS8_jjjj,"axG",@progbits,_ZL13mul_mat_vec_qIL9ggml_type29ELi4ELb0ELb0EEvPKvS2_PKi31ggml_cuda_mm_fusion_args_devicePfj15HIP_vector_typeIjLj3EEjjjS8_jjjS8_jjjj,comdat
.Lfunc_end223:
	.size	_ZL13mul_mat_vec_qIL9ggml_type29ELi4ELb0ELb0EEvPKvS2_PKi31ggml_cuda_mm_fusion_args_devicePfj15HIP_vector_typeIjLj3EEjjjS8_jjjS8_jjjj, .Lfunc_end223-_ZL13mul_mat_vec_qIL9ggml_type29ELi4ELb0ELb0EEvPKvS2_PKi31ggml_cuda_mm_fusion_args_devicePfj15HIP_vector_typeIjLj3EEjjjS8_jjjS8_jjjj
                                        ; -- End function
	.section	.AMDGPU.csdata,"",@progbits
; Kernel info:
; codeLenInByte = 4112
; NumSgprs: 36
; NumVgprs: 78
; NumAgprs: 0
; TotalNumVgprs: 78
; ScratchSize: 48
; MemoryBound: 0
; FloatMode: 240
; IeeeMode: 1
; LDSByteSize: 2048 bytes/workgroup (compile time only)
; SGPRBlocks: 4
; VGPRBlocks: 9
; NumSGPRsForWavesPerEU: 36
; NumVGPRsForWavesPerEU: 78
; AccumOffset: 80
; Occupancy: 6
; WaveLimiterHint : 0
; COMPUTE_PGM_RSRC2:SCRATCH_EN: 1
; COMPUTE_PGM_RSRC2:USER_SGPR: 2
; COMPUTE_PGM_RSRC2:TRAP_HANDLER: 0
; COMPUTE_PGM_RSRC2:TGID_X_EN: 1
; COMPUTE_PGM_RSRC2:TGID_Y_EN: 1
; COMPUTE_PGM_RSRC2:TGID_Z_EN: 1
; COMPUTE_PGM_RSRC2:TIDIG_COMP_CNT: 1
; COMPUTE_PGM_RSRC3_GFX90A:ACCUM_OFFSET: 19
; COMPUTE_PGM_RSRC3_GFX90A:TG_SPLIT: 0
	.section	.text._ZL13mul_mat_vec_qIL9ggml_type29ELi5ELb0ELb0EEvPKvS2_PKi31ggml_cuda_mm_fusion_args_devicePfj15HIP_vector_typeIjLj3EEjjjS8_jjjS8_jjjj,"axG",@progbits,_ZL13mul_mat_vec_qIL9ggml_type29ELi5ELb0ELb0EEvPKvS2_PKi31ggml_cuda_mm_fusion_args_devicePfj15HIP_vector_typeIjLj3EEjjjS8_jjjS8_jjjj,comdat
	.globl	_ZL13mul_mat_vec_qIL9ggml_type29ELi5ELb0ELb0EEvPKvS2_PKi31ggml_cuda_mm_fusion_args_devicePfj15HIP_vector_typeIjLj3EEjjjS8_jjjS8_jjjj ; -- Begin function _ZL13mul_mat_vec_qIL9ggml_type29ELi5ELb0ELb0EEvPKvS2_PKi31ggml_cuda_mm_fusion_args_devicePfj15HIP_vector_typeIjLj3EEjjjS8_jjjS8_jjjj
	.p2align	8
	.type	_ZL13mul_mat_vec_qIL9ggml_type29ELi5ELb0ELb0EEvPKvS2_PKi31ggml_cuda_mm_fusion_args_devicePfj15HIP_vector_typeIjLj3EEjjjS8_jjjS8_jjjj,@function
_ZL13mul_mat_vec_qIL9ggml_type29ELi5ELb0ELb0EEvPKvS2_PKi31ggml_cuda_mm_fusion_args_devicePfj15HIP_vector_typeIjLj3EEjjjS8_jjjS8_jjjj: ; @_ZL13mul_mat_vec_qIL9ggml_type29ELi5ELb0ELb0EEvPKvS2_PKi31ggml_cuda_mm_fusion_args_devicePfj15HIP_vector_typeIjLj3EEjjjS8_jjjS8_jjjj
; %bb.0:
	v_bfe_u32 v21, v0, 10, 10
	v_and_b32_e32 v16, 0x3ff, v0
	s_mov_b32 s20, 0
	s_load_dword s5, s[0:1], 0x40
	s_load_dwordx4 s[8:11], s[0:1], 0x50
	s_load_dword s27, s[0:1], 0x60
	s_load_dwordx4 s[12:15], s[0:1], 0x68
	;; [unrolled: 2-line block ×3, first 2 shown]
	v_lshl_or_b32 v4, v21, 6, v16
	s_mov_b32 s21, s20
	s_waitcnt lgkmcnt(0)
	s_lshr_b32 s5, s5, 8
	v_mov_b32_e32 v19, 0
	s_mov_b32 s22, s20
	s_mov_b32 s23, s20
	v_mov_b64_e32 v[0:1], s[20:21]
	v_lshrrev_b32_e32 v23, 3, v4
	s_lshl_b32 s19, s2, 1
	v_mov_b32_e32 v18, v19
	v_mov_b64_e32 v[2:3], s[22:23]
	v_cmp_gt_u32_e32 vcc, s5, v23
	scratch_store_dwordx2 off, v[18:19], off offset:32
	scratch_store_dwordx4 off, v[0:3], off offset:16
	scratch_store_dwordx4 off, v[0:3], off
	s_and_saveexec_b64 s[6:7], vcc
	s_cbranch_execz .LBB224_4
; %bb.1:
	s_load_dwordx4 s[20:23], s[0:1], 0x0
	s_mul_i32 s2, s4, s17
	s_mul_i32 s24, s2, 36
	;; [unrolled: 1-line block ×3, first 2 shown]
	s_mul_hi_u32 s17, s2, 36
	s_waitcnt lgkmcnt(0)
	s_add_u32 s24, s22, s24
	s_addc_u32 s17, s23, s17
	s_mul_i32 s28, s13, 36
	s_mul_hi_u32 s29, s13, 36
	s_add_u32 s24, s24, s28
	s_mul_hi_u32 s11, s11, s3
	s_addc_u32 s25, s17, s29
	s_add_i32 s11, s3, s11
	s_lshr_b32 s11, s11, s27
	s_mul_i32 s11, s11, s12
	s_mul_hi_u32 s12, s15, s4
	s_add_i32 s12, s4, s12
	s_lshr_b32 s12, s12, s26
	s_mul_i32 s12, s12, s16
	s_mul_i32 s13, s19, s8
	s_add_i32 s12, s12, s11
	v_and_b32_e32 v1, 1, v16
	s_add_i32 s11, s12, s13
	s_add_i32 s13, s19, 1
	v_cmp_eq_u32_e32 vcc, 1, v1
	s_mul_i32 s8, s8, s13
	v_lshl_add_u32 v1, v21, 6, v16
	s_add_i32 s8, s12, s8
	v_lshrrev_b32_e32 v1, 3, v1
	s_movk_i32 s12, 0x120
	v_mov_b64_e32 v[2:3], s[28:29]
	v_mad_u64_u32 v[2:3], s[12:13], v1, s12, v[2:3]
	v_and_b32_e32 v20, 7, v16
	v_mad_u64_u32 v[2:3], s[12:13], s2, 36, v[2:3]
	v_mad_u64_u32 v[2:3], s[12:13], v20, 36, v[2:3]
	v_bfe_u32 v0, v16, 1, 2
	v_cndmask_b32_e64 v22, 0, 6, vcc
	v_lshl_add_u64 v[2:3], v[2:3], 0, s[22:23]
	s_mov_b32 s16, 0xbf600000
	v_lshlrev_b32_e32 v18, 1, v20
	v_mov_b32_e32 v17, v22
	v_lshlrev_b32_e32 v41, 3, v23
	s_lshl_b32 s15, s9, 2
	s_mul_i32 s26, s9, 3
	s_lshl_b32 s27, s9, 1
	v_lshl_add_u64 v[24:25], v[2:3], 0, 16
	s_mov_b64 s[12:13], 0
	v_lshlrev_b32_e32 v26, 2, v20
	s_movk_i32 s28, 0x700
	v_lshlrev_b32_e32 v28, 1, v0
	s_mov_b32 s2, 0x3d000000
	v_mov_b64_e32 v[30:31], s[16:17]
	s_mov_b32 s29, 0x5040100
	s_mov_b32 s30, 0x7060302
	;; [unrolled: 1-line block ×3, first 2 shown]
	s_mov_b64 s[16:17], 0x900
	v_mov_b32_e32 v27, v19
	v_mov_b32_e32 v43, 8
	;; [unrolled: 1-line block ×14, first 2 shown]
.LBB224_2:                              ; =>This Inner Loop Header: Depth=1
	global_load_dwordx4 v[12:15], v[24:25], off offset:-16
	global_load_dword v65, v[24:25], off offset:16
	global_load_dwordx4 v[8:11], v[24:25], off
	v_mov_b32_e32 v36, 0
	v_add_u32_e32 v35, s11, v23
	v_mov_b32_e32 v68, 0
	v_mov_b32_e32 v73, 0
	;; [unrolled: 1-line block ×7, first 2 shown]
	v_lshl_add_u64 v[24:25], v[24:25], 0, s[16:17]
	s_waitcnt vmcnt(2)
	v_dot4c_i32_i8_e32 v36, 0x1010101, v15
	v_cvt_f32_f16_e32 v42, v12
	s_waitcnt vmcnt(0)
	v_dot4c_i32_i8_e32 v36, 0x1010101, v8
	v_dot4c_i32_i8_e32 v34, 0x1010101, v13
	;; [unrolled: 1-line block ×3, first 2 shown]
	s_nop 0
	v_cvt_f32_i32_e32 v40, v36
	v_mov_b32_e32 v36, 0
	v_dot4c_i32_i8_e32 v36, 0x1010101, v9
	v_dot4c_i32_i8_e32 v36, 0x1010101, v10
	v_cvt_f32_i32_e32 v34, v34
	s_nop 1
	v_cvt_f32_i32_e32 v44, v36
	v_mov_b32_e32 v36, 0
	v_dot4c_i32_i8_e32 v36, 0x1010101, v11
	v_dot4c_i32_i8_e32 v36, 0x1010101, v65
	s_nop 2
	v_cvt_f32_i32_e32 v46, v36
	v_mad_i64_i32 v[36:37], s[22:23], v35, 56, s[20:21]
	v_lshl_add_u64 v[38:39], v[36:37], 0, v[26:27]
	global_load_dword v12, v[38:39], off
	v_lshl_add_u64 v[38:39], v[36:37], 0, v[18:19]
	global_load_ushort v38, v[38:39], off offset:32
	s_getpc_b64 s[22:23]
	s_add_u32 s22, s22, _ZL13iq1s_grid_gpu@rel32@lo+4
	s_addc_u32 s23, s23, _ZL13iq1s_grid_gpu@rel32@hi+12
	s_waitcnt vmcnt(1)
	v_and_b32_e32 v39, 0xff, v12
	v_lshrrev_b32_e32 v35, 24, v12
	s_waitcnt vmcnt(0)
	v_lshlrev_b32_e32 v47, 8, v38
	v_and_or_b32 v39, v47, s28, v39
	v_lshlrev_b32_e32 v39, 2, v39
	global_load_dword v39, v39, s[22:23]
	v_lshlrev_b32_e32 v48, 4, v38
	v_and_b32_e32 v66, 8, v38
	v_lshrrev_b32_e32 v67, 4, v38
	v_and_b32_sdwa v69, v38, v43 dst_sel:DWORD dst_unused:UNUSED_PAD src0_sel:BYTE_1 src1_sel:DWORD
	v_lshrrev_b32_sdwa v71, v45, v38 dst_sel:DWORD dst_unused:UNUSED_PAD src0_sel:DWORD src1_sel:BYTE_1
	s_waitcnt vmcnt(0)
	v_and_b32_e32 v47, 0xf0f0f0f, v39
	v_lshrrev_b32_e32 v39, 4, v39
	v_and_b32_e32 v50, 0xf0f0f0f, v39
	v_bfe_u32 v39, v12, 8, 8
	v_and_or_b32 v39, v48, s28, v39
	v_lshlrev_b32_e32 v39, 2, v39
	global_load_dword v39, v39, s[22:23]
	v_bfe_u32 v12, v12, 16, 8
	global_load_dwordx2 v[48:49], v[36:37], off offset:48
	v_lshl_add_u64 v[36:37], v[36:37], 0, v[28:29]
	global_load_ushort v72, v[36:37], off offset:48
	v_dot4c_i32_i8_e32 v68, v47, v13
	v_dot4c_i32_i8_e32 v68, v50, v14
	s_waitcnt vmcnt(2)
	v_and_b32_e32 v53, 0xf0f0f0f, v39
	v_lshrrev_b32_e32 v39, 4, v39
	v_and_b32_e32 v54, 0xf0f0f0f, v39
	v_lshlrev_b32_sdwa v39, v43, v38 dst_sel:DWORD dst_unused:UNUSED_PAD src0_sel:DWORD src1_sel:BYTE_1
	v_and_or_b32 v12, v39, s28, v12
	v_lshlrev_b32_e32 v12, 2, v12
	global_load_dword v12, v12, s[22:23]
	v_dot4c_i32_i8_e32 v68, v53, v15
	v_dot4c_i32_i8_e32 v68, v54, v8
	s_waitcnt vmcnt(0)
	v_and_b32_e32 v51, 0xf0f0f0f, v12
	v_lshrrev_b32_e32 v12, 4, v12
	v_and_b32_e32 v52, 0xf0f0f0f, v12
	v_lshlrev_b32_sdwa v12, v45, v38 dst_sel:DWORD dst_unused:UNUSED_PAD src0_sel:DWORD src1_sel:BYTE_1
	v_and_or_b32 v12, v12, s28, v35
	v_lshlrev_b32_e32 v12, 2, v12
	global_load_dword v12, v12, s[22:23]
	v_dot4c_i32_i8_e32 v70, v51, v9
	v_dot4c_i32_i8_e32 v70, v52, v10
	s_waitcnt vmcnt(0)
	v_and_b32_e32 v55, 0xf0f0f0f, v12
	v_lshrrev_b32_e32 v12, 4, v12
	v_and_b32_e32 v56, 0xf0f0f0f, v12
	v_add_u32_e32 v12, s8, v23
	v_mad_i64_i32 v[36:37], s[34:35], v12, 56, s[20:21]
	v_lshl_add_u64 v[38:39], v[36:37], 0, v[26:27]
	global_load_dword v12, v[38:39], off
	v_lshl_add_u64 v[38:39], v[36:37], 0, v[18:19]
	global_load_ushort v38, v[38:39], off offset:32
	v_dot4c_i32_i8_e32 v70, v55, v11
	v_dot4c_i32_i8_e32 v70, v56, v65
	v_add_u32_e32 v23, 8, v23
	v_cmp_le_u32_e32 vcc, s5, v23
	s_or_b64 s[12:13], vcc, s[12:13]
	s_waitcnt vmcnt(1)
	v_and_b32_e32 v39, 0xff, v12
	v_lshrrev_b32_e32 v35, 24, v12
	s_waitcnt vmcnt(0)
	v_lshlrev_b32_e32 v57, 8, v38
	v_and_or_b32 v39, v57, s28, v39
	v_lshlrev_b32_e32 v39, 2, v39
	global_load_dword v39, v39, s[22:23]
	v_lshlrev_b32_e32 v59, 4, v38
	v_lshrrev_b32_sdwa v75, v45, v38 dst_sel:DWORD dst_unused:UNUSED_PAD src0_sel:DWORD src1_sel:BYTE_1
	s_waitcnt vmcnt(0)
	v_and_b32_e32 v57, 0xf0f0f0f, v39
	v_lshrrev_b32_e32 v39, 4, v39
	v_and_b32_e32 v58, 0xf0f0f0f, v39
	v_bfe_u32 v39, v12, 8, 8
	v_and_or_b32 v39, v59, s28, v39
	v_lshlrev_b32_e32 v39, 2, v39
	global_load_dword v39, v39, s[22:23]
	v_dot4c_i32_i8_e32 v73, v57, v13
	v_dot4c_i32_i8_e32 v73, v58, v14
	v_and_b32_e32 v13, 8, v38
	v_lshrrev_b32_e32 v14, 4, v38
	s_waitcnt vmcnt(0)
	v_and_b32_e32 v61, 0xf0f0f0f, v39
	v_lshrrev_b32_e32 v39, 4, v39
	v_and_b32_e32 v62, 0xf0f0f0f, v39
	v_dot4c_i32_i8_e32 v73, v61, v15
	v_dot4c_i32_i8_e32 v73, v62, v8
	v_bfe_u32 v8, v12, 16, 8
	v_lshlrev_b32_sdwa v12, v43, v38 dst_sel:DWORD dst_unused:UNUSED_PAD src0_sel:DWORD src1_sel:BYTE_1
	v_and_or_b32 v8, v12, s28, v8
	v_lshlrev_b32_e32 v8, 2, v8
	global_load_dword v8, v8, s[22:23]
	v_and_b32_e32 v12, 8, v67
	v_and_b32_sdwa v15, v38, v43 dst_sel:DWORD dst_unused:UNUSED_PAD src0_sel:BYTE_1 src1_sel:DWORD
	v_cvt_f32_ubyte0_e32 v12, v12
	s_waitcnt vmcnt(0)
	v_and_b32_e32 v60, 0xf0f0f0f, v8
	v_lshrrev_b32_e32 v8, 4, v8
	v_and_b32_e32 v59, 0xf0f0f0f, v8
	v_lshlrev_b32_sdwa v8, v45, v38 dst_sel:DWORD dst_unused:UNUSED_PAD src0_sel:DWORD src1_sel:BYTE_1
	v_and_or_b32 v8, v8, s28, v35
	v_lshlrev_b32_e32 v8, 2, v8
	global_load_dword v8, v8, s[22:23]
	v_dot4c_i32_i8_e32 v74, v60, v9
	v_dot4c_i32_i8_e32 v74, v59, v10
	s_waitcnt vmcnt(0)
	v_and_b32_e32 v63, 0xf0f0f0f, v8
	v_lshrrev_b32_e32 v8, 4, v8
	v_and_b32_e32 v64, 0xf0f0f0f, v8
	global_load_dwordx2 v[8:9], v[36:37], off offset:48
	v_dot4c_i32_i8_e32 v74, v63, v11
	v_lshl_add_u64 v[10:11], v[36:37], 0, v[28:29]
	v_dot4c_i32_i8_e32 v74, v64, v65
	global_load_ushort v65, v[10:11], off offset:48
	v_cvt_f32_ubyte0_e32 v11, v13
	v_and_b32_e32 v13, 8, v14
	v_cvt_f32_ubyte0_e32 v10, v66
	v_cvt_f32_ubyte0_e32 v13, v13
	v_pk_fma_f32 v[38:39], v[10:11], s[2:3], v[30:31] op_sel_hi:[1,0,0] neg_lo:[1,0,0] neg_hi:[1,0,0]
	v_pk_fma_f32 v[36:37], v[12:13], s[2:3], v[30:31] op_sel_hi:[1,0,0] neg_lo:[1,0,0] neg_hi:[1,0,0]
	v_cvt_f32_ubyte0_e32 v13, v15
	v_cvt_f32_ubyte0_e32 v12, v69
	v_and_b32_e32 v14, 8, v71
	v_and_b32_e32 v15, 8, v75
	v_pk_fma_f32 v[10:11], v[38:39], v[34:35], 0 op_sel_hi:[1,0,0]
	v_pk_fma_f32 v[34:35], v[12:13], s[2:3], v[30:31] op_sel_hi:[1,0,0] neg_lo:[1,0,0] neg_hi:[1,0,0]
	v_cvt_f32_ubyte0_e32 v15, v15
	v_cvt_f32_ubyte0_e32 v14, v14
	v_pk_fma_f32 v[12:13], v[34:35], v[44:45], 0 op_sel_hi:[1,0,0]
	v_pk_fma_f32 v[14:15], v[14:15], s[2:3], v[30:31] op_sel_hi:[1,0,0] neg_lo:[1,0,0] neg_hi:[1,0,0]
	v_pk_fma_f32 v[10:11], v[36:37], v[40:41], v[10:11] op_sel_hi:[1,0,1]
	v_pk_fma_f32 v[66:67], v[14:15], v[46:47], v[12:13] op_sel_hi:[1,0,1]
	v_mov_b32_e32 v75, 0
	s_waitcnt vmcnt(1)
	v_perm_b32 v12, v8, v48, s29
	v_perm_b32 v8, v8, v48, s30
	v_pk_lshrrev_b16 v12, 12, v12 op_sel_hi:[0,1]
	v_pk_lshrrev_b16 v8, 8, v8 op_sel_hi:[0,1]
	v_and_or_b32 v8, v8, s31, v12
	v_perm_b32 v12, v9, v49, s29
	v_pk_lshrrev_b16 v12, 4, v12 op_sel_hi:[0,1]
	v_perm_b32 v9, v9, v49, s30
	v_and_b32_e32 v12, 0xf000f00, v12
	v_and_b32_e32 v9, 0xf000f000, v9
	v_or3_b32 v8, v8, v12, v9
	v_cvt_f32_f16_e32 v12, v8
	v_cvt_f32_f16_sdwa v13, v8 dst_sel:DWORD dst_unused:UNUSED_PAD src0_sel:WORD_1
	v_lshrrev_b32_e32 v8, v22, v72
	s_waitcnt vmcnt(0)
	v_lshrrev_b32_e32 v9, v17, v65
	v_lshlrev_b32_e32 v40, 1, v9
	v_pk_mul_f32 v[48:49], v[42:43], v[12:13] op_sel_hi:[0,1]
	v_lshlrev_b32_e32 v42, 1, v8
	v_lshrrev_b32_e32 v9, 2, v9
	v_lshrrev_b32_e32 v8, 2, v8
	v_and_or_b32 v44, v8, 14, 1
	v_and_or_b32 v46, v9, 14, 1
	v_cvt_f32_i32_e32 v9, v73
	v_cvt_f32_i32_e32 v8, v68
	v_and_or_b32 v42, v42, 14, 1
	v_and_or_b32 v40, v40, 14, 1
	v_pk_add_f32 v[68:69], v[10:11], v[8:9]
	v_cvt_f32_i32_e32 v11, v74
	v_cvt_f32_i32_e32 v10, v70
	v_cvt_f32_ubyte0_e32 v9, v40
	v_cvt_f32_ubyte0_e32 v8, v42
	v_add_u32_e32 v40, s9, v41
	v_pk_add_f32 v[66:67], v[66:67], v[10:11]
	v_cvt_f32_ubyte0_e32 v11, v46
	v_cvt_f32_ubyte0_e32 v10, v44
	v_pk_mul_f32 v[66:67], v[66:67], v[10:11]
	v_mov_b32_e32 v74, 0
	v_pk_fma_f32 v[66:67], v[68:69], v[8:9], v[66:67]
	v_mov_b32_e32 v42, 0
	v_pk_fma_f32 v[4:5], v[48:49], v[66:67], v[4:5]
	v_mad_u64_u32 v[48:49], s[22:23], v40, 36, s[24:25]
	v_mad_u64_u32 v[48:49], s[22:23], v20, 36, v[48:49]
	global_load_dwordx4 v[66:69], v[48:49], off
	global_load_dword v65, v[48:49], off offset:32
	global_load_dwordx4 v[70:73], v[48:49], off offset:16
	v_mov_b32_e32 v40, 0
	v_mov_b32_e32 v44, 0
	;; [unrolled: 1-line block ×3, first 2 shown]
	s_waitcnt vmcnt(2)
	v_dot4c_i32_i8_e32 v40, 0x1010101, v67
	v_dot4c_i32_i8_e32 v74, v47, v67
	;; [unrolled: 1-line block ×7, first 2 shown]
	v_cvt_f32_i32_e32 v40, v40
	s_waitcnt vmcnt(0)
	v_dot4c_i32_i8_e32 v42, 0x1010101, v70
	v_dot4c_i32_i8_e32 v74, v53, v69
	;; [unrolled: 1-line block ×4, first 2 shown]
	v_cvt_f32_i32_e32 v42, v42
	v_dot4c_i32_i8_e32 v76, v62, v70
	v_dot4c_i32_i8_e32 v44, 0x1010101, v71
	;; [unrolled: 1-line block ×4, first 2 shown]
	v_cvt_f32_i32_e32 v71, v76
	v_cvt_f32_i32_e32 v70, v74
	v_dot4c_i32_i8_e32 v44, 0x1010101, v72
	v_dot4c_i32_i8_e32 v46, 0x1010101, v73
	;; [unrolled: 1-line block ×4, first 2 shown]
	v_cvt_f32_i32_e32 v44, v44
	v_dot4c_i32_i8_e32 v46, 0x1010101, v65
	v_cvt_f32_f16_e32 v48, v66
	v_dot4c_i32_i8_e32 v75, v55, v73
	v_dot4c_i32_i8_e32 v77, v63, v73
	v_pk_fma_f32 v[66:67], v[38:39], v[40:41], 0 op_sel_hi:[1,0,0]
	v_cvt_f32_i32_e32 v46, v46
	v_dot4c_i32_i8_e32 v75, v56, v65
	v_dot4c_i32_i8_e32 v77, v64, v65
	v_pk_fma_f32 v[66:67], v[36:37], v[42:43], v[66:67] op_sel_hi:[1,0,1]
	v_pk_fma_f32 v[68:69], v[34:35], v[44:45], 0 op_sel_hi:[1,0,0]
	v_pk_add_f32 v[66:67], v[66:67], v[70:71]
	v_cvt_f32_i32_e32 v71, v77
	v_cvt_f32_i32_e32 v70, v75
	v_pk_fma_f32 v[68:69], v[14:15], v[46:47], v[68:69] op_sel_hi:[1,0,1]
	v_pk_mul_f32 v[48:49], v[48:49], v[12:13] op_sel_hi:[0,1]
	v_add_u32_e32 v40, s27, v41
	v_pk_add_f32 v[68:69], v[68:69], v[70:71]
	v_mov_b32_e32 v74, 0
	v_pk_mul_f32 v[68:69], v[68:69], v[10:11]
	v_mov_b32_e32 v76, 0
	v_pk_fma_f32 v[66:67], v[66:67], v[8:9], v[68:69]
	v_mov_b32_e32 v42, 0
	v_pk_fma_f32 v[6:7], v[48:49], v[66:67], v[6:7]
	v_mad_u64_u32 v[48:49], s[22:23], v40, 36, s[24:25]
	v_mad_u64_u32 v[48:49], s[22:23], v20, 36, v[48:49]
	global_load_dwordx4 v[66:69], v[48:49], off
	global_load_dword v65, v[48:49], off offset:32
	global_load_dwordx4 v[70:73], v[48:49], off offset:16
	v_mov_b32_e32 v40, 0
	v_mov_b32_e32 v44, 0
	;; [unrolled: 1-line block ×5, first 2 shown]
	s_waitcnt vmcnt(2)
	v_dot4c_i32_i8_e32 v40, 0x1010101, v67
	v_dot4c_i32_i8_e32 v74, v47, v67
	;; [unrolled: 1-line block ×7, first 2 shown]
	v_cvt_f32_i32_e32 v40, v40
	s_waitcnt vmcnt(0)
	v_dot4c_i32_i8_e32 v42, 0x1010101, v70
	v_dot4c_i32_i8_e32 v74, v53, v69
	v_dot4c_i32_i8_e32 v76, v61, v69
	v_dot4c_i32_i8_e32 v74, v54, v70
	v_cvt_f32_i32_e32 v42, v42
	v_dot4c_i32_i8_e32 v76, v62, v70
	v_dot4c_i32_i8_e32 v44, 0x1010101, v71
	;; [unrolled: 1-line block ×4, first 2 shown]
	v_cvt_f32_i32_e32 v71, v76
	v_cvt_f32_i32_e32 v70, v74
	v_dot4c_i32_i8_e32 v44, 0x1010101, v72
	v_dot4c_i32_i8_e32 v46, 0x1010101, v73
	;; [unrolled: 1-line block ×4, first 2 shown]
	v_cvt_f32_i32_e32 v44, v44
	v_dot4c_i32_i8_e32 v46, 0x1010101, v65
	v_cvt_f32_f16_e32 v48, v66
	v_dot4c_i32_i8_e32 v75, v55, v73
	v_dot4c_i32_i8_e32 v77, v63, v73
	v_pk_fma_f32 v[66:67], v[38:39], v[40:41], 0 op_sel_hi:[1,0,0]
	v_cvt_f32_i32_e32 v46, v46
	v_dot4c_i32_i8_e32 v75, v56, v65
	v_dot4c_i32_i8_e32 v77, v64, v65
	v_pk_fma_f32 v[66:67], v[36:37], v[42:43], v[66:67] op_sel_hi:[1,0,1]
	v_pk_fma_f32 v[68:69], v[34:35], v[44:45], 0 op_sel_hi:[1,0,0]
	v_pk_add_f32 v[66:67], v[66:67], v[70:71]
	v_cvt_f32_i32_e32 v71, v77
	v_cvt_f32_i32_e32 v70, v75
	v_pk_fma_f32 v[68:69], v[14:15], v[46:47], v[68:69] op_sel_hi:[1,0,1]
	v_pk_mul_f32 v[48:49], v[48:49], v[12:13] op_sel_hi:[0,1]
	v_add_u32_e32 v40, s26, v41
	v_pk_add_f32 v[68:69], v[68:69], v[70:71]
	v_mov_b32_e32 v74, 0
	v_pk_mul_f32 v[68:69], v[68:69], v[10:11]
	v_mov_b32_e32 v76, 0
	v_pk_fma_f32 v[66:67], v[66:67], v[8:9], v[68:69]
	v_mov_b32_e32 v42, 0
	v_pk_fma_f32 v[0:1], v[48:49], v[66:67], v[0:1]
	v_mad_u64_u32 v[48:49], s[22:23], v40, 36, s[24:25]
	v_mad_u64_u32 v[48:49], s[22:23], v20, 36, v[48:49]
	global_load_dwordx4 v[66:69], v[48:49], off
	global_load_dword v65, v[48:49], off offset:32
	global_load_dwordx4 v[70:73], v[48:49], off offset:16
	v_mov_b32_e32 v40, 0
	v_mov_b32_e32 v44, 0
	;; [unrolled: 1-line block ×5, first 2 shown]
	s_waitcnt vmcnt(2)
	v_dot4c_i32_i8_e32 v40, 0x1010101, v67
	v_dot4c_i32_i8_e32 v74, v47, v67
	;; [unrolled: 1-line block ×7, first 2 shown]
	v_cvt_f32_i32_e32 v40, v40
	s_waitcnt vmcnt(0)
	v_dot4c_i32_i8_e32 v42, 0x1010101, v70
	v_dot4c_i32_i8_e32 v74, v53, v69
	;; [unrolled: 1-line block ×4, first 2 shown]
	v_cvt_f32_i32_e32 v42, v42
	v_dot4c_i32_i8_e32 v76, v62, v70
	v_dot4c_i32_i8_e32 v44, 0x1010101, v71
	;; [unrolled: 1-line block ×4, first 2 shown]
	v_cvt_f32_i32_e32 v71, v76
	v_cvt_f32_i32_e32 v70, v74
	v_dot4c_i32_i8_e32 v44, 0x1010101, v72
	v_dot4c_i32_i8_e32 v46, 0x1010101, v73
	;; [unrolled: 1-line block ×4, first 2 shown]
	v_cvt_f32_i32_e32 v44, v44
	v_dot4c_i32_i8_e32 v46, 0x1010101, v65
	v_cvt_f32_f16_e32 v48, v66
	v_dot4c_i32_i8_e32 v75, v55, v73
	v_dot4c_i32_i8_e32 v77, v63, v73
	v_pk_fma_f32 v[66:67], v[38:39], v[40:41], 0 op_sel_hi:[1,0,0]
	v_cvt_f32_i32_e32 v46, v46
	v_dot4c_i32_i8_e32 v75, v56, v65
	v_dot4c_i32_i8_e32 v77, v64, v65
	v_pk_fma_f32 v[66:67], v[36:37], v[42:43], v[66:67] op_sel_hi:[1,0,1]
	v_pk_fma_f32 v[68:69], v[34:35], v[44:45], 0 op_sel_hi:[1,0,0]
	v_pk_add_f32 v[66:67], v[66:67], v[70:71]
	v_cvt_f32_i32_e32 v71, v77
	v_cvt_f32_i32_e32 v70, v75
	v_pk_fma_f32 v[68:69], v[14:15], v[46:47], v[68:69] op_sel_hi:[1,0,1]
	v_pk_mul_f32 v[48:49], v[48:49], v[12:13] op_sel_hi:[0,1]
	v_add_u32_e32 v40, s15, v41
	v_pk_add_f32 v[68:69], v[68:69], v[70:71]
	s_nop 0
	v_pk_mul_f32 v[68:69], v[68:69], v[10:11]
	s_nop 0
	v_pk_fma_f32 v[66:67], v[66:67], v[8:9], v[68:69]
	s_nop 0
	v_pk_fma_f32 v[2:3], v[48:49], v[66:67], v[2:3]
	v_mad_u64_u32 v[48:49], s[22:23], v40, 36, s[24:25]
	v_mad_u64_u32 v[48:49], s[22:23], v20, 36, v[48:49]
	global_load_dwordx4 v[66:69], v[48:49], off
	global_load_dword v65, v[48:49], off offset:32
	global_load_dwordx4 v[70:73], v[48:49], off offset:16
	v_mov_b32_e32 v40, 0
	v_mov_b32_e32 v49, 0
	s_waitcnt vmcnt(2)
	v_dot4c_i32_i8_e32 v40, 0x1010101, v67
	v_dot4c_i32_i8_e32 v40, 0x1010101, v68
	;; [unrolled: 1-line block ×4, first 2 shown]
	v_mov_b32_e32 v50, 0
	v_cvt_f32_i32_e32 v48, v40
	v_mov_b32_e32 v40, 0
	v_dot4c_i32_i8_e32 v40, 0x1010101, v69
	s_waitcnt vmcnt(0)
	v_dot4c_i32_i8_e32 v40, 0x1010101, v70
	v_dot4c_i32_i8_e32 v50, v57, v67
	;; [unrolled: 1-line block ×4, first 2 shown]
	v_cvt_f32_i32_e32 v46, v40
	v_mov_b32_e32 v40, 0
	v_dot4c_i32_i8_e32 v40, 0x1010101, v71
	v_dot4c_i32_i8_e32 v40, 0x1010101, v72
	v_mov_b32_e32 v47, 0
	v_dot4c_i32_i8_e32 v50, v61, v69
	v_dot4c_i32_i8_e32 v49, v54, v70
	v_cvt_f32_i32_e32 v44, v40
	v_mov_b32_e32 v40, 0
	v_dot4c_i32_i8_e32 v40, 0x1010101, v73
	v_dot4c_i32_i8_e32 v40, 0x1010101, v65
	;; [unrolled: 1-line block ×4, first 2 shown]
	v_mov_b32_e32 v51, 0
	v_cvt_f32_i32_e32 v42, v40
	v_pk_fma_f32 v[34:35], v[34:35], v[44:45], 0 op_sel_hi:[1,0,0]
	v_dot4c_i32_i8_e32 v47, v52, v72
	v_dot4c_i32_i8_e32 v51, v60, v71
	v_pk_fma_f32 v[14:15], v[14:15], v[42:43], v[34:35] op_sel_hi:[1,0,1]
	v_cvt_f32_i32_e32 v35, v50
	v_cvt_f32_i32_e32 v34, v49
	v_dot4c_i32_i8_e32 v47, v55, v73
	v_dot4c_i32_i8_e32 v51, v59, v72
	v_dot4c_i32_i8_e32 v47, v56, v65
	v_dot4c_i32_i8_e32 v51, v63, v73
	v_pk_fma_f32 v[38:39], v[38:39], v[48:49], 0 op_sel_hi:[1,0,0]
	v_dot4c_i32_i8_e32 v51, v64, v65
	v_pk_fma_f32 v[36:37], v[36:37], v[46:47], v[38:39] op_sel_hi:[1,0,1]
	v_cvt_f32_f16_e32 v40, v66
	v_pk_add_f32 v[34:35], v[36:37], v[34:35]
	v_cvt_f32_i32_e32 v37, v51
	v_cvt_f32_i32_e32 v36, v47
	v_pk_mul_f32 v[12:13], v[40:41], v[12:13] op_sel_hi:[0,1]
	v_add_u32_e32 v41, 64, v41
	v_pk_add_f32 v[14:15], v[14:15], v[36:37]
	s_nop 0
	v_pk_mul_f32 v[10:11], v[14:15], v[10:11]
	s_nop 0
	v_pk_fma_f32 v[8:9], v[34:35], v[8:9], v[10:11]
	s_nop 0
	v_pk_fma_f32 v[32:33], v[12:13], v[8:9], v[32:33]
	s_andn2_b64 exec, exec, s[12:13]
	s_cbranch_execnz .LBB224_2
; %bb.3:
	s_or_b64 exec, exec, s[12:13]
	scratch_store_dwordx4 off, v[4:7], off
	scratch_store_dwordx4 off, v[0:3], off offset:16
	scratch_store_dwordx2 off, v[32:33], off offset:32
.LBB224_4:
	s_or_b64 exec, exec, s[6:7]
	s_mov_b32 s5, 0
	v_cmp_eq_u32_e32 vcc, 0, v21
	s_waitcnt lgkmcnt(0)
	; wave barrier
	s_and_saveexec_b64 s[6:7], vcc
	s_cbranch_execz .LBB224_15
; %bb.5:
	scratch_load_dwordx2 v[2:3], off, off
	v_mbcnt_lo_u32_b32 v0, -1, 0
	v_mbcnt_hi_u32_b32 v12, -1, v0
	s_load_dwordx2 s[6:7], s[0:1], 0x38
	s_mul_i32 s0, s3, s14
	v_or_b32_e32 v1, s19, v16
	v_and_b32_e32 v0, 64, v12
	s_mul_i32 s4, s4, s18
	s_add_i32 s2, s0, s19
	v_cmp_gt_u32_e64 s[0:1], s10, v1
	v_xor_b32_e32 v1, 32, v12
	v_add_u32_e32 v13, 64, v0
	s_add_i32 s4, s2, s4
	v_cmp_lt_i32_e64 s[2:3], v1, v13
	v_cmp_gt_u32_e32 vcc, 2, v16
	s_nop 0
	v_cndmask_b32_e64 v0, v12, v1, s[2:3]
	v_lshlrev_b32_e32 v0, 2, v0
	v_xor_b32_e32 v1, 16, v12
	v_cmp_lt_i32_e64 s[2:3], v1, v13
	s_waitcnt vmcnt(0)
	ds_bpermute_b32 v4, v0, v2
	ds_bpermute_b32 v5, v0, v3
	v_cndmask_b32_e64 v1, v12, v1, s[2:3]
	v_lshlrev_b32_e32 v1, 2, v1
	s_waitcnt lgkmcnt(0)
	v_pk_add_f32 v[4:5], v[2:3], v[4:5]
	ds_bpermute_b32 v6, v1, v4
	ds_bpermute_b32 v7, v1, v5
	v_xor_b32_e32 v2, 8, v12
	v_cmp_lt_i32_e64 s[2:3], v2, v13
	v_xor_b32_e32 v3, 4, v12
	s_waitcnt lgkmcnt(0)
	v_pk_add_f32 v[4:5], v[4:5], v[6:7]
	v_cndmask_b32_e64 v2, v12, v2, s[2:3]
	v_lshlrev_b32_e32 v2, 2, v2
	ds_bpermute_b32 v6, v2, v4
	ds_bpermute_b32 v7, v2, v5
	v_cmp_lt_i32_e64 s[2:3], v3, v13
	s_waitcnt lgkmcnt(0)
	v_pk_add_f32 v[6:7], v[4:5], v[6:7]
	v_cndmask_b32_e64 v3, v12, v3, s[2:3]
	v_lshlrev_b32_e32 v3, 2, v3
	ds_bpermute_b32 v8, v3, v6
	ds_bpermute_b32 v9, v3, v7
	v_xor_b32_e32 v4, 2, v12
	v_cmp_lt_i32_e64 s[2:3], v4, v13
	v_xor_b32_e32 v5, 1, v12
	s_waitcnt lgkmcnt(0)
	v_pk_add_f32 v[8:9], v[6:7], v[8:9]
	v_cndmask_b32_e64 v4, v12, v4, s[2:3]
	v_lshlrev_b32_e32 v4, 2, v4
	ds_bpermute_b32 v10, v4, v8
	ds_bpermute_b32 v11, v4, v9
	v_cmp_lt_i32_e64 s[2:3], v5, v13
	s_waitcnt lgkmcnt(0)
	v_pk_add_f32 v[8:9], v[8:9], v[10:11]
	v_cndmask_b32_e64 v5, v12, v5, s[2:3]
	v_lshlrev_b32_e32 v6, 2, v5
	ds_bpermute_b32 v10, v6, v8
	ds_bpermute_b32 v11, v6, v9
	s_lshl_b64 s[2:3], s[4:5], 2
	s_add_u32 s2, s6, s2
	s_addc_u32 s3, s7, s3
	s_and_b64 s[0:1], vcc, s[0:1]
	s_waitcnt lgkmcnt(0)
	v_pk_add_f32 v[8:9], v[8:9], v[10:11]
	v_lshlrev_b32_e32 v5, 2, v16
	scratch_store_dwordx2 off, v[8:9], off
	s_and_saveexec_b64 s[4:5], s[0:1]
	s_cbranch_execz .LBB224_7
; %bb.6:
	scratch_load_dword v7, v5, off
	s_waitcnt vmcnt(0)
	global_store_dword v5, v7, s[2:3]
.LBB224_7:
	s_or_b64 exec, exec, s[4:5]
	scratch_load_dwordx2 v[8:9], off, off offset:8
	s_waitcnt vmcnt(0)
	ds_bpermute_b32 v10, v0, v8
	ds_bpermute_b32 v11, v0, v9
	s_waitcnt lgkmcnt(0)
	v_pk_add_f32 v[8:9], v[8:9], v[10:11]
	ds_bpermute_b32 v10, v1, v8
	ds_bpermute_b32 v11, v1, v9
	s_waitcnt lgkmcnt(0)
	v_pk_add_f32 v[8:9], v[8:9], v[10:11]
	;; [unrolled: 4-line block ×6, first 2 shown]
	scratch_store_dwordx2 off, v[8:9], off offset:8
	s_and_saveexec_b64 s[4:5], s[0:1]
	s_cbranch_execz .LBB224_9
; %bb.8:
	scratch_load_dword v7, v5, off offset:8
	v_add_u32_e32 v8, s10, v16
	v_mov_b32_e32 v9, 0
	v_lshl_add_u64 v[8:9], v[8:9], 2, s[2:3]
	s_waitcnt vmcnt(0)
	global_store_dword v[8:9], v7, off
.LBB224_9:
	s_or_b64 exec, exec, s[4:5]
	scratch_load_dwordx2 v[8:9], off, off offset:16
	s_waitcnt vmcnt(0)
	ds_bpermute_b32 v10, v0, v8
	ds_bpermute_b32 v11, v0, v9
	s_waitcnt lgkmcnt(0)
	v_pk_add_f32 v[8:9], v[8:9], v[10:11]
	ds_bpermute_b32 v10, v1, v8
	ds_bpermute_b32 v11, v1, v9
	s_waitcnt lgkmcnt(0)
	v_pk_add_f32 v[8:9], v[8:9], v[10:11]
	;; [unrolled: 4-line block ×6, first 2 shown]
	scratch_store_dwordx2 off, v[8:9], off offset:16
	s_and_saveexec_b64 s[4:5], s[0:1]
	s_cbranch_execz .LBB224_11
; %bb.10:
	scratch_load_dword v7, v5, off offset:16
	v_lshl_or_b32 v8, s10, 1, v16
	v_mov_b32_e32 v9, 0
	v_lshl_add_u64 v[8:9], v[8:9], 2, s[2:3]
	s_waitcnt vmcnt(0)
	global_store_dword v[8:9], v7, off
.LBB224_11:
	s_or_b64 exec, exec, s[4:5]
	scratch_load_dwordx2 v[8:9], off, off offset:24
	s_waitcnt vmcnt(0)
	ds_bpermute_b32 v10, v0, v8
	ds_bpermute_b32 v11, v0, v9
	s_waitcnt lgkmcnt(0)
	v_pk_add_f32 v[8:9], v[8:9], v[10:11]
	ds_bpermute_b32 v10, v1, v8
	ds_bpermute_b32 v11, v1, v9
	s_waitcnt lgkmcnt(0)
	v_pk_add_f32 v[8:9], v[8:9], v[10:11]
	;; [unrolled: 4-line block ×6, first 2 shown]
	scratch_store_dwordx2 off, v[8:9], off offset:24
	s_and_saveexec_b64 s[4:5], s[0:1]
	s_cbranch_execz .LBB224_13
; %bb.12:
	scratch_load_dword v7, v5, off offset:24
	v_mad_u64_u32 v[8:9], s[6:7], s10, 3, v[16:17]
	v_mov_b32_e32 v9, 0
	v_lshl_add_u64 v[8:9], v[8:9], 2, s[2:3]
	s_waitcnt vmcnt(0)
	global_store_dword v[8:9], v7, off
.LBB224_13:
	s_or_b64 exec, exec, s[4:5]
	scratch_load_dwordx2 v[8:9], off, off offset:32
	s_waitcnt vmcnt(0)
	ds_bpermute_b32 v10, v0, v8
	ds_bpermute_b32 v11, v0, v9
	s_waitcnt lgkmcnt(0)
	v_pk_add_f32 v[8:9], v[8:9], v[10:11]
	ds_bpermute_b32 v0, v1, v8
	ds_bpermute_b32 v1, v1, v9
	s_waitcnt lgkmcnt(0)
	v_pk_add_f32 v[0:1], v[8:9], v[0:1]
	;; [unrolled: 4-line block ×6, first 2 shown]
	scratch_store_dwordx2 off, v[0:1], off offset:32
	s_and_b64 exec, exec, s[0:1]
	s_cbranch_execz .LBB224_15
; %bb.14:
	scratch_load_dword v2, v5, off offset:32
	v_lshl_or_b32 v0, s10, 2, v16
	v_mov_b32_e32 v1, 0
	v_lshl_add_u64 v[0:1], v[0:1], 2, s[2:3]
	s_waitcnt vmcnt(0)
	global_store_dword v[0:1], v2, off
.LBB224_15:
	s_endpgm
	.section	.rodata,"a",@progbits
	.p2align	6, 0x0
	.amdhsa_kernel _ZL13mul_mat_vec_qIL9ggml_type29ELi5ELb0ELb0EEvPKvS2_PKi31ggml_cuda_mm_fusion_args_devicePfj15HIP_vector_typeIjLj3EEjjjS8_jjjS8_jjjj
		.amdhsa_group_segment_fixed_size 0
		.amdhsa_private_segment_fixed_size 48
		.amdhsa_kernarg_size 144
		.amdhsa_user_sgpr_count 2
		.amdhsa_user_sgpr_dispatch_ptr 0
		.amdhsa_user_sgpr_queue_ptr 0
		.amdhsa_user_sgpr_kernarg_segment_ptr 1
		.amdhsa_user_sgpr_dispatch_id 0
		.amdhsa_user_sgpr_kernarg_preload_length 0
		.amdhsa_user_sgpr_kernarg_preload_offset 0
		.amdhsa_user_sgpr_private_segment_size 0
		.amdhsa_uses_dynamic_stack 0
		.amdhsa_enable_private_segment 1
		.amdhsa_system_sgpr_workgroup_id_x 1
		.amdhsa_system_sgpr_workgroup_id_y 1
		.amdhsa_system_sgpr_workgroup_id_z 1
		.amdhsa_system_sgpr_workgroup_info 0
		.amdhsa_system_vgpr_workitem_id 1
		.amdhsa_next_free_vgpr 78
		.amdhsa_next_free_sgpr 36
		.amdhsa_accum_offset 80
		.amdhsa_reserve_vcc 1
		.amdhsa_float_round_mode_32 0
		.amdhsa_float_round_mode_16_64 0
		.amdhsa_float_denorm_mode_32 3
		.amdhsa_float_denorm_mode_16_64 3
		.amdhsa_dx10_clamp 1
		.amdhsa_ieee_mode 1
		.amdhsa_fp16_overflow 0
		.amdhsa_tg_split 0
		.amdhsa_exception_fp_ieee_invalid_op 0
		.amdhsa_exception_fp_denorm_src 0
		.amdhsa_exception_fp_ieee_div_zero 0
		.amdhsa_exception_fp_ieee_overflow 0
		.amdhsa_exception_fp_ieee_underflow 0
		.amdhsa_exception_fp_ieee_inexact 0
		.amdhsa_exception_int_div_zero 0
	.end_amdhsa_kernel
	.section	.text._ZL13mul_mat_vec_qIL9ggml_type29ELi5ELb0ELb0EEvPKvS2_PKi31ggml_cuda_mm_fusion_args_devicePfj15HIP_vector_typeIjLj3EEjjjS8_jjjS8_jjjj,"axG",@progbits,_ZL13mul_mat_vec_qIL9ggml_type29ELi5ELb0ELb0EEvPKvS2_PKi31ggml_cuda_mm_fusion_args_devicePfj15HIP_vector_typeIjLj3EEjjjS8_jjjS8_jjjj,comdat
.Lfunc_end224:
	.size	_ZL13mul_mat_vec_qIL9ggml_type29ELi5ELb0ELb0EEvPKvS2_PKi31ggml_cuda_mm_fusion_args_devicePfj15HIP_vector_typeIjLj3EEjjjS8_jjjS8_jjjj, .Lfunc_end224-_ZL13mul_mat_vec_qIL9ggml_type29ELi5ELb0ELb0EEvPKvS2_PKi31ggml_cuda_mm_fusion_args_devicePfj15HIP_vector_typeIjLj3EEjjjS8_jjjS8_jjjj
                                        ; -- End function
	.section	.AMDGPU.csdata,"",@progbits
; Kernel info:
; codeLenInByte = 4584
; NumSgprs: 42
; NumVgprs: 78
; NumAgprs: 0
; TotalNumVgprs: 78
; ScratchSize: 48
; MemoryBound: 0
; FloatMode: 240
; IeeeMode: 1
; LDSByteSize: 0 bytes/workgroup (compile time only)
; SGPRBlocks: 5
; VGPRBlocks: 9
; NumSGPRsForWavesPerEU: 42
; NumVGPRsForWavesPerEU: 78
; AccumOffset: 80
; Occupancy: 6
; WaveLimiterHint : 0
; COMPUTE_PGM_RSRC2:SCRATCH_EN: 1
; COMPUTE_PGM_RSRC2:USER_SGPR: 2
; COMPUTE_PGM_RSRC2:TRAP_HANDLER: 0
; COMPUTE_PGM_RSRC2:TGID_X_EN: 1
; COMPUTE_PGM_RSRC2:TGID_Y_EN: 1
; COMPUTE_PGM_RSRC2:TGID_Z_EN: 1
; COMPUTE_PGM_RSRC2:TIDIG_COMP_CNT: 1
; COMPUTE_PGM_RSRC3_GFX90A:ACCUM_OFFSET: 19
; COMPUTE_PGM_RSRC3_GFX90A:TG_SPLIT: 0
	.section	.text._ZL13mul_mat_vec_qIL9ggml_type29ELi6ELb0ELb0EEvPKvS2_PKi31ggml_cuda_mm_fusion_args_devicePfj15HIP_vector_typeIjLj3EEjjjS8_jjjS8_jjjj,"axG",@progbits,_ZL13mul_mat_vec_qIL9ggml_type29ELi6ELb0ELb0EEvPKvS2_PKi31ggml_cuda_mm_fusion_args_devicePfj15HIP_vector_typeIjLj3EEjjjS8_jjjS8_jjjj,comdat
	.globl	_ZL13mul_mat_vec_qIL9ggml_type29ELi6ELb0ELb0EEvPKvS2_PKi31ggml_cuda_mm_fusion_args_devicePfj15HIP_vector_typeIjLj3EEjjjS8_jjjS8_jjjj ; -- Begin function _ZL13mul_mat_vec_qIL9ggml_type29ELi6ELb0ELb0EEvPKvS2_PKi31ggml_cuda_mm_fusion_args_devicePfj15HIP_vector_typeIjLj3EEjjjS8_jjjS8_jjjj
	.p2align	8
	.type	_ZL13mul_mat_vec_qIL9ggml_type29ELi6ELb0ELb0EEvPKvS2_PKi31ggml_cuda_mm_fusion_args_devicePfj15HIP_vector_typeIjLj3EEjjjS8_jjjS8_jjjj,@function
_ZL13mul_mat_vec_qIL9ggml_type29ELi6ELb0ELb0EEvPKvS2_PKi31ggml_cuda_mm_fusion_args_devicePfj15HIP_vector_typeIjLj3EEjjjS8_jjjS8_jjjj: ; @_ZL13mul_mat_vec_qIL9ggml_type29ELi6ELb0ELb0EEvPKvS2_PKi31ggml_cuda_mm_fusion_args_devicePfj15HIP_vector_typeIjLj3EEjjjS8_jjjS8_jjjj
; %bb.0:
	v_bfe_u32 v23, v0, 10, 10
	v_and_b32_e32 v20, 0x3ff, v0
	s_mov_b32 s20, 0
	s_load_dword s5, s[0:1], 0x40
	s_load_dwordx4 s[8:11], s[0:1], 0x50
	s_load_dword s27, s[0:1], 0x60
	s_load_dwordx4 s[12:15], s[0:1], 0x68
	;; [unrolled: 2-line block ×3, first 2 shown]
	v_lshl_or_b32 v4, v23, 6, v20
	s_mov_b32 s21, s20
	s_waitcnt lgkmcnt(0)
	s_lshr_b32 s5, s5, 8
	s_mov_b32 s22, s20
	s_mov_b32 s23, s20
	v_mov_b64_e32 v[0:1], s[20:21]
	v_lshrrev_b32_e32 v27, 3, v4
	s_lshl_b32 s19, s2, 1
	v_mov_b64_e32 v[2:3], s[22:23]
	v_cmp_gt_u32_e32 vcc, s5, v27
	scratch_store_dwordx4 off, v[0:3], off offset:32
	scratch_store_dwordx4 off, v[0:3], off offset:16
	scratch_store_dwordx4 off, v[0:3], off
	s_and_saveexec_b64 s[6:7], vcc
	s_cbranch_execz .LBB225_4
; %bb.1:
	s_load_dwordx4 s[20:23], s[0:1], 0x0
	s_mul_i32 s2, s4, s17
	s_mul_i32 s24, s2, 36
	;; [unrolled: 1-line block ×3, first 2 shown]
	s_mul_hi_u32 s17, s2, 36
	s_waitcnt lgkmcnt(0)
	s_add_u32 s24, s22, s24
	s_addc_u32 s17, s23, s17
	s_mul_i32 s30, s13, 36
	s_mul_hi_u32 s31, s13, 36
	s_add_u32 s24, s24, s30
	s_mul_hi_u32 s11, s11, s3
	s_addc_u32 s25, s17, s31
	s_add_i32 s11, s3, s11
	s_lshr_b32 s11, s11, s27
	s_mul_i32 s11, s11, s12
	s_mul_hi_u32 s12, s15, s4
	s_add_i32 s12, s4, s12
	s_lshr_b32 s12, s12, s26
	s_mul_i32 s12, s12, s16
	s_mul_i32 s13, s19, s8
	s_add_i32 s12, s12, s11
	v_and_b32_e32 v1, 1, v20
	s_add_i32 s11, s12, s13
	s_add_i32 s13, s19, 1
	v_cmp_eq_u32_e32 vcc, 1, v1
	s_mul_i32 s8, s8, s13
	v_lshl_add_u32 v1, v23, 6, v20
	s_add_i32 s8, s12, s8
	v_lshrrev_b32_e32 v1, 3, v1
	s_movk_i32 s12, 0x120
	v_mov_b64_e32 v[2:3], s[30:31]
	v_mad_u64_u32 v[2:3], s[12:13], v1, s12, v[2:3]
	v_and_b32_e32 v22, 7, v20
	v_mad_u64_u32 v[2:3], s[12:13], s2, 36, v[2:3]
	v_mad_u64_u32 v[2:3], s[12:13], v22, 36, v[2:3]
	v_mov_b32_e32 v25, 0
	v_bfe_u32 v0, v20, 1, 2
	v_cndmask_b32_e64 v26, 0, 6, vcc
	v_lshl_add_u64 v[2:3], v[2:3], 0, s[22:23]
	s_mov_b32 s16, 0xbf600000
	v_lshlrev_b32_e32 v24, 1, v22
	v_mov_b32_e32 v21, v26
	v_lshlrev_b32_e32 v43, 3, v27
	s_mul_i32 s15, s9, 5
	s_lshl_b32 s26, s9, 2
	s_mul_i32 s27, s9, 3
	s_lshl_b32 s28, s9, 1
	v_lshl_add_u64 v[28:29], v[2:3], 0, 16
	s_mov_b64 s[12:13], 0
	v_lshlrev_b32_e32 v30, 2, v22
	s_movk_i32 s29, 0x700
	v_lshlrev_b32_e32 v32, 1, v0
	s_mov_b32 s2, 0x3d000000
	v_mov_b64_e32 v[34:35], s[16:17]
	s_mov_b32 s30, 0x5040100
	s_mov_b32 s31, 0x7060302
	;; [unrolled: 1-line block ×3, first 2 shown]
	s_mov_b64 s[16:17], 0x900
	v_mov_b32_e32 v31, v25
	v_mov_b32_e32 v45, 8
	v_mov_b32_e32 v47, 4
	v_mov_b32_e32 v33, v25
	v_mov_b32_e32 v8, v25
	v_mov_b32_e32 v9, v25
	v_mov_b32_e32 v10, v25
	v_mov_b32_e32 v11, v25
	v_mov_b32_e32 v4, v25
	v_mov_b32_e32 v5, v25
	v_mov_b32_e32 v6, v25
	v_mov_b32_e32 v7, v25
	v_mov_b32_e32 v0, v25
	v_mov_b32_e32 v1, v25
	v_mov_b32_e32 v2, v25
	v_mov_b32_e32 v3, v25
.LBB225_2:                              ; =>This Inner Loop Header: Depth=1
	global_load_dwordx4 v[16:19], v[28:29], off offset:-16
	global_load_dword v67, v[28:29], off offset:16
	global_load_dwordx4 v[12:15], v[28:29], off
	v_mov_b32_e32 v38, 0
	v_add_u32_e32 v37, s11, v27
	v_mov_b32_e32 v70, 0
	v_mov_b32_e32 v75, 0
	;; [unrolled: 1-line block ×7, first 2 shown]
	v_lshl_add_u64 v[28:29], v[28:29], 0, s[16:17]
	s_waitcnt vmcnt(2)
	v_dot4c_i32_i8_e32 v38, 0x1010101, v19
	v_cvt_f32_f16_e32 v44, v16
	s_waitcnt vmcnt(0)
	v_dot4c_i32_i8_e32 v38, 0x1010101, v12
	v_dot4c_i32_i8_e32 v36, 0x1010101, v17
	;; [unrolled: 1-line block ×3, first 2 shown]
	s_nop 0
	v_cvt_f32_i32_e32 v42, v38
	v_mov_b32_e32 v38, 0
	v_dot4c_i32_i8_e32 v38, 0x1010101, v13
	v_dot4c_i32_i8_e32 v38, 0x1010101, v14
	v_cvt_f32_i32_e32 v36, v36
	s_nop 1
	v_cvt_f32_i32_e32 v46, v38
	v_mov_b32_e32 v38, 0
	v_dot4c_i32_i8_e32 v38, 0x1010101, v15
	v_dot4c_i32_i8_e32 v38, 0x1010101, v67
	s_nop 2
	v_cvt_f32_i32_e32 v48, v38
	v_mad_i64_i32 v[38:39], s[22:23], v37, 56, s[20:21]
	v_lshl_add_u64 v[40:41], v[38:39], 0, v[30:31]
	global_load_dword v16, v[40:41], off
	v_lshl_add_u64 v[40:41], v[38:39], 0, v[24:25]
	global_load_ushort v40, v[40:41], off offset:32
	s_getpc_b64 s[22:23]
	s_add_u32 s22, s22, _ZL13iq1s_grid_gpu@rel32@lo+4
	s_addc_u32 s23, s23, _ZL13iq1s_grid_gpu@rel32@hi+12
	s_waitcnt vmcnt(1)
	v_and_b32_e32 v41, 0xff, v16
	v_lshrrev_b32_e32 v37, 24, v16
	s_waitcnt vmcnt(0)
	v_lshlrev_b32_e32 v49, 8, v40
	v_and_or_b32 v41, v49, s29, v41
	v_lshlrev_b32_e32 v41, 2, v41
	global_load_dword v41, v41, s[22:23]
	v_lshlrev_b32_e32 v50, 4, v40
	v_and_b32_e32 v68, 8, v40
	v_lshrrev_b32_e32 v69, 4, v40
	v_and_b32_sdwa v71, v40, v45 dst_sel:DWORD dst_unused:UNUSED_PAD src0_sel:BYTE_1 src1_sel:DWORD
	v_lshrrev_b32_sdwa v73, v47, v40 dst_sel:DWORD dst_unused:UNUSED_PAD src0_sel:DWORD src1_sel:BYTE_1
	s_waitcnt vmcnt(0)
	v_and_b32_e32 v49, 0xf0f0f0f, v41
	v_lshrrev_b32_e32 v41, 4, v41
	v_and_b32_e32 v52, 0xf0f0f0f, v41
	v_bfe_u32 v41, v16, 8, 8
	v_and_or_b32 v41, v50, s29, v41
	v_lshlrev_b32_e32 v41, 2, v41
	global_load_dword v41, v41, s[22:23]
	v_bfe_u32 v16, v16, 16, 8
	global_load_dwordx2 v[50:51], v[38:39], off offset:48
	v_lshl_add_u64 v[38:39], v[38:39], 0, v[32:33]
	global_load_ushort v74, v[38:39], off offset:48
	v_dot4c_i32_i8_e32 v70, v49, v17
	v_dot4c_i32_i8_e32 v70, v52, v18
	s_waitcnt vmcnt(2)
	v_and_b32_e32 v55, 0xf0f0f0f, v41
	v_lshrrev_b32_e32 v41, 4, v41
	v_and_b32_e32 v56, 0xf0f0f0f, v41
	v_lshlrev_b32_sdwa v41, v45, v40 dst_sel:DWORD dst_unused:UNUSED_PAD src0_sel:DWORD src1_sel:BYTE_1
	v_and_or_b32 v16, v41, s29, v16
	v_lshlrev_b32_e32 v16, 2, v16
	global_load_dword v16, v16, s[22:23]
	v_dot4c_i32_i8_e32 v70, v55, v19
	v_dot4c_i32_i8_e32 v70, v56, v12
	s_waitcnt vmcnt(0)
	v_and_b32_e32 v53, 0xf0f0f0f, v16
	v_lshrrev_b32_e32 v16, 4, v16
	v_and_b32_e32 v54, 0xf0f0f0f, v16
	v_lshlrev_b32_sdwa v16, v47, v40 dst_sel:DWORD dst_unused:UNUSED_PAD src0_sel:DWORD src1_sel:BYTE_1
	v_and_or_b32 v16, v16, s29, v37
	v_lshlrev_b32_e32 v16, 2, v16
	global_load_dword v16, v16, s[22:23]
	v_dot4c_i32_i8_e32 v72, v53, v13
	v_dot4c_i32_i8_e32 v72, v54, v14
	s_waitcnt vmcnt(0)
	v_and_b32_e32 v57, 0xf0f0f0f, v16
	v_lshrrev_b32_e32 v16, 4, v16
	v_and_b32_e32 v58, 0xf0f0f0f, v16
	v_add_u32_e32 v16, s8, v27
	v_mad_i64_i32 v[38:39], s[34:35], v16, 56, s[20:21]
	v_lshl_add_u64 v[40:41], v[38:39], 0, v[30:31]
	global_load_dword v16, v[40:41], off
	v_lshl_add_u64 v[40:41], v[38:39], 0, v[24:25]
	global_load_ushort v40, v[40:41], off offset:32
	v_dot4c_i32_i8_e32 v72, v57, v15
	v_dot4c_i32_i8_e32 v72, v58, v67
	v_add_u32_e32 v27, 8, v27
	v_cmp_le_u32_e32 vcc, s5, v27
	s_or_b64 s[12:13], vcc, s[12:13]
	s_waitcnt vmcnt(1)
	v_and_b32_e32 v41, 0xff, v16
	v_lshrrev_b32_e32 v37, 24, v16
	s_waitcnt vmcnt(0)
	v_lshlrev_b32_e32 v59, 8, v40
	v_and_or_b32 v41, v59, s29, v41
	v_lshlrev_b32_e32 v41, 2, v41
	global_load_dword v41, v41, s[22:23]
	v_lshlrev_b32_e32 v61, 4, v40
	v_lshrrev_b32_sdwa v77, v47, v40 dst_sel:DWORD dst_unused:UNUSED_PAD src0_sel:DWORD src1_sel:BYTE_1
	s_waitcnt vmcnt(0)
	v_and_b32_e32 v59, 0xf0f0f0f, v41
	v_lshrrev_b32_e32 v41, 4, v41
	v_and_b32_e32 v60, 0xf0f0f0f, v41
	v_bfe_u32 v41, v16, 8, 8
	v_and_or_b32 v41, v61, s29, v41
	v_lshlrev_b32_e32 v41, 2, v41
	global_load_dword v41, v41, s[22:23]
	v_dot4c_i32_i8_e32 v75, v59, v17
	v_dot4c_i32_i8_e32 v75, v60, v18
	v_and_b32_e32 v17, 8, v40
	v_lshrrev_b32_e32 v18, 4, v40
	s_waitcnt vmcnt(0)
	v_and_b32_e32 v63, 0xf0f0f0f, v41
	v_lshrrev_b32_e32 v41, 4, v41
	v_and_b32_e32 v64, 0xf0f0f0f, v41
	v_dot4c_i32_i8_e32 v75, v63, v19
	v_dot4c_i32_i8_e32 v75, v64, v12
	v_bfe_u32 v12, v16, 16, 8
	v_lshlrev_b32_sdwa v16, v45, v40 dst_sel:DWORD dst_unused:UNUSED_PAD src0_sel:DWORD src1_sel:BYTE_1
	v_and_or_b32 v12, v16, s29, v12
	v_lshlrev_b32_e32 v12, 2, v12
	global_load_dword v12, v12, s[22:23]
	v_and_b32_e32 v16, 8, v69
	v_and_b32_sdwa v19, v40, v45 dst_sel:DWORD dst_unused:UNUSED_PAD src0_sel:BYTE_1 src1_sel:DWORD
	v_cvt_f32_ubyte0_e32 v16, v16
	s_waitcnt vmcnt(0)
	v_and_b32_e32 v62, 0xf0f0f0f, v12
	v_lshrrev_b32_e32 v12, 4, v12
	v_and_b32_e32 v61, 0xf0f0f0f, v12
	v_lshlrev_b32_sdwa v12, v47, v40 dst_sel:DWORD dst_unused:UNUSED_PAD src0_sel:DWORD src1_sel:BYTE_1
	v_and_or_b32 v12, v12, s29, v37
	v_lshlrev_b32_e32 v12, 2, v12
	global_load_dword v12, v12, s[22:23]
	v_dot4c_i32_i8_e32 v76, v62, v13
	v_dot4c_i32_i8_e32 v76, v61, v14
	s_waitcnt vmcnt(0)
	v_and_b32_e32 v65, 0xf0f0f0f, v12
	v_lshrrev_b32_e32 v12, 4, v12
	v_and_b32_e32 v66, 0xf0f0f0f, v12
	global_load_dwordx2 v[12:13], v[38:39], off offset:48
	v_dot4c_i32_i8_e32 v76, v65, v15
	v_lshl_add_u64 v[14:15], v[38:39], 0, v[32:33]
	v_dot4c_i32_i8_e32 v76, v66, v67
	global_load_ushort v67, v[14:15], off offset:48
	v_cvt_f32_ubyte0_e32 v15, v17
	v_and_b32_e32 v17, 8, v18
	v_cvt_f32_ubyte0_e32 v14, v68
	v_cvt_f32_ubyte0_e32 v17, v17
	v_pk_fma_f32 v[40:41], v[14:15], s[2:3], v[34:35] op_sel_hi:[1,0,0] neg_lo:[1,0,0] neg_hi:[1,0,0]
	v_pk_fma_f32 v[38:39], v[16:17], s[2:3], v[34:35] op_sel_hi:[1,0,0] neg_lo:[1,0,0] neg_hi:[1,0,0]
	v_cvt_f32_ubyte0_e32 v17, v19
	v_cvt_f32_ubyte0_e32 v16, v71
	v_and_b32_e32 v18, 8, v73
	v_and_b32_e32 v19, 8, v77
	v_pk_fma_f32 v[14:15], v[40:41], v[36:37], 0 op_sel_hi:[1,0,0]
	v_pk_fma_f32 v[36:37], v[16:17], s[2:3], v[34:35] op_sel_hi:[1,0,0] neg_lo:[1,0,0] neg_hi:[1,0,0]
	v_cvt_f32_ubyte0_e32 v19, v19
	v_cvt_f32_ubyte0_e32 v18, v18
	v_pk_fma_f32 v[16:17], v[36:37], v[46:47], 0 op_sel_hi:[1,0,0]
	v_pk_fma_f32 v[18:19], v[18:19], s[2:3], v[34:35] op_sel_hi:[1,0,0] neg_lo:[1,0,0] neg_hi:[1,0,0]
	v_pk_fma_f32 v[14:15], v[38:39], v[42:43], v[14:15] op_sel_hi:[1,0,1]
	v_pk_fma_f32 v[68:69], v[18:19], v[48:49], v[16:17] op_sel_hi:[1,0,1]
	v_mov_b32_e32 v77, 0
	s_waitcnt vmcnt(1)
	v_perm_b32 v16, v12, v50, s30
	v_perm_b32 v12, v12, v50, s31
	v_pk_lshrrev_b16 v16, 12, v16 op_sel_hi:[0,1]
	v_pk_lshrrev_b16 v12, 8, v12 op_sel_hi:[0,1]
	v_and_or_b32 v12, v12, s33, v16
	v_perm_b32 v16, v13, v51, s30
	v_pk_lshrrev_b16 v16, 4, v16 op_sel_hi:[0,1]
	v_perm_b32 v13, v13, v51, s31
	v_and_b32_e32 v16, 0xf000f00, v16
	v_and_b32_e32 v13, 0xf000f000, v13
	v_or3_b32 v12, v12, v16, v13
	v_cvt_f32_f16_e32 v16, v12
	v_cvt_f32_f16_sdwa v17, v12 dst_sel:DWORD dst_unused:UNUSED_PAD src0_sel:WORD_1
	v_lshrrev_b32_e32 v12, v26, v74
	s_waitcnt vmcnt(0)
	v_lshrrev_b32_e32 v13, v21, v67
	v_lshlrev_b32_e32 v42, 1, v13
	v_pk_mul_f32 v[50:51], v[44:45], v[16:17] op_sel_hi:[0,1]
	v_lshlrev_b32_e32 v44, 1, v12
	v_lshrrev_b32_e32 v13, 2, v13
	v_lshrrev_b32_e32 v12, 2, v12
	v_and_or_b32 v46, v12, 14, 1
	v_and_or_b32 v48, v13, 14, 1
	v_cvt_f32_i32_e32 v13, v75
	v_cvt_f32_i32_e32 v12, v70
	v_and_or_b32 v44, v44, 14, 1
	v_and_or_b32 v42, v42, 14, 1
	v_pk_add_f32 v[70:71], v[14:15], v[12:13]
	v_cvt_f32_i32_e32 v15, v76
	v_cvt_f32_i32_e32 v14, v72
	v_cvt_f32_ubyte0_e32 v13, v42
	v_cvt_f32_ubyte0_e32 v12, v44
	v_add_u32_e32 v42, s9, v43
	v_pk_add_f32 v[68:69], v[68:69], v[14:15]
	v_cvt_f32_ubyte0_e32 v15, v48
	v_cvt_f32_ubyte0_e32 v14, v46
	v_pk_mul_f32 v[68:69], v[68:69], v[14:15]
	v_mov_b32_e32 v76, 0
	v_pk_fma_f32 v[68:69], v[70:71], v[12:13], v[68:69]
	v_mov_b32_e32 v44, 0
	v_pk_fma_f32 v[8:9], v[50:51], v[68:69], v[8:9]
	v_mad_u64_u32 v[50:51], s[22:23], v42, 36, s[24:25]
	v_mad_u64_u32 v[50:51], s[22:23], v22, 36, v[50:51]
	global_load_dwordx4 v[68:71], v[50:51], off
	global_load_dword v67, v[50:51], off offset:32
	global_load_dwordx4 v[72:75], v[50:51], off offset:16
	v_mov_b32_e32 v42, 0
	v_mov_b32_e32 v46, 0
	v_mov_b32_e32 v48, 0
	s_waitcnt vmcnt(2)
	v_dot4c_i32_i8_e32 v42, 0x1010101, v69
	v_dot4c_i32_i8_e32 v76, v49, v69
	v_dot4c_i32_i8_e32 v78, v59, v69
	v_dot4c_i32_i8_e32 v42, 0x1010101, v70
	v_dot4c_i32_i8_e32 v44, 0x1010101, v71
	v_dot4c_i32_i8_e32 v76, v52, v70
	v_dot4c_i32_i8_e32 v78, v60, v70
	v_cvt_f32_i32_e32 v42, v42
	s_waitcnt vmcnt(0)
	v_dot4c_i32_i8_e32 v44, 0x1010101, v72
	v_dot4c_i32_i8_e32 v76, v55, v71
	v_dot4c_i32_i8_e32 v78, v63, v71
	v_dot4c_i32_i8_e32 v76, v56, v72
	v_cvt_f32_i32_e32 v44, v44
	v_dot4c_i32_i8_e32 v78, v64, v72
	v_dot4c_i32_i8_e32 v46, 0x1010101, v73
	v_dot4c_i32_i8_e32 v77, v53, v73
	v_dot4c_i32_i8_e32 v79, v62, v73
	v_cvt_f32_i32_e32 v73, v78
	v_cvt_f32_i32_e32 v72, v76
	v_dot4c_i32_i8_e32 v46, 0x1010101, v74
	v_dot4c_i32_i8_e32 v48, 0x1010101, v75
	v_dot4c_i32_i8_e32 v77, v54, v74
	v_dot4c_i32_i8_e32 v79, v61, v74
	v_cvt_f32_i32_e32 v46, v46
	v_dot4c_i32_i8_e32 v48, 0x1010101, v67
	v_cvt_f32_f16_e32 v50, v68
	v_dot4c_i32_i8_e32 v77, v57, v75
	v_dot4c_i32_i8_e32 v79, v65, v75
	v_pk_fma_f32 v[68:69], v[40:41], v[42:43], 0 op_sel_hi:[1,0,0]
	v_cvt_f32_i32_e32 v48, v48
	v_dot4c_i32_i8_e32 v77, v58, v67
	v_dot4c_i32_i8_e32 v79, v66, v67
	v_pk_fma_f32 v[68:69], v[38:39], v[44:45], v[68:69] op_sel_hi:[1,0,1]
	v_pk_fma_f32 v[70:71], v[36:37], v[46:47], 0 op_sel_hi:[1,0,0]
	v_pk_add_f32 v[68:69], v[68:69], v[72:73]
	v_cvt_f32_i32_e32 v73, v79
	v_cvt_f32_i32_e32 v72, v77
	v_pk_fma_f32 v[70:71], v[18:19], v[48:49], v[70:71] op_sel_hi:[1,0,1]
	v_pk_mul_f32 v[50:51], v[50:51], v[16:17] op_sel_hi:[0,1]
	v_add_u32_e32 v42, s28, v43
	v_pk_add_f32 v[70:71], v[70:71], v[72:73]
	v_mov_b32_e32 v76, 0
	v_pk_mul_f32 v[70:71], v[70:71], v[14:15]
	v_mov_b32_e32 v78, 0
	v_pk_fma_f32 v[68:69], v[68:69], v[12:13], v[70:71]
	v_mov_b32_e32 v44, 0
	v_pk_fma_f32 v[10:11], v[50:51], v[68:69], v[10:11]
	v_mad_u64_u32 v[50:51], s[22:23], v42, 36, s[24:25]
	v_mad_u64_u32 v[50:51], s[22:23], v22, 36, v[50:51]
	global_load_dwordx4 v[68:71], v[50:51], off
	global_load_dword v67, v[50:51], off offset:32
	global_load_dwordx4 v[72:75], v[50:51], off offset:16
	v_mov_b32_e32 v42, 0
	v_mov_b32_e32 v46, 0
	v_mov_b32_e32 v77, 0
	v_mov_b32_e32 v79, 0
	v_mov_b32_e32 v48, 0
	s_waitcnt vmcnt(2)
	v_dot4c_i32_i8_e32 v42, 0x1010101, v69
	v_dot4c_i32_i8_e32 v76, v49, v69
	v_dot4c_i32_i8_e32 v78, v59, v69
	v_dot4c_i32_i8_e32 v42, 0x1010101, v70
	v_dot4c_i32_i8_e32 v44, 0x1010101, v71
	v_dot4c_i32_i8_e32 v76, v52, v70
	v_dot4c_i32_i8_e32 v78, v60, v70
	v_cvt_f32_i32_e32 v42, v42
	s_waitcnt vmcnt(0)
	v_dot4c_i32_i8_e32 v44, 0x1010101, v72
	v_dot4c_i32_i8_e32 v76, v55, v71
	v_dot4c_i32_i8_e32 v78, v63, v71
	v_dot4c_i32_i8_e32 v76, v56, v72
	v_cvt_f32_i32_e32 v44, v44
	v_dot4c_i32_i8_e32 v78, v64, v72
	v_dot4c_i32_i8_e32 v46, 0x1010101, v73
	v_dot4c_i32_i8_e32 v77, v53, v73
	v_dot4c_i32_i8_e32 v79, v62, v73
	v_cvt_f32_i32_e32 v73, v78
	v_cvt_f32_i32_e32 v72, v76
	v_dot4c_i32_i8_e32 v46, 0x1010101, v74
	v_dot4c_i32_i8_e32 v48, 0x1010101, v75
	v_dot4c_i32_i8_e32 v77, v54, v74
	v_dot4c_i32_i8_e32 v79, v61, v74
	v_cvt_f32_i32_e32 v46, v46
	v_dot4c_i32_i8_e32 v48, 0x1010101, v67
	v_cvt_f32_f16_e32 v50, v68
	v_dot4c_i32_i8_e32 v77, v57, v75
	v_dot4c_i32_i8_e32 v79, v65, v75
	v_pk_fma_f32 v[68:69], v[40:41], v[42:43], 0 op_sel_hi:[1,0,0]
	v_cvt_f32_i32_e32 v48, v48
	v_dot4c_i32_i8_e32 v77, v58, v67
	v_dot4c_i32_i8_e32 v79, v66, v67
	v_pk_fma_f32 v[68:69], v[38:39], v[44:45], v[68:69] op_sel_hi:[1,0,1]
	v_pk_fma_f32 v[70:71], v[36:37], v[46:47], 0 op_sel_hi:[1,0,0]
	v_pk_add_f32 v[68:69], v[68:69], v[72:73]
	v_cvt_f32_i32_e32 v73, v79
	v_cvt_f32_i32_e32 v72, v77
	v_pk_fma_f32 v[70:71], v[18:19], v[48:49], v[70:71] op_sel_hi:[1,0,1]
	v_pk_mul_f32 v[50:51], v[50:51], v[16:17] op_sel_hi:[0,1]
	v_add_u32_e32 v42, s27, v43
	v_pk_add_f32 v[70:71], v[70:71], v[72:73]
	v_mov_b32_e32 v76, 0
	v_pk_mul_f32 v[70:71], v[70:71], v[14:15]
	v_mov_b32_e32 v78, 0
	v_pk_fma_f32 v[68:69], v[68:69], v[12:13], v[70:71]
	v_mov_b32_e32 v44, 0
	v_pk_fma_f32 v[4:5], v[50:51], v[68:69], v[4:5]
	v_mad_u64_u32 v[50:51], s[22:23], v42, 36, s[24:25]
	v_mad_u64_u32 v[50:51], s[22:23], v22, 36, v[50:51]
	global_load_dwordx4 v[68:71], v[50:51], off
	global_load_dword v67, v[50:51], off offset:32
	global_load_dwordx4 v[72:75], v[50:51], off offset:16
	v_mov_b32_e32 v42, 0
	v_mov_b32_e32 v46, 0
	;; [unrolled: 59-line block ×3, first 2 shown]
	v_mov_b32_e32 v77, 0
	v_mov_b32_e32 v79, 0
	;; [unrolled: 1-line block ×3, first 2 shown]
	s_waitcnt vmcnt(2)
	v_dot4c_i32_i8_e32 v42, 0x1010101, v69
	v_dot4c_i32_i8_e32 v76, v49, v69
	;; [unrolled: 1-line block ×7, first 2 shown]
	v_cvt_f32_i32_e32 v42, v42
	s_waitcnt vmcnt(0)
	v_dot4c_i32_i8_e32 v44, 0x1010101, v72
	v_dot4c_i32_i8_e32 v76, v55, v71
	;; [unrolled: 1-line block ×4, first 2 shown]
	v_cvt_f32_i32_e32 v44, v44
	v_dot4c_i32_i8_e32 v78, v64, v72
	v_dot4c_i32_i8_e32 v46, 0x1010101, v73
	;; [unrolled: 1-line block ×4, first 2 shown]
	v_cvt_f32_i32_e32 v73, v78
	v_cvt_f32_i32_e32 v72, v76
	v_dot4c_i32_i8_e32 v46, 0x1010101, v74
	v_dot4c_i32_i8_e32 v48, 0x1010101, v75
	v_dot4c_i32_i8_e32 v77, v54, v74
	v_dot4c_i32_i8_e32 v79, v61, v74
	v_cvt_f32_i32_e32 v46, v46
	v_dot4c_i32_i8_e32 v48, 0x1010101, v67
	v_cvt_f32_f16_e32 v50, v68
	v_dot4c_i32_i8_e32 v77, v57, v75
	v_dot4c_i32_i8_e32 v79, v65, v75
	v_pk_fma_f32 v[68:69], v[40:41], v[42:43], 0 op_sel_hi:[1,0,0]
	v_cvt_f32_i32_e32 v48, v48
	v_dot4c_i32_i8_e32 v77, v58, v67
	v_dot4c_i32_i8_e32 v79, v66, v67
	v_pk_fma_f32 v[68:69], v[38:39], v[44:45], v[68:69] op_sel_hi:[1,0,1]
	v_pk_fma_f32 v[70:71], v[36:37], v[46:47], 0 op_sel_hi:[1,0,0]
	v_pk_add_f32 v[68:69], v[68:69], v[72:73]
	v_cvt_f32_i32_e32 v73, v79
	v_cvt_f32_i32_e32 v72, v77
	v_pk_fma_f32 v[70:71], v[18:19], v[48:49], v[70:71] op_sel_hi:[1,0,1]
	v_pk_mul_f32 v[50:51], v[50:51], v[16:17] op_sel_hi:[0,1]
	v_add_u32_e32 v42, s15, v43
	v_pk_add_f32 v[70:71], v[70:71], v[72:73]
	s_nop 0
	v_pk_mul_f32 v[70:71], v[70:71], v[14:15]
	s_nop 0
	v_pk_fma_f32 v[68:69], v[68:69], v[12:13], v[70:71]
	s_nop 0
	v_pk_fma_f32 v[0:1], v[50:51], v[68:69], v[0:1]
	v_mad_u64_u32 v[50:51], s[22:23], v42, 36, s[24:25]
	v_mad_u64_u32 v[50:51], s[22:23], v22, 36, v[50:51]
	global_load_dwordx4 v[68:71], v[50:51], off
	global_load_dword v67, v[50:51], off offset:32
	global_load_dwordx4 v[72:75], v[50:51], off offset:16
	v_mov_b32_e32 v42, 0
	v_mov_b32_e32 v51, 0
	s_waitcnt vmcnt(2)
	v_dot4c_i32_i8_e32 v42, 0x1010101, v69
	v_dot4c_i32_i8_e32 v42, 0x1010101, v70
	;; [unrolled: 1-line block ×4, first 2 shown]
	v_mov_b32_e32 v52, 0
	v_cvt_f32_i32_e32 v50, v42
	v_mov_b32_e32 v42, 0
	v_dot4c_i32_i8_e32 v42, 0x1010101, v71
	s_waitcnt vmcnt(0)
	v_dot4c_i32_i8_e32 v42, 0x1010101, v72
	v_dot4c_i32_i8_e32 v52, v59, v69
	;; [unrolled: 1-line block ×4, first 2 shown]
	v_cvt_f32_i32_e32 v48, v42
	v_mov_b32_e32 v42, 0
	v_dot4c_i32_i8_e32 v42, 0x1010101, v73
	v_dot4c_i32_i8_e32 v42, 0x1010101, v74
	v_mov_b32_e32 v49, 0
	v_dot4c_i32_i8_e32 v52, v63, v71
	v_dot4c_i32_i8_e32 v51, v56, v72
	v_cvt_f32_i32_e32 v46, v42
	v_mov_b32_e32 v42, 0
	v_dot4c_i32_i8_e32 v42, 0x1010101, v75
	v_dot4c_i32_i8_e32 v42, 0x1010101, v67
	;; [unrolled: 1-line block ×4, first 2 shown]
	v_mov_b32_e32 v53, 0
	v_cvt_f32_i32_e32 v44, v42
	v_pk_fma_f32 v[36:37], v[36:37], v[46:47], 0 op_sel_hi:[1,0,0]
	v_dot4c_i32_i8_e32 v49, v54, v74
	v_dot4c_i32_i8_e32 v53, v62, v73
	v_pk_fma_f32 v[18:19], v[18:19], v[44:45], v[36:37] op_sel_hi:[1,0,1]
	v_cvt_f32_i32_e32 v37, v52
	v_cvt_f32_i32_e32 v36, v51
	v_dot4c_i32_i8_e32 v49, v57, v75
	v_dot4c_i32_i8_e32 v53, v61, v74
	;; [unrolled: 1-line block ×4, first 2 shown]
	v_pk_fma_f32 v[40:41], v[40:41], v[50:51], 0 op_sel_hi:[1,0,0]
	v_dot4c_i32_i8_e32 v53, v66, v67
	v_pk_fma_f32 v[38:39], v[38:39], v[48:49], v[40:41] op_sel_hi:[1,0,1]
	v_cvt_f32_f16_e32 v42, v68
	v_pk_add_f32 v[36:37], v[38:39], v[36:37]
	v_cvt_f32_i32_e32 v39, v53
	v_cvt_f32_i32_e32 v38, v49
	v_pk_mul_f32 v[16:17], v[42:43], v[16:17] op_sel_hi:[0,1]
	v_add_u32_e32 v43, 64, v43
	v_pk_add_f32 v[18:19], v[18:19], v[38:39]
	s_nop 0
	v_pk_mul_f32 v[14:15], v[18:19], v[14:15]
	s_nop 0
	v_pk_fma_f32 v[12:13], v[36:37], v[12:13], v[14:15]
	s_nop 0
	v_pk_fma_f32 v[2:3], v[16:17], v[12:13], v[2:3]
	s_andn2_b64 exec, exec, s[12:13]
	s_cbranch_execnz .LBB225_2
; %bb.3:
	s_or_b64 exec, exec, s[12:13]
	scratch_store_dwordx4 off, v[8:11], off
	scratch_store_dwordx4 off, v[4:7], off offset:16
	scratch_store_dwordx4 off, v[0:3], off offset:32
.LBB225_4:
	s_or_b64 exec, exec, s[6:7]
	s_mov_b32 s5, 0
	v_cmp_eq_u32_e32 vcc, 0, v23
	s_waitcnt lgkmcnt(0)
	; wave barrier
	s_and_saveexec_b64 s[6:7], vcc
	s_cbranch_execz .LBB225_17
; %bb.5:
	scratch_load_dwordx2 v[2:3], off, off
	v_mbcnt_lo_u32_b32 v0, -1, 0
	v_mbcnt_hi_u32_b32 v12, -1, v0
	s_load_dwordx2 s[6:7], s[0:1], 0x38
	s_mul_i32 s0, s3, s14
	v_or_b32_e32 v1, s19, v20
	v_and_b32_e32 v0, 64, v12
	s_mul_i32 s4, s4, s18
	s_add_i32 s2, s0, s19
	v_cmp_gt_u32_e64 s[0:1], s10, v1
	v_xor_b32_e32 v1, 32, v12
	v_add_u32_e32 v13, 64, v0
	s_add_i32 s4, s2, s4
	v_cmp_lt_i32_e64 s[2:3], v1, v13
	v_cmp_gt_u32_e32 vcc, 2, v20
	s_nop 0
	v_cndmask_b32_e64 v0, v12, v1, s[2:3]
	v_lshlrev_b32_e32 v0, 2, v0
	v_xor_b32_e32 v1, 16, v12
	v_cmp_lt_i32_e64 s[2:3], v1, v13
	s_waitcnt vmcnt(0)
	ds_bpermute_b32 v4, v0, v2
	ds_bpermute_b32 v5, v0, v3
	v_cndmask_b32_e64 v1, v12, v1, s[2:3]
	v_lshlrev_b32_e32 v1, 2, v1
	s_waitcnt lgkmcnt(0)
	v_pk_add_f32 v[4:5], v[2:3], v[4:5]
	ds_bpermute_b32 v6, v1, v4
	ds_bpermute_b32 v7, v1, v5
	v_xor_b32_e32 v2, 8, v12
	v_cmp_lt_i32_e64 s[2:3], v2, v13
	v_xor_b32_e32 v3, 4, v12
	s_waitcnt lgkmcnt(0)
	v_pk_add_f32 v[4:5], v[4:5], v[6:7]
	v_cndmask_b32_e64 v2, v12, v2, s[2:3]
	v_lshlrev_b32_e32 v2, 2, v2
	ds_bpermute_b32 v6, v2, v4
	ds_bpermute_b32 v7, v2, v5
	v_cmp_lt_i32_e64 s[2:3], v3, v13
	s_waitcnt lgkmcnt(0)
	v_pk_add_f32 v[6:7], v[4:5], v[6:7]
	v_cndmask_b32_e64 v3, v12, v3, s[2:3]
	v_lshlrev_b32_e32 v3, 2, v3
	ds_bpermute_b32 v8, v3, v6
	ds_bpermute_b32 v9, v3, v7
	v_xor_b32_e32 v4, 2, v12
	v_cmp_lt_i32_e64 s[2:3], v4, v13
	v_xor_b32_e32 v5, 1, v12
	s_waitcnt lgkmcnt(0)
	v_pk_add_f32 v[8:9], v[6:7], v[8:9]
	v_cndmask_b32_e64 v4, v12, v4, s[2:3]
	v_lshlrev_b32_e32 v4, 2, v4
	ds_bpermute_b32 v10, v4, v8
	ds_bpermute_b32 v11, v4, v9
	v_cmp_lt_i32_e64 s[2:3], v5, v13
	s_waitcnt lgkmcnt(0)
	v_pk_add_f32 v[8:9], v[8:9], v[10:11]
	v_cndmask_b32_e64 v5, v12, v5, s[2:3]
	v_lshlrev_b32_e32 v6, 2, v5
	ds_bpermute_b32 v10, v6, v8
	ds_bpermute_b32 v11, v6, v9
	s_lshl_b64 s[2:3], s[4:5], 2
	s_add_u32 s2, s6, s2
	s_addc_u32 s3, s7, s3
	s_and_b64 s[0:1], vcc, s[0:1]
	s_waitcnt lgkmcnt(0)
	v_pk_add_f32 v[8:9], v[8:9], v[10:11]
	v_lshlrev_b32_e32 v5, 2, v20
	scratch_store_dwordx2 off, v[8:9], off
	s_and_saveexec_b64 s[4:5], s[0:1]
	s_cbranch_execz .LBB225_7
; %bb.6:
	scratch_load_dword v7, v5, off
	s_waitcnt vmcnt(0)
	global_store_dword v5, v7, s[2:3]
.LBB225_7:
	s_or_b64 exec, exec, s[4:5]
	scratch_load_dwordx2 v[8:9], off, off offset:8
	s_waitcnt vmcnt(0)
	ds_bpermute_b32 v10, v0, v8
	ds_bpermute_b32 v11, v0, v9
	s_waitcnt lgkmcnt(0)
	v_pk_add_f32 v[8:9], v[8:9], v[10:11]
	ds_bpermute_b32 v10, v1, v8
	ds_bpermute_b32 v11, v1, v9
	s_waitcnt lgkmcnt(0)
	v_pk_add_f32 v[8:9], v[8:9], v[10:11]
	;; [unrolled: 4-line block ×6, first 2 shown]
	scratch_store_dwordx2 off, v[8:9], off offset:8
	s_and_saveexec_b64 s[4:5], s[0:1]
	s_cbranch_execz .LBB225_9
; %bb.8:
	scratch_load_dword v7, v5, off offset:8
	v_add_u32_e32 v8, s10, v20
	v_mov_b32_e32 v9, 0
	v_lshl_add_u64 v[8:9], v[8:9], 2, s[2:3]
	s_waitcnt vmcnt(0)
	global_store_dword v[8:9], v7, off
.LBB225_9:
	s_or_b64 exec, exec, s[4:5]
	scratch_load_dwordx2 v[8:9], off, off offset:16
	s_waitcnt vmcnt(0)
	ds_bpermute_b32 v10, v0, v8
	ds_bpermute_b32 v11, v0, v9
	s_waitcnt lgkmcnt(0)
	v_pk_add_f32 v[8:9], v[8:9], v[10:11]
	ds_bpermute_b32 v10, v1, v8
	ds_bpermute_b32 v11, v1, v9
	s_waitcnt lgkmcnt(0)
	v_pk_add_f32 v[8:9], v[8:9], v[10:11]
	ds_bpermute_b32 v10, v2, v8
	ds_bpermute_b32 v11, v2, v9
	s_waitcnt lgkmcnt(0)
	v_pk_add_f32 v[8:9], v[8:9], v[10:11]
	ds_bpermute_b32 v10, v3, v8
	ds_bpermute_b32 v11, v3, v9
	s_waitcnt lgkmcnt(0)
	v_pk_add_f32 v[8:9], v[8:9], v[10:11]
	ds_bpermute_b32 v10, v4, v8
	ds_bpermute_b32 v11, v4, v9
	s_waitcnt lgkmcnt(0)
	v_pk_add_f32 v[8:9], v[8:9], v[10:11]
	ds_bpermute_b32 v10, v6, v8
	ds_bpermute_b32 v11, v6, v9
	s_waitcnt lgkmcnt(0)
	v_pk_add_f32 v[8:9], v[8:9], v[10:11]
	scratch_store_dwordx2 off, v[8:9], off offset:16
	s_and_saveexec_b64 s[4:5], s[0:1]
	s_cbranch_execz .LBB225_11
; %bb.10:
	scratch_load_dword v7, v5, off offset:16
	v_lshl_or_b32 v8, s10, 1, v20
	v_mov_b32_e32 v9, 0
	v_lshl_add_u64 v[8:9], v[8:9], 2, s[2:3]
	s_waitcnt vmcnt(0)
	global_store_dword v[8:9], v7, off
.LBB225_11:
	s_or_b64 exec, exec, s[4:5]
	scratch_load_dwordx2 v[8:9], off, off offset:24
	s_waitcnt vmcnt(0)
	ds_bpermute_b32 v10, v0, v8
	ds_bpermute_b32 v11, v0, v9
	s_waitcnt lgkmcnt(0)
	v_pk_add_f32 v[8:9], v[8:9], v[10:11]
	ds_bpermute_b32 v10, v1, v8
	ds_bpermute_b32 v11, v1, v9
	s_waitcnt lgkmcnt(0)
	v_pk_add_f32 v[8:9], v[8:9], v[10:11]
	;; [unrolled: 4-line block ×6, first 2 shown]
	scratch_store_dwordx2 off, v[8:9], off offset:24
	s_and_saveexec_b64 s[4:5], s[0:1]
	s_cbranch_execz .LBB225_13
; %bb.12:
	scratch_load_dword v7, v5, off offset:24
	v_mad_u64_u32 v[8:9], s[6:7], s10, 3, v[20:21]
	v_mov_b32_e32 v9, 0
	v_lshl_add_u64 v[8:9], v[8:9], 2, s[2:3]
	s_waitcnt vmcnt(0)
	global_store_dword v[8:9], v7, off
.LBB225_13:
	s_or_b64 exec, exec, s[4:5]
	scratch_load_dwordx2 v[8:9], off, off offset:32
	s_waitcnt vmcnt(0)
	ds_bpermute_b32 v10, v0, v8
	ds_bpermute_b32 v11, v0, v9
	s_waitcnt lgkmcnt(0)
	v_pk_add_f32 v[8:9], v[8:9], v[10:11]
	ds_bpermute_b32 v10, v1, v8
	ds_bpermute_b32 v11, v1, v9
	s_waitcnt lgkmcnt(0)
	v_pk_add_f32 v[8:9], v[8:9], v[10:11]
	;; [unrolled: 4-line block ×6, first 2 shown]
	scratch_store_dwordx2 off, v[8:9], off offset:32
	s_and_saveexec_b64 s[4:5], s[0:1]
	s_cbranch_execz .LBB225_15
; %bb.14:
	scratch_load_dword v7, v5, off offset:32
	v_lshl_or_b32 v8, s10, 2, v20
	v_mov_b32_e32 v9, 0
	v_lshl_add_u64 v[8:9], v[8:9], 2, s[2:3]
	s_waitcnt vmcnt(0)
	global_store_dword v[8:9], v7, off
.LBB225_15:
	s_or_b64 exec, exec, s[4:5]
	scratch_load_dwordx2 v[8:9], off, off offset:40
	s_waitcnt vmcnt(0)
	ds_bpermute_b32 v10, v0, v8
	ds_bpermute_b32 v11, v0, v9
	s_waitcnt lgkmcnt(0)
	v_pk_add_f32 v[8:9], v[8:9], v[10:11]
	ds_bpermute_b32 v0, v1, v8
	ds_bpermute_b32 v1, v1, v9
	s_waitcnt lgkmcnt(0)
	v_pk_add_f32 v[0:1], v[8:9], v[0:1]
	;; [unrolled: 4-line block ×6, first 2 shown]
	scratch_store_dwordx2 off, v[0:1], off offset:40
	s_and_b64 exec, exec, s[0:1]
	s_cbranch_execz .LBB225_17
; %bb.16:
	scratch_load_dword v2, v5, off offset:40
	v_mad_u64_u32 v[0:1], s[0:1], s10, 5, v[20:21]
	v_mov_b32_e32 v1, 0
	v_lshl_add_u64 v[0:1], v[0:1], 2, s[2:3]
	s_waitcnt vmcnt(0)
	global_store_dword v[0:1], v2, off
.LBB225_17:
	s_endpgm
	.section	.rodata,"a",@progbits
	.p2align	6, 0x0
	.amdhsa_kernel _ZL13mul_mat_vec_qIL9ggml_type29ELi6ELb0ELb0EEvPKvS2_PKi31ggml_cuda_mm_fusion_args_devicePfj15HIP_vector_typeIjLj3EEjjjS8_jjjS8_jjjj
		.amdhsa_group_segment_fixed_size 0
		.amdhsa_private_segment_fixed_size 64
		.amdhsa_kernarg_size 144
		.amdhsa_user_sgpr_count 2
		.amdhsa_user_sgpr_dispatch_ptr 0
		.amdhsa_user_sgpr_queue_ptr 0
		.amdhsa_user_sgpr_kernarg_segment_ptr 1
		.amdhsa_user_sgpr_dispatch_id 0
		.amdhsa_user_sgpr_kernarg_preload_length 0
		.amdhsa_user_sgpr_kernarg_preload_offset 0
		.amdhsa_user_sgpr_private_segment_size 0
		.amdhsa_uses_dynamic_stack 0
		.amdhsa_enable_private_segment 1
		.amdhsa_system_sgpr_workgroup_id_x 1
		.amdhsa_system_sgpr_workgroup_id_y 1
		.amdhsa_system_sgpr_workgroup_id_z 1
		.amdhsa_system_sgpr_workgroup_info 0
		.amdhsa_system_vgpr_workitem_id 1
		.amdhsa_next_free_vgpr 80
		.amdhsa_next_free_sgpr 36
		.amdhsa_accum_offset 80
		.amdhsa_reserve_vcc 1
		.amdhsa_float_round_mode_32 0
		.amdhsa_float_round_mode_16_64 0
		.amdhsa_float_denorm_mode_32 3
		.amdhsa_float_denorm_mode_16_64 3
		.amdhsa_dx10_clamp 1
		.amdhsa_ieee_mode 1
		.amdhsa_fp16_overflow 0
		.amdhsa_tg_split 0
		.amdhsa_exception_fp_ieee_invalid_op 0
		.amdhsa_exception_fp_denorm_src 0
		.amdhsa_exception_fp_ieee_div_zero 0
		.amdhsa_exception_fp_ieee_overflow 0
		.amdhsa_exception_fp_ieee_underflow 0
		.amdhsa_exception_fp_ieee_inexact 0
		.amdhsa_exception_int_div_zero 0
	.end_amdhsa_kernel
	.section	.text._ZL13mul_mat_vec_qIL9ggml_type29ELi6ELb0ELb0EEvPKvS2_PKi31ggml_cuda_mm_fusion_args_devicePfj15HIP_vector_typeIjLj3EEjjjS8_jjjS8_jjjj,"axG",@progbits,_ZL13mul_mat_vec_qIL9ggml_type29ELi6ELb0ELb0EEvPKvS2_PKi31ggml_cuda_mm_fusion_args_devicePfj15HIP_vector_typeIjLj3EEjjjS8_jjjS8_jjjj,comdat
.Lfunc_end225:
	.size	_ZL13mul_mat_vec_qIL9ggml_type29ELi6ELb0ELb0EEvPKvS2_PKi31ggml_cuda_mm_fusion_args_devicePfj15HIP_vector_typeIjLj3EEjjjS8_jjjS8_jjjj, .Lfunc_end225-_ZL13mul_mat_vec_qIL9ggml_type29ELi6ELb0ELb0EEvPKvS2_PKi31ggml_cuda_mm_fusion_args_devicePfj15HIP_vector_typeIjLj3EEjjjS8_jjjS8_jjjj
                                        ; -- End function
	.section	.AMDGPU.csdata,"",@progbits
; Kernel info:
; codeLenInByte = 5160
; NumSgprs: 42
; NumVgprs: 80
; NumAgprs: 0
; TotalNumVgprs: 80
; ScratchSize: 64
; MemoryBound: 0
; FloatMode: 240
; IeeeMode: 1
; LDSByteSize: 0 bytes/workgroup (compile time only)
; SGPRBlocks: 5
; VGPRBlocks: 9
; NumSGPRsForWavesPerEU: 42
; NumVGPRsForWavesPerEU: 80
; AccumOffset: 80
; Occupancy: 6
; WaveLimiterHint : 0
; COMPUTE_PGM_RSRC2:SCRATCH_EN: 1
; COMPUTE_PGM_RSRC2:USER_SGPR: 2
; COMPUTE_PGM_RSRC2:TRAP_HANDLER: 0
; COMPUTE_PGM_RSRC2:TGID_X_EN: 1
; COMPUTE_PGM_RSRC2:TGID_Y_EN: 1
; COMPUTE_PGM_RSRC2:TGID_Z_EN: 1
; COMPUTE_PGM_RSRC2:TIDIG_COMP_CNT: 1
; COMPUTE_PGM_RSRC3_GFX90A:ACCUM_OFFSET: 19
; COMPUTE_PGM_RSRC3_GFX90A:TG_SPLIT: 0
	.section	.text._ZL13mul_mat_vec_qIL9ggml_type29ELi7ELb0ELb0EEvPKvS2_PKi31ggml_cuda_mm_fusion_args_devicePfj15HIP_vector_typeIjLj3EEjjjS8_jjjS8_jjjj,"axG",@progbits,_ZL13mul_mat_vec_qIL9ggml_type29ELi7ELb0ELb0EEvPKvS2_PKi31ggml_cuda_mm_fusion_args_devicePfj15HIP_vector_typeIjLj3EEjjjS8_jjjS8_jjjj,comdat
	.globl	_ZL13mul_mat_vec_qIL9ggml_type29ELi7ELb0ELb0EEvPKvS2_PKi31ggml_cuda_mm_fusion_args_devicePfj15HIP_vector_typeIjLj3EEjjjS8_jjjS8_jjjj ; -- Begin function _ZL13mul_mat_vec_qIL9ggml_type29ELi7ELb0ELb0EEvPKvS2_PKi31ggml_cuda_mm_fusion_args_devicePfj15HIP_vector_typeIjLj3EEjjjS8_jjjS8_jjjj
	.p2align	8
	.type	_ZL13mul_mat_vec_qIL9ggml_type29ELi7ELb0ELb0EEvPKvS2_PKi31ggml_cuda_mm_fusion_args_devicePfj15HIP_vector_typeIjLj3EEjjjS8_jjjS8_jjjj,@function
_ZL13mul_mat_vec_qIL9ggml_type29ELi7ELb0ELb0EEvPKvS2_PKi31ggml_cuda_mm_fusion_args_devicePfj15HIP_vector_typeIjLj3EEjjjS8_jjjS8_jjjj: ; @_ZL13mul_mat_vec_qIL9ggml_type29ELi7ELb0ELb0EEvPKvS2_PKi31ggml_cuda_mm_fusion_args_devicePfj15HIP_vector_typeIjLj3EEjjjS8_jjjS8_jjjj
; %bb.0:
	v_bfe_u32 v21, v0, 10, 10
	v_and_b32_e32 v20, 0x3ff, v0
	s_mov_b32 s20, 0
	s_load_dword s5, s[0:1], 0x40
	s_load_dwordx4 s[8:11], s[0:1], 0x50
	s_load_dword s27, s[0:1], 0x60
	s_load_dwordx4 s[12:15], s[0:1], 0x68
	;; [unrolled: 2-line block ×3, first 2 shown]
	v_lshl_or_b32 v4, v21, 6, v20
	s_mov_b32 s21, s20
	s_waitcnt lgkmcnt(0)
	s_lshr_b32 s5, s5, 8
	v_mov_b32_e32 v23, 0
	s_mov_b32 s22, s20
	s_mov_b32 s23, s20
	v_mov_b64_e32 v[0:1], s[20:21]
	v_lshrrev_b32_e32 v25, 3, v4
	s_lshl_b32 s19, s2, 1
	v_mov_b32_e32 v22, v23
	v_mov_b64_e32 v[2:3], s[22:23]
	v_cmp_gt_u32_e32 vcc, s5, v25
	scratch_store_dwordx2 off, v[22:23], off offset:48
	scratch_store_dwordx4 off, v[0:3], off offset:32
	scratch_store_dwordx4 off, v[0:3], off offset:16
	scratch_store_dwordx4 off, v[0:3], off
	s_and_saveexec_b64 s[6:7], vcc
	s_cbranch_execz .LBB226_4
; %bb.1:
	s_load_dwordx4 s[20:23], s[0:1], 0x0
	s_mul_i32 s2, s4, s17
	s_mul_i32 s24, s2, 36
	;; [unrolled: 1-line block ×3, first 2 shown]
	s_mul_hi_u32 s17, s2, 36
	s_waitcnt lgkmcnt(0)
	s_add_u32 s24, s22, s24
	s_addc_u32 s17, s23, s17
	s_mul_i32 s30, s13, 36
	s_mul_hi_u32 s31, s13, 36
	s_add_u32 s24, s24, s30
	s_mul_hi_u32 s11, s11, s3
	s_addc_u32 s25, s17, s31
	s_add_i32 s11, s3, s11
	s_lshr_b32 s11, s11, s27
	s_mul_i32 s12, s11, s12
	s_mul_hi_u32 s11, s15, s4
	s_add_i32 s11, s4, s11
	s_lshr_b32 s11, s11, s26
	v_and_b32_e32 v1, 1, v20
	s_mul_i32 s13, s11, s16
	v_cmp_eq_u32_e32 vcc, 1, v1
	s_mov_b32 s11, 0x5040100
	s_add_i32 s12, s13, s12
	v_cndmask_b32_e64 v1, 0, 6, vcc
	s_add_i32 s13, s19, 1
	s_mul_i32 s15, s19, s8
	v_perm_b32 v43, v1, v1, s11
	s_mul_i32 s8, s8, s13
	v_lshl_add_u32 v1, v21, 6, v20
	s_add_i32 s15, s12, s15
	s_add_i32 s8, s12, s8
	v_lshrrev_b32_e32 v1, 3, v1
	s_movk_i32 s12, 0x120
	v_mov_b64_e32 v[2:3], s[30:31]
	v_mad_u64_u32 v[2:3], s[12:13], v1, s12, v[2:3]
	v_and_b32_e32 v24, 7, v20
	v_mad_u64_u32 v[2:3], s[12:13], s2, 36, v[2:3]
	v_mad_u64_u32 v[2:3], s[12:13], v24, 36, v[2:3]
	v_bfe_u32 v0, v20, 1, 2
	v_lshl_add_u64 v[2:3], v[2:3], 0, s[22:23]
	s_mov_b32 s16, 0xbf600000
	v_lshlrev_b32_e32 v22, 1, v24
	v_lshlrev_b32_e32 v45, 3, v25
	s_mul_i32 s26, s9, 6
	s_mul_i32 s27, s9, 5
	s_lshl_b32 s28, s9, 2
	s_mul_i32 s29, s9, 3
	v_lshl_add_u64 v[28:29], v[2:3], 0, 16
	s_lshl_b32 s30, s9, 1
	s_mov_b64 s[12:13], 0
	v_lshlrev_b32_e32 v30, 2, v24
	s_movk_i32 s31, 0x700
	v_lshlrev_b32_e32 v32, 1, v0
	s_mov_b32 s2, 0x3d000000
	v_mov_b64_e32 v[34:35], s[16:17]
	s_mov_b32 s33, 0x7060302
	s_mov_b32 s34, 0xf000f0
	s_mov_b64 s[16:17], 0x900
	v_mov_b32_e32 v31, v23
	v_mov_b32_e32 v47, 8
	v_mov_b32_e32 v49, 4
	v_mov_b32_e32 v33, v23
	v_mov_b32_e32 v26, v23
	v_mov_b32_e32 v27, v23
	v_mov_b32_e32 v2, v23
	v_mov_b32_e32 v3, v23
	v_mov_b32_e32 v0, v23
	v_mov_b32_e32 v1, v23
	v_mov_b32_e32 v6, v23
	v_mov_b32_e32 v7, v23
	v_mov_b32_e32 v4, v23
	v_mov_b32_e32 v5, v23
	v_mov_b32_e32 v10, v23
	v_mov_b32_e32 v11, v23
	v_mov_b32_e32 v8, v23
	v_mov_b32_e32 v9, v23
.LBB226_2:                              ; =>This Inner Loop Header: Depth=1
	global_load_dwordx4 v[16:19], v[28:29], off offset:-16
	global_load_dword v68, v[28:29], off offset:16
	global_load_dwordx4 v[12:15], v[28:29], off
	v_mov_b32_e32 v38, 0
	v_add_u32_e32 v37, s15, v25
	v_mov_b32_e32 v70, 0
	v_mov_b32_e32 v76, 0
	;; [unrolled: 1-line block ×6, first 2 shown]
	v_lshl_add_u64 v[28:29], v[28:29], 0, s[16:17]
	s_waitcnt vmcnt(2)
	v_dot4c_i32_i8_e32 v38, 0x1010101, v19
	v_cvt_f32_f16_e32 v44, v16
	s_waitcnt vmcnt(0)
	v_dot4c_i32_i8_e32 v38, 0x1010101, v12
	v_dot4c_i32_i8_e32 v36, 0x1010101, v17
	;; [unrolled: 1-line block ×3, first 2 shown]
	s_nop 0
	v_cvt_f32_i32_e32 v42, v38
	v_mov_b32_e32 v38, 0
	v_dot4c_i32_i8_e32 v38, 0x1010101, v13
	v_dot4c_i32_i8_e32 v38, 0x1010101, v14
	v_cvt_f32_i32_e32 v36, v36
	s_nop 1
	v_cvt_f32_i32_e32 v46, v38
	v_mov_b32_e32 v38, 0
	v_dot4c_i32_i8_e32 v38, 0x1010101, v15
	v_dot4c_i32_i8_e32 v38, 0x1010101, v68
	s_nop 2
	v_cvt_f32_i32_e32 v48, v38
	v_mad_i64_i32 v[38:39], s[22:23], v37, 56, s[20:21]
	v_lshl_add_u64 v[40:41], v[38:39], 0, v[30:31]
	global_load_dword v16, v[40:41], off
	v_lshl_add_u64 v[40:41], v[38:39], 0, v[22:23]
	global_load_ushort v40, v[40:41], off offset:32
	s_getpc_b64 s[22:23]
	s_add_u32 s22, s22, _ZL13iq1s_grid_gpu@rel32@lo+4
	s_addc_u32 s23, s23, _ZL13iq1s_grid_gpu@rel32@hi+12
	s_waitcnt vmcnt(1)
	v_and_b32_e32 v41, 0xff, v16
	v_lshrrev_b32_e32 v37, 24, v16
	s_waitcnt vmcnt(0)
	v_lshlrev_b32_e32 v50, 8, v40
	v_and_or_b32 v41, v50, s31, v41
	v_lshlrev_b32_e32 v41, 2, v41
	global_load_dword v41, v41, s[22:23]
	v_lshlrev_b32_e32 v50, 4, v40
	v_and_b32_e32 v69, 8, v40
	v_lshrrev_b32_e32 v71, 4, v40
	v_and_b32_sdwa v73, v40, v47 dst_sel:DWORD dst_unused:UNUSED_PAD src0_sel:BYTE_1 src1_sel:DWORD
	v_lshrrev_b32_sdwa v74, v49, v40 dst_sel:DWORD dst_unused:UNUSED_PAD src0_sel:DWORD src1_sel:BYTE_1
	s_waitcnt vmcnt(0)
	v_and_b32_e32 v52, 0xf0f0f0f, v41
	v_lshrrev_b32_e32 v41, 4, v41
	v_and_b32_e32 v53, 0xf0f0f0f, v41
	v_bfe_u32 v41, v16, 8, 8
	v_and_or_b32 v41, v50, s31, v41
	v_lshlrev_b32_e32 v41, 2, v41
	global_load_dword v41, v41, s[22:23]
	v_bfe_u32 v16, v16, 16, 8
	global_load_dwordx2 v[50:51], v[38:39], off offset:48
	v_lshl_add_u64 v[38:39], v[38:39], 0, v[32:33]
	global_load_ushort v75, v[38:39], off offset:48
	v_dot4c_i32_i8_e32 v70, v52, v17
	v_dot4c_i32_i8_e32 v70, v53, v18
	s_waitcnt vmcnt(2)
	v_and_b32_e32 v56, 0xf0f0f0f, v41
	v_lshrrev_b32_e32 v41, 4, v41
	v_and_b32_e32 v57, 0xf0f0f0f, v41
	v_lshlrev_b32_sdwa v41, v47, v40 dst_sel:DWORD dst_unused:UNUSED_PAD src0_sel:DWORD src1_sel:BYTE_1
	v_and_or_b32 v16, v41, s31, v16
	v_lshlrev_b32_e32 v16, 2, v16
	global_load_dword v16, v16, s[22:23]
	v_dot4c_i32_i8_e32 v70, v56, v19
	v_dot4c_i32_i8_e32 v70, v57, v12
	s_waitcnt vmcnt(0)
	v_and_b32_e32 v54, 0xf0f0f0f, v16
	v_lshrrev_b32_e32 v16, 4, v16
	v_and_b32_e32 v55, 0xf0f0f0f, v16
	v_lshlrev_b32_sdwa v16, v49, v40 dst_sel:DWORD dst_unused:UNUSED_PAD src0_sel:DWORD src1_sel:BYTE_1
	v_and_or_b32 v16, v16, s31, v37
	v_lshlrev_b32_e32 v16, 2, v16
	global_load_dword v16, v16, s[22:23]
	v_dot4c_i32_i8_e32 v72, v54, v13
	v_dot4c_i32_i8_e32 v72, v55, v14
	s_waitcnt vmcnt(0)
	v_and_b32_e32 v58, 0xf0f0f0f, v16
	v_lshrrev_b32_e32 v16, 4, v16
	v_and_b32_e32 v59, 0xf0f0f0f, v16
	v_add_u32_e32 v16, s8, v25
	v_mad_i64_i32 v[38:39], s[36:37], v16, 56, s[20:21]
	v_lshl_add_u64 v[40:41], v[38:39], 0, v[30:31]
	global_load_dword v16, v[40:41], off
	v_lshl_add_u64 v[40:41], v[38:39], 0, v[22:23]
	global_load_ushort v40, v[40:41], off offset:32
	v_dot4c_i32_i8_e32 v72, v58, v15
	v_dot4c_i32_i8_e32 v72, v59, v68
	v_add_u32_e32 v25, 8, v25
	v_cmp_le_u32_e32 vcc, s5, v25
	s_or_b64 s[12:13], vcc, s[12:13]
	s_waitcnt vmcnt(1)
	v_and_b32_e32 v41, 0xff, v16
	v_lshrrev_b32_e32 v37, 24, v16
	s_waitcnt vmcnt(0)
	v_lshlrev_b32_e32 v60, 8, v40
	v_and_or_b32 v41, v60, s31, v41
	v_lshlrev_b32_e32 v41, 2, v41
	global_load_dword v41, v41, s[22:23]
	v_lshlrev_b32_e32 v62, 4, v40
	v_lshrrev_b32_sdwa v78, v49, v40 dst_sel:DWORD dst_unused:UNUSED_PAD src0_sel:DWORD src1_sel:BYTE_1
	s_waitcnt vmcnt(0)
	v_and_b32_e32 v60, 0xf0f0f0f, v41
	v_lshrrev_b32_e32 v41, 4, v41
	v_and_b32_e32 v61, 0xf0f0f0f, v41
	v_bfe_u32 v41, v16, 8, 8
	v_and_or_b32 v41, v62, s31, v41
	v_lshlrev_b32_e32 v41, 2, v41
	global_load_dword v41, v41, s[22:23]
	v_dot4c_i32_i8_e32 v76, v60, v17
	v_dot4c_i32_i8_e32 v76, v61, v18
	v_and_b32_e32 v17, 8, v40
	v_lshrrev_b32_e32 v18, 4, v40
	s_waitcnt vmcnt(0)
	v_and_b32_e32 v64, 0xf0f0f0f, v41
	v_lshrrev_b32_e32 v41, 4, v41
	v_and_b32_e32 v65, 0xf0f0f0f, v41
	v_dot4c_i32_i8_e32 v76, v64, v19
	v_dot4c_i32_i8_e32 v76, v65, v12
	v_bfe_u32 v12, v16, 16, 8
	v_lshlrev_b32_sdwa v16, v47, v40 dst_sel:DWORD dst_unused:UNUSED_PAD src0_sel:DWORD src1_sel:BYTE_1
	v_and_or_b32 v12, v16, s31, v12
	v_lshlrev_b32_e32 v12, 2, v12
	global_load_dword v12, v12, s[22:23]
	v_and_b32_e32 v16, 8, v71
	v_and_b32_sdwa v19, v40, v47 dst_sel:DWORD dst_unused:UNUSED_PAD src0_sel:BYTE_1 src1_sel:DWORD
	v_cvt_f32_ubyte0_e32 v16, v16
	s_waitcnt vmcnt(0)
	v_and_b32_e32 v63, 0xf0f0f0f, v12
	v_lshrrev_b32_e32 v12, 4, v12
	v_and_b32_e32 v62, 0xf0f0f0f, v12
	v_lshlrev_b32_sdwa v12, v49, v40 dst_sel:DWORD dst_unused:UNUSED_PAD src0_sel:DWORD src1_sel:BYTE_1
	v_and_or_b32 v12, v12, s31, v37
	v_lshlrev_b32_e32 v12, 2, v12
	global_load_dword v12, v12, s[22:23]
	v_dot4c_i32_i8_e32 v77, v63, v13
	v_dot4c_i32_i8_e32 v77, v62, v14
	s_waitcnt vmcnt(0)
	v_and_b32_e32 v66, 0xf0f0f0f, v12
	v_lshrrev_b32_e32 v12, 4, v12
	v_and_b32_e32 v67, 0xf0f0f0f, v12
	global_load_dwordx2 v[12:13], v[38:39], off offset:48
	v_dot4c_i32_i8_e32 v77, v66, v15
	v_lshl_add_u64 v[14:15], v[38:39], 0, v[32:33]
	global_load_ushort v79, v[14:15], off offset:48
	v_cvt_f32_ubyte0_e32 v15, v17
	v_and_b32_e32 v17, 8, v18
	v_cvt_f32_ubyte0_e32 v14, v69
	v_cvt_f32_ubyte0_e32 v17, v17
	v_pk_fma_f32 v[40:41], v[14:15], s[2:3], v[34:35] op_sel_hi:[1,0,0] neg_lo:[1,0,0] neg_hi:[1,0,0]
	v_pk_fma_f32 v[38:39], v[16:17], s[2:3], v[34:35] op_sel_hi:[1,0,0] neg_lo:[1,0,0] neg_hi:[1,0,0]
	v_cvt_f32_ubyte0_e32 v17, v19
	v_cvt_f32_ubyte0_e32 v16, v73
	v_and_b32_e32 v18, 8, v74
	v_and_b32_e32 v19, 8, v78
	v_pk_fma_f32 v[14:15], v[40:41], v[36:37], 0 op_sel_hi:[1,0,0]
	v_pk_fma_f32 v[36:37], v[16:17], s[2:3], v[34:35] op_sel_hi:[1,0,0] neg_lo:[1,0,0] neg_hi:[1,0,0]
	v_cvt_f32_ubyte0_e32 v19, v19
	v_cvt_f32_ubyte0_e32 v18, v18
	v_pk_fma_f32 v[16:17], v[36:37], v[46:47], 0 op_sel_hi:[1,0,0]
	v_pk_fma_f32 v[18:19], v[18:19], s[2:3], v[34:35] op_sel_hi:[1,0,0] neg_lo:[1,0,0] neg_hi:[1,0,0]
	v_dot4c_i32_i8_e32 v77, v67, v68
	v_pk_fma_f32 v[68:69], v[18:19], v[48:49], v[16:17] op_sel_hi:[1,0,1]
	v_pk_fma_f32 v[14:15], v[38:39], v[42:43], v[14:15] op_sel_hi:[1,0,1]
	v_mov_b32_e32 v78, 0
	v_mov_b32_e32 v48, 0
	s_waitcnt vmcnt(1)
	v_perm_b32 v16, v12, v50, s11
	v_perm_b32 v12, v12, v50, s33
	v_pk_lshrrev_b16 v16, 12, v16 op_sel_hi:[0,1]
	v_pk_lshrrev_b16 v12, 8, v12 op_sel_hi:[0,1]
	v_and_or_b32 v12, v12, s34, v16
	v_perm_b32 v16, v13, v51, s11
	v_pk_lshrrev_b16 v16, 4, v16 op_sel_hi:[0,1]
	v_perm_b32 v13, v13, v51, s33
	v_and_b32_e32 v16, 0xf000f00, v16
	v_and_b32_e32 v13, 0xf000f000, v13
	v_or3_b32 v12, v12, v16, v13
	v_cvt_f32_f16_e32 v16, v12
	v_cvt_f32_f16_sdwa v17, v12 dst_sel:DWORD dst_unused:UNUSED_PAD src0_sel:WORD_1
	s_waitcnt vmcnt(0)
	v_perm_b32 v12, v79, v75, s11
	v_pk_lshrrev_b16 v12, v43, v12
	v_mov_b32_e32 v79, 0
	v_pk_lshlrev_b16 v13, 1, v12 op_sel_hi:[0,1]
	v_pk_lshrrev_b16 v12, 2, v12 op_sel_hi:[0,1]
	v_and_b32_e32 v12, 0xe000e, v12
	v_pk_mul_f32 v[50:51], v[44:45], v[16:17] op_sel_hi:[0,1]
	v_lshrrev_b32_e32 v42, 16, v13
	v_and_or_b32 v44, v13, 14, 1
	v_or_b32_e32 v46, 0x10001, v12
	v_cvt_f32_i32_e32 v13, v76
	v_cvt_f32_i32_e32 v12, v70
	v_and_or_b32 v42, v42, 14, 1
	v_pk_add_f32 v[70:71], v[14:15], v[12:13]
	v_cvt_f32_i32_e32 v15, v77
	v_cvt_f32_i32_e32 v14, v72
	v_cvt_f32_ubyte0_e32 v12, v44
	v_cvt_f32_ubyte0_e32 v13, v42
	v_add_u32_e32 v42, s9, v45
	v_pk_add_f32 v[68:69], v[68:69], v[14:15]
	v_cvt_f32_ubyte2_e32 v15, v46
	v_cvt_f32_ubyte0_e32 v14, v46
	v_pk_mul_f32 v[68:69], v[68:69], v[14:15]
	v_mov_b32_e32 v77, 0
	v_pk_fma_f32 v[68:69], v[70:71], v[12:13], v[68:69]
	v_mov_b32_e32 v44, 0
	v_pk_fma_f32 v[8:9], v[50:51], v[68:69], v[8:9]
	v_mad_u64_u32 v[50:51], s[22:23], v42, 36, s[24:25]
	v_mad_u64_u32 v[50:51], s[22:23], v24, 36, v[50:51]
	global_load_dwordx4 v[68:71], v[50:51], off
	global_load_dword v76, v[50:51], off offset:32
	global_load_dwordx4 v[72:75], v[50:51], off offset:16
	v_mov_b32_e32 v42, 0
	v_mov_b32_e32 v46, 0
	s_waitcnt vmcnt(2)
	v_dot4c_i32_i8_e32 v42, 0x1010101, v69
	v_dot4c_i32_i8_e32 v77, v52, v69
	v_dot4c_i32_i8_e32 v79, v60, v69
	v_dot4c_i32_i8_e32 v42, 0x1010101, v70
	v_dot4c_i32_i8_e32 v44, 0x1010101, v71
	v_dot4c_i32_i8_e32 v77, v53, v70
	v_dot4c_i32_i8_e32 v79, v61, v70
	v_cvt_f32_i32_e32 v42, v42
	s_waitcnt vmcnt(0)
	v_dot4c_i32_i8_e32 v44, 0x1010101, v72
	v_dot4c_i32_i8_e32 v77, v56, v71
	v_dot4c_i32_i8_e32 v79, v64, v71
	v_dot4c_i32_i8_e32 v77, v57, v72
	v_cvt_f32_i32_e32 v44, v44
	v_dot4c_i32_i8_e32 v79, v65, v72
	v_dot4c_i32_i8_e32 v46, 0x1010101, v73
	v_dot4c_i32_i8_e32 v78, v54, v73
	v_dot4c_i32_i8_e32 v80, v63, v73
	v_cvt_f32_i32_e32 v73, v79
	v_cvt_f32_i32_e32 v72, v77
	v_dot4c_i32_i8_e32 v46, 0x1010101, v74
	v_dot4c_i32_i8_e32 v48, 0x1010101, v75
	v_dot4c_i32_i8_e32 v78, v55, v74
	v_dot4c_i32_i8_e32 v80, v62, v74
	v_cvt_f32_i32_e32 v46, v46
	v_dot4c_i32_i8_e32 v48, 0x1010101, v76
	v_cvt_f32_f16_e32 v50, v68
	v_dot4c_i32_i8_e32 v78, v58, v75
	v_dot4c_i32_i8_e32 v80, v66, v75
	v_pk_fma_f32 v[68:69], v[40:41], v[42:43], 0 op_sel_hi:[1,0,0]
	v_cvt_f32_i32_e32 v48, v48
	v_dot4c_i32_i8_e32 v78, v59, v76
	v_dot4c_i32_i8_e32 v80, v67, v76
	v_pk_fma_f32 v[68:69], v[38:39], v[44:45], v[68:69] op_sel_hi:[1,0,1]
	v_pk_fma_f32 v[70:71], v[36:37], v[46:47], 0 op_sel_hi:[1,0,0]
	v_pk_add_f32 v[68:69], v[68:69], v[72:73]
	v_cvt_f32_i32_e32 v73, v80
	v_cvt_f32_i32_e32 v72, v78
	v_pk_fma_f32 v[70:71], v[18:19], v[48:49], v[70:71] op_sel_hi:[1,0,1]
	v_pk_mul_f32 v[50:51], v[50:51], v[16:17] op_sel_hi:[0,1]
	v_add_u32_e32 v42, s30, v45
	v_pk_add_f32 v[70:71], v[70:71], v[72:73]
	v_mov_b32_e32 v77, 0
	v_pk_mul_f32 v[70:71], v[70:71], v[14:15]
	v_mov_b32_e32 v79, 0
	v_pk_fma_f32 v[68:69], v[68:69], v[12:13], v[70:71]
	v_mov_b32_e32 v44, 0
	v_pk_fma_f32 v[10:11], v[50:51], v[68:69], v[10:11]
	v_mad_u64_u32 v[50:51], s[22:23], v42, 36, s[24:25]
	v_mad_u64_u32 v[50:51], s[22:23], v24, 36, v[50:51]
	global_load_dwordx4 v[68:71], v[50:51], off
	global_load_dword v76, v[50:51], off offset:32
	global_load_dwordx4 v[72:75], v[50:51], off offset:16
	v_mov_b32_e32 v42, 0
	v_mov_b32_e32 v46, 0
	v_mov_b32_e32 v78, 0
	v_mov_b32_e32 v80, 0
	v_mov_b32_e32 v48, 0
	s_waitcnt vmcnt(2)
	v_dot4c_i32_i8_e32 v42, 0x1010101, v69
	v_dot4c_i32_i8_e32 v77, v52, v69
	v_dot4c_i32_i8_e32 v79, v60, v69
	v_dot4c_i32_i8_e32 v42, 0x1010101, v70
	v_dot4c_i32_i8_e32 v44, 0x1010101, v71
	v_dot4c_i32_i8_e32 v77, v53, v70
	v_dot4c_i32_i8_e32 v79, v61, v70
	v_cvt_f32_i32_e32 v42, v42
	s_waitcnt vmcnt(0)
	v_dot4c_i32_i8_e32 v44, 0x1010101, v72
	v_dot4c_i32_i8_e32 v77, v56, v71
	v_dot4c_i32_i8_e32 v79, v64, v71
	v_dot4c_i32_i8_e32 v77, v57, v72
	v_cvt_f32_i32_e32 v44, v44
	v_dot4c_i32_i8_e32 v79, v65, v72
	v_dot4c_i32_i8_e32 v46, 0x1010101, v73
	v_dot4c_i32_i8_e32 v78, v54, v73
	v_dot4c_i32_i8_e32 v80, v63, v73
	v_cvt_f32_i32_e32 v73, v79
	v_cvt_f32_i32_e32 v72, v77
	v_dot4c_i32_i8_e32 v46, 0x1010101, v74
	v_dot4c_i32_i8_e32 v48, 0x1010101, v75
	v_dot4c_i32_i8_e32 v78, v55, v74
	v_dot4c_i32_i8_e32 v80, v62, v74
	v_cvt_f32_i32_e32 v46, v46
	v_dot4c_i32_i8_e32 v48, 0x1010101, v76
	v_cvt_f32_f16_e32 v50, v68
	v_dot4c_i32_i8_e32 v78, v58, v75
	v_dot4c_i32_i8_e32 v80, v66, v75
	v_pk_fma_f32 v[68:69], v[40:41], v[42:43], 0 op_sel_hi:[1,0,0]
	v_cvt_f32_i32_e32 v48, v48
	v_dot4c_i32_i8_e32 v78, v59, v76
	v_dot4c_i32_i8_e32 v80, v67, v76
	v_pk_fma_f32 v[68:69], v[38:39], v[44:45], v[68:69] op_sel_hi:[1,0,1]
	v_pk_fma_f32 v[70:71], v[36:37], v[46:47], 0 op_sel_hi:[1,0,0]
	v_pk_add_f32 v[68:69], v[68:69], v[72:73]
	v_cvt_f32_i32_e32 v73, v80
	v_cvt_f32_i32_e32 v72, v78
	v_pk_fma_f32 v[70:71], v[18:19], v[48:49], v[70:71] op_sel_hi:[1,0,1]
	v_pk_mul_f32 v[50:51], v[50:51], v[16:17] op_sel_hi:[0,1]
	v_add_u32_e32 v42, s29, v45
	v_pk_add_f32 v[70:71], v[70:71], v[72:73]
	v_mov_b32_e32 v77, 0
	v_pk_mul_f32 v[70:71], v[70:71], v[14:15]
	v_mov_b32_e32 v79, 0
	v_pk_fma_f32 v[68:69], v[68:69], v[12:13], v[70:71]
	v_mov_b32_e32 v44, 0
	v_pk_fma_f32 v[4:5], v[50:51], v[68:69], v[4:5]
	v_mad_u64_u32 v[50:51], s[22:23], v42, 36, s[24:25]
	v_mad_u64_u32 v[50:51], s[22:23], v24, 36, v[50:51]
	global_load_dwordx4 v[68:71], v[50:51], off
	global_load_dword v76, v[50:51], off offset:32
	global_load_dwordx4 v[72:75], v[50:51], off offset:16
	v_mov_b32_e32 v42, 0
	v_mov_b32_e32 v46, 0
	v_mov_b32_e32 v78, 0
	;; [unrolled: 59-line block ×4, first 2 shown]
	v_mov_b32_e32 v80, 0
	v_mov_b32_e32 v48, 0
	s_waitcnt vmcnt(2)
	v_dot4c_i32_i8_e32 v42, 0x1010101, v69
	v_dot4c_i32_i8_e32 v77, v52, v69
	;; [unrolled: 1-line block ×7, first 2 shown]
	v_cvt_f32_i32_e32 v42, v42
	s_waitcnt vmcnt(0)
	v_dot4c_i32_i8_e32 v44, 0x1010101, v72
	v_dot4c_i32_i8_e32 v77, v56, v71
	;; [unrolled: 1-line block ×4, first 2 shown]
	v_cvt_f32_i32_e32 v44, v44
	v_dot4c_i32_i8_e32 v79, v65, v72
	v_dot4c_i32_i8_e32 v46, 0x1010101, v73
	;; [unrolled: 1-line block ×4, first 2 shown]
	v_cvt_f32_i32_e32 v73, v79
	v_cvt_f32_i32_e32 v72, v77
	v_dot4c_i32_i8_e32 v46, 0x1010101, v74
	v_dot4c_i32_i8_e32 v48, 0x1010101, v75
	;; [unrolled: 1-line block ×4, first 2 shown]
	v_cvt_f32_i32_e32 v46, v46
	v_dot4c_i32_i8_e32 v48, 0x1010101, v76
	v_cvt_f32_f16_e32 v50, v68
	v_dot4c_i32_i8_e32 v78, v58, v75
	v_dot4c_i32_i8_e32 v80, v66, v75
	v_pk_fma_f32 v[68:69], v[40:41], v[42:43], 0 op_sel_hi:[1,0,0]
	v_cvt_f32_i32_e32 v48, v48
	v_dot4c_i32_i8_e32 v78, v59, v76
	v_dot4c_i32_i8_e32 v80, v67, v76
	v_pk_fma_f32 v[68:69], v[38:39], v[44:45], v[68:69] op_sel_hi:[1,0,1]
	v_pk_fma_f32 v[70:71], v[36:37], v[46:47], 0 op_sel_hi:[1,0,0]
	v_pk_add_f32 v[68:69], v[68:69], v[72:73]
	v_cvt_f32_i32_e32 v73, v80
	v_cvt_f32_i32_e32 v72, v78
	v_pk_fma_f32 v[70:71], v[18:19], v[48:49], v[70:71] op_sel_hi:[1,0,1]
	v_pk_mul_f32 v[50:51], v[50:51], v[16:17] op_sel_hi:[0,1]
	v_add_u32_e32 v42, s26, v45
	v_pk_add_f32 v[70:71], v[70:71], v[72:73]
	s_nop 0
	v_pk_mul_f32 v[70:71], v[70:71], v[14:15]
	s_nop 0
	v_pk_fma_f32 v[68:69], v[68:69], v[12:13], v[70:71]
	s_nop 0
	v_pk_fma_f32 v[2:3], v[50:51], v[68:69], v[2:3]
	v_mad_u64_u32 v[50:51], s[22:23], v42, 36, s[24:25]
	v_mad_u64_u32 v[50:51], s[22:23], v24, 36, v[50:51]
	global_load_dwordx4 v[68:71], v[50:51], off
	global_load_dword v76, v[50:51], off offset:32
	global_load_dwordx4 v[72:75], v[50:51], off offset:16
	v_mov_b32_e32 v42, 0
	v_mov_b32_e32 v51, 0
	s_waitcnt vmcnt(2)
	v_dot4c_i32_i8_e32 v42, 0x1010101, v69
	v_dot4c_i32_i8_e32 v42, 0x1010101, v70
	;; [unrolled: 1-line block ×4, first 2 shown]
	v_mov_b32_e32 v53, 0
	v_cvt_f32_i32_e32 v50, v42
	v_mov_b32_e32 v42, 0
	v_dot4c_i32_i8_e32 v42, 0x1010101, v71
	s_waitcnt vmcnt(0)
	v_dot4c_i32_i8_e32 v42, 0x1010101, v72
	v_dot4c_i32_i8_e32 v53, v60, v69
	;; [unrolled: 1-line block ×4, first 2 shown]
	v_cvt_f32_i32_e32 v48, v42
	v_mov_b32_e32 v42, 0
	v_dot4c_i32_i8_e32 v42, 0x1010101, v73
	v_dot4c_i32_i8_e32 v42, 0x1010101, v74
	v_mov_b32_e32 v52, 0
	v_dot4c_i32_i8_e32 v53, v64, v71
	v_dot4c_i32_i8_e32 v51, v57, v72
	v_cvt_f32_i32_e32 v46, v42
	v_mov_b32_e32 v42, 0
	v_dot4c_i32_i8_e32 v42, 0x1010101, v75
	v_dot4c_i32_i8_e32 v42, 0x1010101, v76
	;; [unrolled: 1-line block ×4, first 2 shown]
	v_mov_b32_e32 v54, 0
	v_cvt_f32_i32_e32 v44, v42
	v_pk_fma_f32 v[36:37], v[36:37], v[46:47], 0 op_sel_hi:[1,0,0]
	v_dot4c_i32_i8_e32 v54, v63, v73
	v_dot4c_i32_i8_e32 v52, v55, v74
	v_pk_fma_f32 v[18:19], v[18:19], v[44:45], v[36:37] op_sel_hi:[1,0,1]
	v_cvt_f32_i32_e32 v37, v53
	v_cvt_f32_i32_e32 v36, v51
	v_dot4c_i32_i8_e32 v54, v62, v74
	v_dot4c_i32_i8_e32 v52, v58, v75
	;; [unrolled: 1-line block ×3, first 2 shown]
	v_pk_fma_f32 v[40:41], v[40:41], v[50:51], 0 op_sel_hi:[1,0,0]
	v_dot4c_i32_i8_e32 v52, v59, v76
	v_dot4c_i32_i8_e32 v54, v67, v76
	v_pk_fma_f32 v[38:39], v[38:39], v[48:49], v[40:41] op_sel_hi:[1,0,1]
	v_cvt_f32_f16_e32 v42, v68
	v_pk_add_f32 v[36:37], v[38:39], v[36:37]
	v_cvt_f32_i32_e32 v39, v54
	v_cvt_f32_i32_e32 v38, v52
	v_pk_mul_f32 v[16:17], v[42:43], v[16:17] op_sel_hi:[0,1]
	v_add_u32_e32 v45, 64, v45
	v_pk_add_f32 v[18:19], v[18:19], v[38:39]
	s_nop 0
	v_pk_mul_f32 v[14:15], v[18:19], v[14:15]
	s_nop 0
	v_pk_fma_f32 v[12:13], v[36:37], v[12:13], v[14:15]
	s_nop 0
	v_pk_fma_f32 v[26:27], v[16:17], v[12:13], v[26:27]
	s_andn2_b64 exec, exec, s[12:13]
	s_cbranch_execnz .LBB226_2
; %bb.3:
	s_or_b64 exec, exec, s[12:13]
	scratch_store_dwordx4 off, v[8:11], off
	scratch_store_dwordx4 off, v[4:7], off offset:16
	scratch_store_dwordx4 off, v[0:3], off offset:32
	scratch_store_dwordx2 off, v[26:27], off offset:48
.LBB226_4:
	s_or_b64 exec, exec, s[6:7]
	s_mov_b32 s5, 0
	v_cmp_eq_u32_e32 vcc, 0, v21
	s_waitcnt lgkmcnt(0)
	; wave barrier
	s_and_saveexec_b64 s[6:7], vcc
	s_cbranch_execz .LBB226_19
; %bb.5:
	scratch_load_dwordx2 v[2:3], off, off
	v_mbcnt_lo_u32_b32 v0, -1, 0
	v_mbcnt_hi_u32_b32 v12, -1, v0
	s_load_dwordx2 s[6:7], s[0:1], 0x38
	s_mul_i32 s0, s3, s14
	v_or_b32_e32 v1, s19, v20
	v_and_b32_e32 v0, 64, v12
	s_mul_i32 s4, s4, s18
	s_add_i32 s2, s0, s19
	v_cmp_gt_u32_e64 s[0:1], s10, v1
	v_xor_b32_e32 v1, 32, v12
	v_add_u32_e32 v13, 64, v0
	s_add_i32 s4, s2, s4
	v_cmp_lt_i32_e64 s[2:3], v1, v13
	v_cmp_gt_u32_e32 vcc, 2, v20
	s_nop 0
	v_cndmask_b32_e64 v0, v12, v1, s[2:3]
	v_lshlrev_b32_e32 v0, 2, v0
	v_xor_b32_e32 v1, 16, v12
	v_cmp_lt_i32_e64 s[2:3], v1, v13
	s_waitcnt vmcnt(0)
	ds_bpermute_b32 v4, v0, v2
	ds_bpermute_b32 v5, v0, v3
	v_cndmask_b32_e64 v1, v12, v1, s[2:3]
	v_lshlrev_b32_e32 v1, 2, v1
	s_waitcnt lgkmcnt(0)
	v_pk_add_f32 v[4:5], v[2:3], v[4:5]
	ds_bpermute_b32 v6, v1, v4
	ds_bpermute_b32 v7, v1, v5
	v_xor_b32_e32 v2, 8, v12
	v_cmp_lt_i32_e64 s[2:3], v2, v13
	v_xor_b32_e32 v3, 4, v12
	s_waitcnt lgkmcnt(0)
	v_pk_add_f32 v[4:5], v[4:5], v[6:7]
	v_cndmask_b32_e64 v2, v12, v2, s[2:3]
	v_lshlrev_b32_e32 v2, 2, v2
	ds_bpermute_b32 v6, v2, v4
	ds_bpermute_b32 v7, v2, v5
	v_cmp_lt_i32_e64 s[2:3], v3, v13
	s_waitcnt lgkmcnt(0)
	v_pk_add_f32 v[6:7], v[4:5], v[6:7]
	v_cndmask_b32_e64 v3, v12, v3, s[2:3]
	v_lshlrev_b32_e32 v3, 2, v3
	ds_bpermute_b32 v8, v3, v6
	ds_bpermute_b32 v9, v3, v7
	v_xor_b32_e32 v4, 2, v12
	v_cmp_lt_i32_e64 s[2:3], v4, v13
	v_xor_b32_e32 v5, 1, v12
	s_waitcnt lgkmcnt(0)
	v_pk_add_f32 v[8:9], v[6:7], v[8:9]
	v_cndmask_b32_e64 v4, v12, v4, s[2:3]
	v_lshlrev_b32_e32 v4, 2, v4
	ds_bpermute_b32 v10, v4, v8
	ds_bpermute_b32 v11, v4, v9
	v_cmp_lt_i32_e64 s[2:3], v5, v13
	s_waitcnt lgkmcnt(0)
	v_pk_add_f32 v[8:9], v[8:9], v[10:11]
	v_cndmask_b32_e64 v5, v12, v5, s[2:3]
	v_lshlrev_b32_e32 v6, 2, v5
	ds_bpermute_b32 v10, v6, v8
	ds_bpermute_b32 v11, v6, v9
	s_lshl_b64 s[2:3], s[4:5], 2
	s_add_u32 s2, s6, s2
	s_addc_u32 s3, s7, s3
	s_and_b64 s[0:1], vcc, s[0:1]
	s_waitcnt lgkmcnt(0)
	v_pk_add_f32 v[8:9], v[8:9], v[10:11]
	v_lshlrev_b32_e32 v5, 2, v20
	scratch_store_dwordx2 off, v[8:9], off
	s_and_saveexec_b64 s[4:5], s[0:1]
	s_cbranch_execz .LBB226_7
; %bb.6:
	scratch_load_dword v7, v5, off
	s_waitcnt vmcnt(0)
	global_store_dword v5, v7, s[2:3]
.LBB226_7:
	s_or_b64 exec, exec, s[4:5]
	scratch_load_dwordx2 v[8:9], off, off offset:8
	s_waitcnt vmcnt(0)
	ds_bpermute_b32 v10, v0, v8
	ds_bpermute_b32 v11, v0, v9
	s_waitcnt lgkmcnt(0)
	v_pk_add_f32 v[8:9], v[8:9], v[10:11]
	ds_bpermute_b32 v10, v1, v8
	ds_bpermute_b32 v11, v1, v9
	s_waitcnt lgkmcnt(0)
	v_pk_add_f32 v[8:9], v[8:9], v[10:11]
	;; [unrolled: 4-line block ×6, first 2 shown]
	scratch_store_dwordx2 off, v[8:9], off offset:8
	s_and_saveexec_b64 s[4:5], s[0:1]
	s_cbranch_execz .LBB226_9
; %bb.8:
	scratch_load_dword v7, v5, off offset:8
	v_add_u32_e32 v8, s10, v20
	v_mov_b32_e32 v9, 0
	v_lshl_add_u64 v[8:9], v[8:9], 2, s[2:3]
	s_waitcnt vmcnt(0)
	global_store_dword v[8:9], v7, off
.LBB226_9:
	s_or_b64 exec, exec, s[4:5]
	scratch_load_dwordx2 v[8:9], off, off offset:16
	s_waitcnt vmcnt(0)
	ds_bpermute_b32 v10, v0, v8
	ds_bpermute_b32 v11, v0, v9
	s_waitcnt lgkmcnt(0)
	v_pk_add_f32 v[8:9], v[8:9], v[10:11]
	ds_bpermute_b32 v10, v1, v8
	ds_bpermute_b32 v11, v1, v9
	s_waitcnt lgkmcnt(0)
	v_pk_add_f32 v[8:9], v[8:9], v[10:11]
	;; [unrolled: 4-line block ×6, first 2 shown]
	scratch_store_dwordx2 off, v[8:9], off offset:16
	s_and_saveexec_b64 s[4:5], s[0:1]
	s_cbranch_execz .LBB226_11
; %bb.10:
	scratch_load_dword v7, v5, off offset:16
	v_lshl_or_b32 v8, s10, 1, v20
	v_mov_b32_e32 v9, 0
	v_lshl_add_u64 v[8:9], v[8:9], 2, s[2:3]
	s_waitcnt vmcnt(0)
	global_store_dword v[8:9], v7, off
.LBB226_11:
	s_or_b64 exec, exec, s[4:5]
	scratch_load_dwordx2 v[8:9], off, off offset:24
	s_waitcnt vmcnt(0)
	ds_bpermute_b32 v10, v0, v8
	ds_bpermute_b32 v11, v0, v9
	s_waitcnt lgkmcnt(0)
	v_pk_add_f32 v[8:9], v[8:9], v[10:11]
	ds_bpermute_b32 v10, v1, v8
	ds_bpermute_b32 v11, v1, v9
	s_waitcnt lgkmcnt(0)
	v_pk_add_f32 v[8:9], v[8:9], v[10:11]
	;; [unrolled: 4-line block ×6, first 2 shown]
	scratch_store_dwordx2 off, v[8:9], off offset:24
	s_and_saveexec_b64 s[4:5], s[0:1]
	s_cbranch_execz .LBB226_13
; %bb.12:
	scratch_load_dword v7, v5, off offset:24
	v_mad_u64_u32 v[8:9], s[6:7], s10, 3, v[20:21]
	v_mov_b32_e32 v9, 0
	v_lshl_add_u64 v[8:9], v[8:9], 2, s[2:3]
	s_waitcnt vmcnt(0)
	global_store_dword v[8:9], v7, off
.LBB226_13:
	s_or_b64 exec, exec, s[4:5]
	scratch_load_dwordx2 v[8:9], off, off offset:32
	s_waitcnt vmcnt(0)
	ds_bpermute_b32 v10, v0, v8
	ds_bpermute_b32 v11, v0, v9
	s_waitcnt lgkmcnt(0)
	v_pk_add_f32 v[8:9], v[8:9], v[10:11]
	ds_bpermute_b32 v10, v1, v8
	ds_bpermute_b32 v11, v1, v9
	s_waitcnt lgkmcnt(0)
	v_pk_add_f32 v[8:9], v[8:9], v[10:11]
	ds_bpermute_b32 v10, v2, v8
	ds_bpermute_b32 v11, v2, v9
	s_waitcnt lgkmcnt(0)
	v_pk_add_f32 v[8:9], v[8:9], v[10:11]
	ds_bpermute_b32 v10, v3, v8
	ds_bpermute_b32 v11, v3, v9
	s_waitcnt lgkmcnt(0)
	v_pk_add_f32 v[8:9], v[8:9], v[10:11]
	ds_bpermute_b32 v10, v4, v8
	ds_bpermute_b32 v11, v4, v9
	s_waitcnt lgkmcnt(0)
	v_pk_add_f32 v[8:9], v[8:9], v[10:11]
	ds_bpermute_b32 v10, v6, v8
	ds_bpermute_b32 v11, v6, v9
	s_waitcnt lgkmcnt(0)
	v_pk_add_f32 v[8:9], v[8:9], v[10:11]
	scratch_store_dwordx2 off, v[8:9], off offset:32
	s_and_saveexec_b64 s[4:5], s[0:1]
	s_cbranch_execz .LBB226_15
; %bb.14:
	scratch_load_dword v7, v5, off offset:32
	v_lshl_or_b32 v8, s10, 2, v20
	v_mov_b32_e32 v9, 0
	v_lshl_add_u64 v[8:9], v[8:9], 2, s[2:3]
	s_waitcnt vmcnt(0)
	global_store_dword v[8:9], v7, off
.LBB226_15:
	s_or_b64 exec, exec, s[4:5]
	scratch_load_dwordx2 v[8:9], off, off offset:40
	s_waitcnt vmcnt(0)
	ds_bpermute_b32 v10, v0, v8
	ds_bpermute_b32 v11, v0, v9
	s_waitcnt lgkmcnt(0)
	v_pk_add_f32 v[8:9], v[8:9], v[10:11]
	ds_bpermute_b32 v10, v1, v8
	ds_bpermute_b32 v11, v1, v9
	s_waitcnt lgkmcnt(0)
	v_pk_add_f32 v[8:9], v[8:9], v[10:11]
	;; [unrolled: 4-line block ×6, first 2 shown]
	scratch_store_dwordx2 off, v[8:9], off offset:40
	s_and_saveexec_b64 s[4:5], s[0:1]
	s_cbranch_execz .LBB226_17
; %bb.16:
	scratch_load_dword v7, v5, off offset:40
	v_mad_u64_u32 v[8:9], s[6:7], s10, 5, v[20:21]
	v_mov_b32_e32 v9, 0
	v_lshl_add_u64 v[8:9], v[8:9], 2, s[2:3]
	s_waitcnt vmcnt(0)
	global_store_dword v[8:9], v7, off
.LBB226_17:
	s_or_b64 exec, exec, s[4:5]
	scratch_load_dwordx2 v[8:9], off, off offset:48
	s_waitcnt vmcnt(0)
	ds_bpermute_b32 v10, v0, v8
	ds_bpermute_b32 v11, v0, v9
	s_waitcnt lgkmcnt(0)
	v_pk_add_f32 v[8:9], v[8:9], v[10:11]
	ds_bpermute_b32 v0, v1, v8
	ds_bpermute_b32 v1, v1, v9
	s_waitcnt lgkmcnt(0)
	v_pk_add_f32 v[0:1], v[8:9], v[0:1]
	;; [unrolled: 4-line block ×6, first 2 shown]
	scratch_store_dwordx2 off, v[0:1], off offset:48
	s_and_b64 exec, exec, s[0:1]
	s_cbranch_execz .LBB226_19
; %bb.18:
	scratch_load_dword v2, v5, off offset:48
	s_mul_i32 s0, s10, 6
	v_or_b32_e32 v0, s0, v20
	v_mov_b32_e32 v1, 0
	v_lshl_add_u64 v[0:1], v[0:1], 2, s[2:3]
	s_waitcnt vmcnt(0)
	global_store_dword v[0:1], v2, off
.LBB226_19:
	s_endpgm
	.section	.rodata,"a",@progbits
	.p2align	6, 0x0
	.amdhsa_kernel _ZL13mul_mat_vec_qIL9ggml_type29ELi7ELb0ELb0EEvPKvS2_PKi31ggml_cuda_mm_fusion_args_devicePfj15HIP_vector_typeIjLj3EEjjjS8_jjjS8_jjjj
		.amdhsa_group_segment_fixed_size 0
		.amdhsa_private_segment_fixed_size 64
		.amdhsa_kernarg_size 144
		.amdhsa_user_sgpr_count 2
		.amdhsa_user_sgpr_dispatch_ptr 0
		.amdhsa_user_sgpr_queue_ptr 0
		.amdhsa_user_sgpr_kernarg_segment_ptr 1
		.amdhsa_user_sgpr_dispatch_id 0
		.amdhsa_user_sgpr_kernarg_preload_length 0
		.amdhsa_user_sgpr_kernarg_preload_offset 0
		.amdhsa_user_sgpr_private_segment_size 0
		.amdhsa_uses_dynamic_stack 0
		.amdhsa_enable_private_segment 1
		.amdhsa_system_sgpr_workgroup_id_x 1
		.amdhsa_system_sgpr_workgroup_id_y 1
		.amdhsa_system_sgpr_workgroup_id_z 1
		.amdhsa_system_sgpr_workgroup_info 0
		.amdhsa_system_vgpr_workitem_id 1
		.amdhsa_next_free_vgpr 81
		.amdhsa_next_free_sgpr 38
		.amdhsa_accum_offset 84
		.amdhsa_reserve_vcc 1
		.amdhsa_float_round_mode_32 0
		.amdhsa_float_round_mode_16_64 0
		.amdhsa_float_denorm_mode_32 3
		.amdhsa_float_denorm_mode_16_64 3
		.amdhsa_dx10_clamp 1
		.amdhsa_ieee_mode 1
		.amdhsa_fp16_overflow 0
		.amdhsa_tg_split 0
		.amdhsa_exception_fp_ieee_invalid_op 0
		.amdhsa_exception_fp_denorm_src 0
		.amdhsa_exception_fp_ieee_div_zero 0
		.amdhsa_exception_fp_ieee_overflow 0
		.amdhsa_exception_fp_ieee_underflow 0
		.amdhsa_exception_fp_ieee_inexact 0
		.amdhsa_exception_int_div_zero 0
	.end_amdhsa_kernel
	.section	.text._ZL13mul_mat_vec_qIL9ggml_type29ELi7ELb0ELb0EEvPKvS2_PKi31ggml_cuda_mm_fusion_args_devicePfj15HIP_vector_typeIjLj3EEjjjS8_jjjS8_jjjj,"axG",@progbits,_ZL13mul_mat_vec_qIL9ggml_type29ELi7ELb0ELb0EEvPKvS2_PKi31ggml_cuda_mm_fusion_args_devicePfj15HIP_vector_typeIjLj3EEjjjS8_jjjS8_jjjj,comdat
.Lfunc_end226:
	.size	_ZL13mul_mat_vec_qIL9ggml_type29ELi7ELb0ELb0EEvPKvS2_PKi31ggml_cuda_mm_fusion_args_devicePfj15HIP_vector_typeIjLj3EEjjjS8_jjjS8_jjjj, .Lfunc_end226-_ZL13mul_mat_vec_qIL9ggml_type29ELi7ELb0ELb0EEvPKvS2_PKi31ggml_cuda_mm_fusion_args_devicePfj15HIP_vector_typeIjLj3EEjjjS8_jjjS8_jjjj
                                        ; -- End function
	.section	.AMDGPU.csdata,"",@progbits
; Kernel info:
; codeLenInByte = 5776
; NumSgprs: 44
; NumVgprs: 81
; NumAgprs: 0
; TotalNumVgprs: 81
; ScratchSize: 64
; MemoryBound: 0
; FloatMode: 240
; IeeeMode: 1
; LDSByteSize: 0 bytes/workgroup (compile time only)
; SGPRBlocks: 5
; VGPRBlocks: 10
; NumSGPRsForWavesPerEU: 44
; NumVGPRsForWavesPerEU: 81
; AccumOffset: 84
; Occupancy: 5
; WaveLimiterHint : 0
; COMPUTE_PGM_RSRC2:SCRATCH_EN: 1
; COMPUTE_PGM_RSRC2:USER_SGPR: 2
; COMPUTE_PGM_RSRC2:TRAP_HANDLER: 0
; COMPUTE_PGM_RSRC2:TGID_X_EN: 1
; COMPUTE_PGM_RSRC2:TGID_Y_EN: 1
; COMPUTE_PGM_RSRC2:TGID_Z_EN: 1
; COMPUTE_PGM_RSRC2:TIDIG_COMP_CNT: 1
; COMPUTE_PGM_RSRC3_GFX90A:ACCUM_OFFSET: 20
; COMPUTE_PGM_RSRC3_GFX90A:TG_SPLIT: 0
	.section	.text._ZL13mul_mat_vec_qIL9ggml_type29ELi8ELb0ELb0EEvPKvS2_PKi31ggml_cuda_mm_fusion_args_devicePfj15HIP_vector_typeIjLj3EEjjjS8_jjjS8_jjjj,"axG",@progbits,_ZL13mul_mat_vec_qIL9ggml_type29ELi8ELb0ELb0EEvPKvS2_PKi31ggml_cuda_mm_fusion_args_devicePfj15HIP_vector_typeIjLj3EEjjjS8_jjjS8_jjjj,comdat
	.globl	_ZL13mul_mat_vec_qIL9ggml_type29ELi8ELb0ELb0EEvPKvS2_PKi31ggml_cuda_mm_fusion_args_devicePfj15HIP_vector_typeIjLj3EEjjjS8_jjjS8_jjjj ; -- Begin function _ZL13mul_mat_vec_qIL9ggml_type29ELi8ELb0ELb0EEvPKvS2_PKi31ggml_cuda_mm_fusion_args_devicePfj15HIP_vector_typeIjLj3EEjjjS8_jjjS8_jjjj
	.p2align	8
	.type	_ZL13mul_mat_vec_qIL9ggml_type29ELi8ELb0ELb0EEvPKvS2_PKi31ggml_cuda_mm_fusion_args_devicePfj15HIP_vector_typeIjLj3EEjjjS8_jjjS8_jjjj,@function
_ZL13mul_mat_vec_qIL9ggml_type29ELi8ELb0ELb0EEvPKvS2_PKi31ggml_cuda_mm_fusion_args_devicePfj15HIP_vector_typeIjLj3EEjjjS8_jjjS8_jjjj: ; @_ZL13mul_mat_vec_qIL9ggml_type29ELi8ELb0ELb0EEvPKvS2_PKi31ggml_cuda_mm_fusion_args_devicePfj15HIP_vector_typeIjLj3EEjjjS8_jjjS8_jjjj
; %bb.0:
	v_bfe_u32 v13, v0, 10, 10
	v_and_b32_e32 v12, 0x3ff, v0
	s_mov_b32 s20, 0
	s_load_dword s5, s[0:1], 0x40
	s_load_dwordx4 s[8:11], s[0:1], 0x50
	s_load_dword s27, s[0:1], 0x60
	s_load_dwordx4 s[12:15], s[0:1], 0x68
	;; [unrolled: 2-line block ×3, first 2 shown]
	v_lshl_or_b32 v4, v13, 6, v12
	s_mov_b32 s21, s20
	s_waitcnt lgkmcnt(0)
	s_lshr_b32 s5, s5, 8
	s_mov_b32 s22, s20
	s_mov_b32 s23, s20
	v_mov_b64_e32 v[0:1], s[20:21]
	v_lshrrev_b32_e32 v15, 3, v4
	s_lshl_b32 s19, s2, 1
	v_mov_b64_e32 v[2:3], s[22:23]
	v_cmp_gt_u32_e32 vcc, s5, v15
	scratch_store_dwordx4 off, v[0:3], off offset:48
	scratch_store_dwordx4 off, v[0:3], off offset:32
	;; [unrolled: 1-line block ×3, first 2 shown]
	scratch_store_dwordx4 off, v[0:3], off
	s_and_saveexec_b64 s[6:7], vcc
	s_cbranch_execz .LBB227_3
; %bb.1:
	s_load_dwordx4 s[20:23], s[0:1], 0x0
	s_mul_i32 s2, s4, s17
	s_mul_i32 s24, s2, 36
	;; [unrolled: 1-line block ×3, first 2 shown]
	s_mul_hi_u32 s17, s2, 36
	s_waitcnt lgkmcnt(0)
	s_add_u32 s24, s22, s24
	s_addc_u32 s17, s23, s17
	s_mul_i32 s30, s13, 36
	s_mul_hi_u32 s31, s13, 36
	s_add_u32 s24, s24, s30
	s_mul_hi_u32 s11, s11, s3
	s_addc_u32 s25, s17, s31
	s_add_i32 s11, s3, s11
	s_lshr_b32 s11, s11, s27
	s_mul_i32 s12, s11, s12
	s_mul_hi_u32 s11, s15, s4
	s_add_i32 s11, s4, s11
	s_lshr_b32 s11, s11, s26
	v_and_b32_e32 v1, 1, v12
	s_mul_i32 s13, s11, s16
	v_cmp_eq_u32_e32 vcc, 1, v1
	s_mov_b32 s11, 0x5040100
	s_add_i32 s12, s13, s12
	v_cndmask_b32_e64 v1, 0, 6, vcc
	s_add_i32 s13, s19, 1
	s_mul_i32 s15, s19, s8
	v_perm_b32 v47, v1, v1, s11
	s_mul_i32 s8, s8, s13
	v_lshl_add_u32 v1, v13, 6, v12
	s_add_i32 s15, s12, s15
	s_add_i32 s8, s12, s8
	v_lshrrev_b32_e32 v1, 3, v1
	s_movk_i32 s12, 0x120
	v_mov_b64_e32 v[2:3], s[30:31]
	v_mad_u64_u32 v[2:3], s[12:13], v1, s12, v[2:3]
	v_and_b32_e32 v14, 7, v12
	v_mad_u64_u32 v[2:3], s[12:13], s2, 36, v[2:3]
	v_mad_u64_u32 v[2:3], s[12:13], v14, 36, v[2:3]
	v_mov_b32_e32 v17, 0
	v_bfe_u32 v0, v12, 1, 2
	v_lshl_add_u64 v[2:3], v[2:3], 0, s[22:23]
	s_mov_b32 s16, 0xbf600000
	v_lshlrev_b32_e32 v16, 1, v14
	v_lshlrev_b32_e32 v49, 3, v15
	s_mul_i32 s26, s9, 7
	s_mul_i32 s27, s9, 6
	;; [unrolled: 1-line block ×3, first 2 shown]
	s_lshl_b32 s29, s9, 2
	v_lshl_add_u64 v[18:19], v[2:3], 0, 16
	s_lshl_b32 s30, s9, 1
	s_mul_i32 s31, s9, 3
	s_mov_b64 s[12:13], 0
	v_lshlrev_b32_e32 v20, 2, v14
	s_movk_i32 s33, 0x700
	v_lshlrev_b32_e32 v22, 1, v0
	s_mov_b32 s2, 0x3d000000
	v_mov_b64_e32 v[24:25], s[16:17]
	s_mov_b32 s34, 0x7060302
	s_mov_b32 s35, 0xf000f0
	s_mov_b64 s[16:17], 0x900
	v_mov_b32_e32 v21, v17
	v_mov_b32_e32 v51, 8
	;; [unrolled: 1-line block ×4, first 2 shown]
.LBB227_2:                              ; =>This Inner Loop Header: Depth=1
	global_load_dwordx4 v[4:7], v[18:19], off offset:-16
	global_load_dword v28, v[18:19], off offset:16
	global_load_dwordx4 v[0:3], v[18:19], off
	v_mov_b32_e32 v9, 0
	v_add_u32_e32 v8, s15, v15
	v_mad_i64_i32 v[10:11], s[22:23], v8, 56, s[20:21]
	v_lshl_add_u64 v[32:33], v[10:11], 0, v[20:21]
	v_lshl_add_u64 v[26:27], v[10:11], 0, v[16:17]
	global_load_dword v8, v[32:33], off
	global_load_ushort v61, v[26:27], off offset:32
	s_getpc_b64 s[22:23]
	s_add_u32 s22, s22, _ZL13iq1s_grid_gpu@rel32@lo+4
	s_addc_u32 s23, s23, _ZL13iq1s_grid_gpu@rel32@hi+12
	v_mov_b32_e32 v45, 0
	v_lshl_add_u64 v[34:35], v[10:11], 0, v[22:23]
	v_mov_b32_e32 v43, 0
	v_mov_b32_e32 v70, 0
	v_mov_b32_e32 v71, 0
	v_lshl_add_u64 v[18:19], v[18:19], 0, s[16:17]
	s_waitcnt vmcnt(4)
	v_dot4c_i32_i8_e32 v9, 0x1010101, v5
	v_dot4c_i32_i8_e32 v9, 0x1010101, v6
	v_cvt_f32_f16_e32 v4, v4
	s_waitcnt vmcnt(1)
	v_and_b32_e32 v29, 0xff, v8
	v_cvt_f32_i32_e32 v40, v9
	v_mov_b32_e32 v9, 0
	v_dot4c_i32_i8_e32 v9, 0x1010101, v7
	v_dot4c_i32_i8_e32 v9, 0x1010101, v0
	v_lshrrev_b32_e32 v63, 24, v8
	v_bfe_u32 v69, v8, 16, 8
	s_waitcnt vmcnt(0)
	v_and_b32_sdwa v48, v61, v51 dst_sel:DWORD dst_unused:UNUSED_PAD src0_sel:BYTE_1 src1_sel:DWORD
	v_cvt_f32_i32_e32 v42, v9
	v_mov_b32_e32 v9, 0
	v_dot4c_i32_i8_e32 v9, 0x1010101, v1
	v_dot4c_i32_i8_e32 v9, 0x1010101, v2
	v_lshrrev_b32_sdwa v50, v53, v61 dst_sel:DWORD dst_unused:UNUSED_PAD src0_sel:DWORD src1_sel:BYTE_1
	s_nop 1
	v_cvt_f32_i32_e32 v44, v9
	v_mov_b32_e32 v9, 0
	v_dot4c_i32_i8_e32 v9, 0x1010101, v3
	v_dot4c_i32_i8_e32 v9, 0x1010101, v28
	s_nop 2
	v_cvt_f32_i32_e32 v46, v9
	global_load_ubyte v9, v[26:27], off offset:32
	s_waitcnt vmcnt(0)
	v_lshlrev_b32_e32 v30, 8, v9
	v_and_or_b32 v29, v30, s33, v29
	v_lshlrev_b32_e32 v29, 2, v29
	global_load_dword v29, v29, s[22:23]
	v_and_b32_e32 v38, 8, v9
	v_lshrrev_b32_e32 v41, 4, v9
	v_lshlrev_b32_e32 v9, 4, v9
	s_waitcnt vmcnt(0)
	v_and_b32_e32 v65, 0xf0f0f0f, v29
	v_lshrrev_b32_e32 v29, 4, v29
	v_and_b32_e32 v66, 0xf0f0f0f, v29
	v_bfe_u32 v29, v8, 8, 8
	v_and_or_b32 v9, v9, s33, v29
	v_lshlrev_b32_sdwa v8, v51, v61 dst_sel:DWORD dst_unused:UNUSED_PAD src0_sel:DWORD src1_sel:BYTE_1
	v_lshlrev_b32_e32 v9, 2, v9
	v_and_or_b32 v8, v8, s33, v69
	global_load_dword v9, v9, s[22:23]
	v_lshlrev_b32_e32 v8, 2, v8
	global_load_dword v8, v8, s[22:23]
	v_dot4c_i32_i8_e32 v43, v65, v5
	v_dot4c_i32_i8_e32 v43, v66, v6
	s_waitcnt vmcnt(1)
	v_and_b32_e32 v67, 0xf0f0f0f, v9
	v_lshrrev_b32_e32 v9, 4, v9
	v_and_b32_e32 v68, 0xf0f0f0f, v9
	s_waitcnt vmcnt(0)
	v_and_b32_e32 v9, 0xf0f0f0f, v8
	v_lshrrev_b32_e32 v8, 4, v8
	v_and_b32_e32 v8, 0xf0f0f0f, v8
	v_dot4c_i32_i8_e32 v45, v9, v1
	v_dot4c_i32_i8_e32 v45, v8, v2
	v_lshlrev_b32_sdwa v8, v53, v61 dst_sel:DWORD dst_unused:UNUSED_PAD src0_sel:DWORD src1_sel:BYTE_1
	v_and_or_b32 v8, v8, s33, v63
	v_lshlrev_b32_e32 v8, 2, v8
	global_load_dword v8, v8, s[22:23]
	s_nop 0
	global_load_ushort v52, v[10:11], off offset:48
	global_load_dword v57, v[10:11], off offset:48
	global_load_dword v56, v[10:11], off offset:50
	;; [unrolled: 1-line block ×3, first 2 shown]
	global_load_ushort v54, v[34:35], off offset:48
	v_dot4c_i32_i8_e32 v43, v67, v7
	v_dot4c_i32_i8_e32 v43, v68, v0
	s_waitcnt vmcnt(5)
	v_and_b32_e32 v9, 0xf0f0f0f, v8
	v_lshrrev_b32_e32 v8, 4, v8
	v_and_b32_e32 v8, 0xf0f0f0f, v8
	v_dot4c_i32_i8_e32 v45, v9, v3
	v_dot4c_i32_i8_e32 v45, v8, v28
	v_add_u32_e32 v8, s8, v15
	v_mad_i64_i32 v[8:9], s[36:37], v8, 56, s[20:21]
	v_lshl_add_u64 v[36:37], v[8:9], 0, v[20:21]
	global_load_dword v29, v[36:37], off
	v_lshl_add_u64 v[30:31], v[8:9], 0, v[16:17]
	global_load_ubyte v39, v[30:31], off offset:32
	global_load_ushort v62, v[30:31], off offset:32
	v_add_u32_e32 v15, 8, v15
	v_cmp_le_u32_e32 vcc, s5, v15
	s_or_b64 s[12:13], vcc, s[12:13]
	s_waitcnt vmcnt(2)
	v_and_b32_e32 v58, 0xff, v29
	v_bfe_u32 v80, v29, 16, 8
	s_waitcnt vmcnt(1)
	v_lshlrev_b32_e32 v59, 8, v39
	v_and_or_b32 v58, v59, s33, v58
	v_lshlrev_b32_e32 v58, 2, v58
	global_load_dword v58, v58, s[22:23]
	v_lshrrev_b32_e32 v64, 24, v29
	s_waitcnt vmcnt(1)
	v_lshrrev_b32_sdwa v72, v53, v62 dst_sel:DWORD dst_unused:UNUSED_PAD src0_sel:DWORD src1_sel:BYTE_1
	s_waitcnt vmcnt(0)
	v_and_b32_e32 v76, 0xf0f0f0f, v58
	v_lshrrev_b32_e32 v58, 4, v58
	v_and_b32_e32 v77, 0xf0f0f0f, v58
	v_dot4c_i32_i8_e32 v70, v76, v5
	v_dot4c_i32_i8_e32 v70, v77, v6
	v_and_b32_e32 v5, 8, v39
	v_lshrrev_b32_e32 v6, 4, v39
	v_bfe_u32 v58, v29, 8, 8
	v_lshlrev_b32_e32 v39, 4, v39
	v_and_or_b32 v39, v39, s33, v58
	v_lshlrev_b32_e32 v39, 2, v39
	global_load_dword v39, v39, s[22:23]
	s_waitcnt vmcnt(0)
	v_and_b32_e32 v78, 0xf0f0f0f, v39
	v_lshrrev_b32_e32 v39, 4, v39
	v_and_b32_e32 v79, 0xf0f0f0f, v39
	v_dot4c_i32_i8_e32 v70, v78, v7
	v_dot4c_i32_i8_e32 v70, v79, v0
	v_lshlrev_b32_sdwa v0, v51, v62 dst_sel:DWORD dst_unused:UNUSED_PAD src0_sel:DWORD src1_sel:BYTE_1
	v_and_or_b32 v0, v0, s33, v80
	v_lshlrev_b32_e32 v0, 2, v0
	global_load_dword v0, v0, s[22:23]
	s_waitcnt vmcnt(0)
	v_and_b32_e32 v7, 0xf0f0f0f, v0
	v_lshrrev_b32_e32 v0, 4, v0
	v_and_b32_e32 v0, 0xf0f0f0f, v0
	v_dot4c_i32_i8_e32 v71, v7, v1
	v_dot4c_i32_i8_e32 v71, v0, v2
	v_lshlrev_b32_sdwa v0, v53, v62 dst_sel:DWORD dst_unused:UNUSED_PAD src0_sel:DWORD src1_sel:BYTE_1
	v_and_or_b32 v0, v0, s33, v64
	v_lshlrev_b32_e32 v0, 2, v0
	global_load_dword v0, v0, s[22:23]
	s_nop 0
	global_load_ushort v73, v[8:9], off offset:48
	global_load_dword v60, v[8:9], off offset:48
	global_load_dword v59, v[8:9], off offset:50
	;; [unrolled: 1-line block ×3, first 2 shown]
	v_and_b32_e32 v2, 8, v41
	v_and_b32_sdwa v7, v62, v51 dst_sel:DWORD dst_unused:UNUSED_PAD src0_sel:BYTE_1 src1_sel:DWORD
	v_cvt_f32_ubyte0_e32 v2, v2
	s_waitcnt vmcnt(4)
	v_and_b32_e32 v1, 0xf0f0f0f, v0
	v_lshrrev_b32_e32 v0, 4, v0
	v_and_b32_e32 v0, 0xf0f0f0f, v0
	v_dot4c_i32_i8_e32 v71, v1, v3
	v_dot4c_i32_i8_e32 v71, v0, v28
	v_lshl_add_u64 v[28:29], v[8:9], 0, v[22:23]
	global_load_ushort v74, v[28:29], off offset:48
	v_cvt_f32_ubyte0_e32 v1, v5
	v_cvt_f32_ubyte0_e32 v0, v38
	v_and_b32_e32 v3, 8, v6
	v_pk_fma_f32 v[38:39], v[0:1], s[2:3], v[24:25] op_sel_hi:[1,0,0] neg_lo:[1,0,0] neg_hi:[1,0,0]
	v_cvt_f32_ubyte0_e32 v3, v3
	v_pk_fma_f32 v[0:1], v[38:39], v[40:41], 0 op_sel_hi:[1,0,0]
	v_pk_fma_f32 v[40:41], v[2:3], s[2:3], v[24:25] op_sel_hi:[1,0,0] neg_lo:[1,0,0] neg_hi:[1,0,0]
	v_cvt_f32_ubyte0_e32 v3, v7
	v_cvt_f32_ubyte0_e32 v2, v48
	v_and_b32_e32 v5, 8, v50
	v_and_b32_e32 v6, 8, v72
	v_pk_fma_f32 v[2:3], v[2:3], s[2:3], v[24:25] op_sel_hi:[1,0,0] neg_lo:[1,0,0] neg_hi:[1,0,0]
	v_cvt_f32_ubyte0_e32 v7, v6
	v_cvt_f32_ubyte0_e32 v6, v5
	v_pk_fma_f32 v[2:3], v[2:3], v[44:45], 0 op_sel_hi:[1,0,0]
	v_pk_fma_f32 v[6:7], v[6:7], s[2:3], v[24:25] op_sel_hi:[1,0,0] neg_lo:[1,0,0] neg_hi:[1,0,0]
	s_waitcnt vmcnt(4)
	v_perm_b32 v5, v73, v52, s11
	v_pk_fma_f32 v[2:3], v[6:7], v[46:47], v[2:3] op_sel_hi:[1,0,1]
	v_pk_lshrrev_b16 v81, 12, v5 op_sel_hi:[0,1]
	s_waitcnt vmcnt(3)
	v_perm_b32 v5, v60, v57, s34
	s_waitcnt vmcnt(2)
	v_perm_b32 v6, v59, v56, s34
	v_pk_lshrrev_b16 v5, 8, v5 op_sel_hi:[0,1]
	v_pk_lshrrev_b16 v6, 4, v6 op_sel_hi:[0,1]
	s_waitcnt vmcnt(1)
	v_perm_b32 v7, v58, v55, s34
	v_and_or_b32 v5, v5, s35, v81
	v_and_b32_e32 v6, 0xf000f00, v6
	v_and_b32_e32 v7, 0xf000f000, v7
	v_or3_b32 v5, v5, v6, v7
	v_cvt_f32_f16_e32 v6, v5
	v_cvt_f32_f16_sdwa v7, v5 dst_sel:DWORD dst_unused:UNUSED_PAD src0_sel:WORD_1
	v_pk_fma_f32 v[0:1], v[40:41], v[42:43], v[0:1] op_sel_hi:[1,0,1]
	v_mov_b32_e32 v48, 0
	v_pk_mul_f32 v[4:5], v[4:5], v[6:7] op_sel_hi:[0,1]
	s_waitcnt vmcnt(0)
	v_perm_b32 v6, v74, v54, s11
	v_pk_lshrrev_b16 v6, v47, v6
	s_nop 0
	v_pk_lshlrev_b16 v7, 1, v6 op_sel_hi:[0,1]
	v_pk_lshrrev_b16 v6, 2, v6 op_sel_hi:[0,1]
	v_lshrrev_b32_e32 v42, 16, v7
	v_and_b32_e32 v6, 0xe000e, v6
	v_and_or_b32 v44, v42, 14, 1
	v_and_or_b32 v42, v7, 14, 1
	v_or_b32_e32 v46, 0x10001, v6
	v_cvt_f32_i32_e32 v7, v70
	v_cvt_f32_i32_e32 v6, v43
	v_cvt_f32_ubyte0_e32 v43, v44
	v_cvt_f32_ubyte0_e32 v44, v46
	;; [unrolled: 1-line block ×3, first 2 shown]
	v_pk_add_f32 v[0:1], v[0:1], v[6:7]
	v_cvt_f32_i32_e32 v7, v71
	v_cvt_f32_i32_e32 v6, v45
	v_cvt_f32_ubyte2_e32 v45, v46
	v_mov_b32_e32 v46, 0
	v_pk_add_f32 v[2:3], v[2:3], v[6:7]
	s_nop 0
	v_pk_mul_f32 v[2:3], v[2:3], v[44:45]
	s_nop 0
	v_pk_fma_f32 v[6:7], v[0:1], v[42:43], v[2:3]
	scratch_load_dwordx4 v[0:3], off, off
	s_waitcnt vmcnt(0)
	v_pk_fma_f32 v[0:1], v[4:5], v[6:7], v[0:1]
	v_add_u32_e32 v4, s9, v49
	v_mad_u64_u32 v[4:5], s[36:37], v4, 36, s[24:25]
	v_mad_u64_u32 v[74:75], s[36:37], v14, 36, v[4:5]
	global_load_dwordx4 v[70:73], v[74:75], off
	global_load_dword v82, v[74:75], off offset:32
	global_load_dwordx4 v[4:7], v[74:75], off offset:16
	v_mov_b32_e32 v74, 0
	s_waitcnt vmcnt(2)
	v_dot4c_i32_i8_e32 v48, 0x1010101, v73
	v_dot4c_i32_i8_e32 v74, v76, v71
	s_waitcnt vmcnt(0)
	v_dot4c_i32_i8_e32 v48, 0x1010101, v4
	v_dot4c_i32_i8_e32 v74, v77, v72
	;; [unrolled: 1-line block ×4, first 2 shown]
	v_cvt_f32_i32_e32 v50, v48
	v_mov_b32_e32 v48, 0
	v_dot4c_i32_i8_e32 v48, 0x1010101, v5
	v_dot4c_i32_i8_e32 v48, 0x1010101, v6
	;; [unrolled: 1-line block ×4, first 2 shown]
	s_nop 0
	v_cvt_f32_i32_e32 v52, v48
	v_mov_b32_e32 v48, 0
	v_dot4c_i32_i8_e32 v48, 0x1010101, v7
	v_dot4c_i32_i8_e32 v48, 0x1010101, v82
	v_cvt_f32_i32_e32 v46, v46
	s_nop 1
	v_cvt_f32_i32_e32 v54, v48
	v_cvt_f32_f16_e32 v48, v70
	v_mov_b32_e32 v70, 0
	v_dot4c_i32_i8_e32 v70, v65, v71
	global_load_ubyte v65, v[26:27], off offset:33
	v_dot4c_i32_i8_e32 v70, v66, v72
	v_dot4c_i32_i8_e32 v70, v67, v73
	;; [unrolled: 1-line block ×3, first 2 shown]
	v_mov_b32_e32 v68, 0
	v_mov_b32_e32 v73, 0
	s_waitcnt vmcnt(0)
	v_lshlrev_b32_e32 v66, 8, v65
	v_and_or_b32 v66, v66, s33, v69
	v_lshlrev_b32_e32 v66, 2, v66
	global_load_dword v66, v66, s[22:23]
	s_waitcnt vmcnt(0)
	v_and_b32_e32 v67, 0xf0f0f0f, v66
	v_lshrrev_b32_e32 v66, 4, v66
	v_and_b32_e32 v66, 0xf0f0f0f, v66
	v_dot4c_i32_i8_e32 v68, v67, v5
	v_dot4c_i32_i8_e32 v68, v66, v6
	v_and_b32_e32 v66, 8, v65
	v_lshrrev_b32_e32 v67, 4, v65
	v_lshlrev_b32_e32 v65, 4, v65
	v_and_or_b32 v63, v65, s33, v63
	v_lshlrev_b32_e32 v63, 2, v63
	global_load_dword v63, v63, s[22:23]
	s_waitcnt vmcnt(0)
	v_and_b32_e32 v65, 0xf0f0f0f, v63
	v_lshrrev_b32_e32 v63, 4, v63
	v_and_b32_e32 v63, 0xf0f0f0f, v63
	v_dot4c_i32_i8_e32 v68, v65, v7
	v_dot4c_i32_i8_e32 v68, v63, v82
	global_load_ushort v63, v[10:11], off offset:50
	global_load_ushort v65, v[10:11], off offset:52
	;; [unrolled: 1-line block ×3, first 2 shown]
	global_load_ubyte v4, v[30:31], off offset:33
	s_waitcnt vmcnt(0)
	v_lshlrev_b32_e32 v71, 8, v4
	v_and_or_b32 v71, v71, s33, v80
	v_lshlrev_b32_e32 v71, 2, v71
	global_load_dword v71, v71, s[22:23]
	s_waitcnt vmcnt(0)
	v_and_b32_e32 v72, 0xf0f0f0f, v71
	v_lshrrev_b32_e32 v71, 4, v71
	v_and_b32_e32 v71, 0xf0f0f0f, v71
	v_dot4c_i32_i8_e32 v73, v72, v5
	v_dot4c_i32_i8_e32 v73, v71, v6
	v_and_b32_e32 v6, 8, v4
	v_lshrrev_b32_e32 v71, 4, v4
	v_lshlrev_b32_e32 v4, 4, v4
	v_and_or_b32 v4, v4, s33, v64
	v_lshlrev_b32_e32 v4, 2, v4
	global_load_dword v4, v4, s[22:23]
	s_nop 0
	global_load_ushort v64, v[8:9], off offset:50
	global_load_ushort v72, v[8:9], off offset:52
	;; [unrolled: 1-line block ×3, first 2 shown]
	s_waitcnt vmcnt(3)
	v_and_b32_e32 v5, 0xf0f0f0f, v4
	v_lshrrev_b32_e32 v4, 4, v4
	v_and_b32_e32 v4, 0xf0f0f0f, v4
	v_dot4c_i32_i8_e32 v73, v5, v7
	v_dot4c_i32_i8_e32 v73, v4, v82
	v_pk_fma_f32 v[4:5], v[38:39], v[46:47], 0 op_sel_hi:[1,0,0]
	v_cvt_f32_ubyte0_e32 v7, v6
	v_cvt_f32_ubyte0_e32 v6, v66
	v_and_b32_e32 v38, 8, v67
	v_and_b32_e32 v39, 8, v71
	v_pk_fma_f32 v[6:7], v[6:7], s[2:3], v[24:25] op_sel_hi:[1,0,0] neg_lo:[1,0,0] neg_hi:[1,0,0]
	v_cvt_f32_ubyte0_e32 v39, v39
	v_cvt_f32_ubyte0_e32 v38, v38
	v_pk_fma_f32 v[6:7], v[6:7], v[52:53], 0 op_sel_hi:[1,0,0]
	v_pk_fma_f32 v[38:39], v[38:39], s[2:3], v[24:25] op_sel_hi:[1,0,0] neg_lo:[1,0,0] neg_hi:[1,0,0]
	v_pk_fma_f32 v[4:5], v[40:41], v[50:51], v[4:5] op_sel_hi:[1,0,1]
	v_pk_fma_f32 v[6:7], v[38:39], v[54:55], v[6:7] op_sel_hi:[1,0,1]
	s_waitcnt vmcnt(2)
	v_perm_b32 v38, v64, v63, s11
	s_waitcnt vmcnt(1)
	v_perm_b32 v39, v72, v65, s11
	v_pk_lshrrev_b16 v38, 8, v38 op_sel_hi:[0,1]
	v_pk_lshrrev_b16 v39, 4, v39 op_sel_hi:[0,1]
	s_waitcnt vmcnt(0)
	v_perm_b32 v40, v75, v69, s11
	v_and_or_b32 v38, v38, s35, v81
	v_and_b32_e32 v39, 0xf000f00, v39
	v_and_b32_e32 v40, 0xf000f000, v40
	v_or3_b32 v39, v38, v39, v40
	v_cvt_f32_i32_e32 v41, v74
	v_cvt_f32_i32_e32 v40, v70
	v_cvt_f32_f16_e32 v38, v39
	v_cvt_f32_f16_sdwa v39, v39 dst_sel:DWORD dst_unused:UNUSED_PAD src0_sel:WORD_1
	v_mov_b32_e32 v74, 0
	v_pk_add_f32 v[4:5], v[4:5], v[40:41]
	v_cvt_f32_i32_e32 v41, v73
	v_cvt_f32_i32_e32 v40, v68
	v_pk_mul_f32 v[38:39], v[48:49], v[38:39] op_sel_hi:[0,1]
	v_mov_b32_e32 v75, 0
	v_pk_add_f32 v[6:7], v[6:7], v[40:41]
	s_nop 0
	v_pk_mul_f32 v[6:7], v[6:7], v[44:45]
	s_nop 0
	v_pk_fma_f32 v[4:5], v[4:5], v[42:43], v[6:7]
	s_nop 0
	v_pk_fma_f32 v[2:3], v[38:39], v[4:5], v[2:3]
	scratch_store_dwordx4 off, v[0:3], off
	v_mov_b32_e32 v38, 0
	s_nop 0
	v_add_u32_e32 v0, s30, v49
	v_mad_u64_u32 v[0:1], s[36:37], v0, 36, s[24:25]
	v_mad_u64_u32 v[40:41], s[36:37], v14, 36, v[0:1]
	global_load_dwordx4 v[4:7], v[40:41], off
	global_load_dword v39, v[40:41], off offset:32
	global_load_dwordx4 v[0:3], v[40:41], off offset:16
	global_load_ubyte v45, v[26:27], off offset:32
	s_waitcnt vmcnt(3)
	v_dot4c_i32_i8_e32 v38, 0x1010101, v5
	global_load_dword v41, v[32:33], off
	v_dot4c_i32_i8_e32 v38, 0x1010101, v6
	s_waitcnt vmcnt(1)
	v_lshlrev_b32_e32 v48, 8, v45
	v_lshrrev_b32_e32 v50, 4, v45
	v_cvt_f32_f16_e32 v4, v4
	v_cvt_f32_i32_e32 v44, v38
	v_mov_b32_e32 v38, 0
	v_dot4c_i32_i8_e32 v38, 0x1010101, v7
	v_dot4c_i32_i8_e32 v38, 0x1010101, v0
	s_waitcnt vmcnt(0)
	v_and_b32_e32 v46, 0xff, v41
	v_and_or_b32 v46, v48, s33, v46
	v_and_b32_e32 v48, 8, v45
	v_bfe_u32 v52, v41, 8, 8
	v_lshlrev_b32_e32 v45, 4, v45
	v_and_or_b32 v45, v45, s33, v52
	v_lshlrev_b32_e32 v45, 2, v45
	global_load_dword v45, v45, s[22:23]
	v_lshrrev_b32_e32 v43, 24, v41
	v_bfe_u32 v41, v41, 16, 8
	v_lshlrev_b32_e32 v46, 2, v46
	global_load_dword v46, v46, s[22:23]
	v_cvt_f32_i32_e32 v40, v38
	v_mov_b32_e32 v38, 0
	v_dot4c_i32_i8_e32 v38, 0x1010101, v1
	v_dot4c_i32_i8_e32 v38, 0x1010101, v2
	s_waitcnt vmcnt(1)
	v_and_b32_e32 v76, 0xf0f0f0f, v45
	v_lshrrev_b32_e32 v45, 4, v45
	v_and_b32_e32 v77, 0xf0f0f0f, v45
	global_load_ubyte v45, v[26:27], off offset:33
	v_cvt_f32_i32_e32 v42, v38
	v_mov_b32_e32 v38, 0
	v_dot4c_i32_i8_e32 v38, 0x1010101, v3
	v_dot4c_i32_i8_e32 v38, 0x1010101, v39
	s_waitcnt vmcnt(0)
	v_lshlrev_b32_e32 v52, 8, v45
	v_and_or_b32 v41, v52, s33, v41
	v_and_b32_e32 v52, 8, v45
	v_lshrrev_b32_e32 v68, 4, v45
	v_lshlrev_b32_e32 v45, 4, v45
	v_and_or_b32 v43, v45, s33, v43
	v_lshlrev_b32_e32 v41, 2, v41
	v_lshlrev_b32_e32 v43, 2, v43
	global_load_dword v43, v43, s[22:23]
	v_and_b32_e32 v54, 0xf0f0f0f, v46
	global_load_dword v41, v41, s[22:23]
	v_lshrrev_b32_e32 v46, 4, v46
	v_and_b32_e32 v63, 0xf0f0f0f, v46
	v_mov_b32_e32 v46, 0
	v_dot4c_i32_i8_e32 v46, v54, v5
	v_dot4c_i32_i8_e32 v46, v63, v6
	;; [unrolled: 1-line block ×4, first 2 shown]
	v_cvt_f32_i32_e32 v38, v38
	s_waitcnt vmcnt(1)
	v_and_b32_e32 v80, 0xf0f0f0f, v43
	v_lshrrev_b32_e32 v43, 4, v43
	v_and_b32_e32 v81, 0xf0f0f0f, v43
	global_load_ushort v69, v[10:11], off offset:48
	global_load_ushort v70, v[10:11], off offset:50
	;; [unrolled: 1-line block ×5, first 2 shown]
	global_load_dword v43, v[36:37], off
	global_load_ubyte v64, v[30:31], off offset:32
	s_waitcnt vmcnt(7)
	v_and_b32_e32 v78, 0xf0f0f0f, v41
	v_lshrrev_b32_e32 v41, 4, v41
	v_and_b32_e32 v79, 0xf0f0f0f, v41
	v_mov_b32_e32 v41, 0
	v_dot4c_i32_i8_e32 v41, v78, v1
	v_dot4c_i32_i8_e32 v41, v79, v2
	;; [unrolled: 1-line block ×4, first 2 shown]
	s_waitcnt vmcnt(1)
	v_and_b32_e32 v65, 0xff, v43
	s_waitcnt vmcnt(0)
	v_lshlrev_b32_e32 v66, 8, v64
	v_and_or_b32 v65, v66, s33, v65
	v_lshlrev_b32_e32 v65, 2, v65
	global_load_dword v65, v65, s[22:23]
	v_lshrrev_b32_e32 v45, 24, v43
	s_waitcnt vmcnt(0)
	v_and_b32_e32 v82, 0xf0f0f0f, v65
	v_lshrrev_b32_e32 v65, 4, v65
	v_and_b32_e32 v83, 0xf0f0f0f, v65
	v_dot4c_i32_i8_e32 v74, v82, v5
	v_dot4c_i32_i8_e32 v74, v83, v6
	v_and_b32_e32 v5, 8, v64
	v_lshrrev_b32_e32 v6, 4, v64
	v_bfe_u32 v65, v43, 8, 8
	v_lshlrev_b32_e32 v64, 4, v64
	v_and_or_b32 v64, v64, s33, v65
	v_lshlrev_b32_e32 v64, 2, v64
	global_load_dword v64, v64, s[22:23]
	s_waitcnt vmcnt(0)
	v_and_b32_e32 v84, 0xf0f0f0f, v64
	v_lshrrev_b32_e32 v64, 4, v64
	v_and_b32_e32 v85, 0xf0f0f0f, v64
	v_dot4c_i32_i8_e32 v74, v84, v7
	v_dot4c_i32_i8_e32 v74, v85, v0
	global_load_ubyte v0, v[30:31], off offset:33
	v_bfe_u32 v7, v43, 16, 8
	s_waitcnt vmcnt(0)
	v_lshlrev_b32_e32 v43, 8, v0
	v_and_or_b32 v7, v43, s33, v7
	v_lshlrev_b32_e32 v7, 2, v7
	global_load_dword v7, v7, s[22:23]
	v_lshrrev_b32_e32 v43, 4, v0
	s_waitcnt vmcnt(0)
	v_and_b32_e32 v86, 0xf0f0f0f, v7
	v_lshrrev_b32_e32 v7, 4, v7
	v_and_b32_e32 v87, 0xf0f0f0f, v7
	v_and_b32_e32 v7, 8, v0
	v_lshlrev_b32_e32 v0, 4, v0
	v_and_or_b32 v0, v0, s33, v45
	v_lshlrev_b32_e32 v0, 2, v0
	global_load_dword v0, v0, s[22:23]
	v_dot4c_i32_i8_e32 v75, v86, v1
	v_dot4c_i32_i8_e32 v75, v87, v2
	v_cvt_f32_ubyte0_e32 v1, v5
	v_and_b32_e32 v2, 8, v50
	v_cvt_f32_ubyte0_e32 v2, v2
	v_and_b32_e32 v5, 8, v68
	v_mov_b32_e32 v50, 0
	s_waitcnt vmcnt(0)
	v_and_b32_e32 v88, 0xf0f0f0f, v0
	v_lshrrev_b32_e32 v0, 4, v0
	v_and_b32_e32 v89, 0xf0f0f0f, v0
	v_dot4c_i32_i8_e32 v75, v88, v3
	v_dot4c_i32_i8_e32 v75, v89, v39
	global_load_ushort v39, v[8:9], off offset:48
	global_load_ushort v90, v[8:9], off offset:50
	global_load_ushort v91, v[8:9], off offset:52
	global_load_ushort v92, v[8:9], off offset:54
	global_load_ushort v93, v[28:29], off offset:48
	v_cvt_f32_ubyte0_e32 v0, v48
	v_and_b32_e32 v3, 8, v6
	v_pk_fma_f32 v[64:65], v[0:1], s[2:3], v[24:25] op_sel_hi:[1,0,0] neg_lo:[1,0,0] neg_hi:[1,0,0]
	v_cvt_f32_ubyte0_e32 v3, v3
	v_pk_fma_f32 v[0:1], v[64:65], v[44:45], 0 op_sel_hi:[1,0,0]
	v_pk_fma_f32 v[44:45], v[2:3], s[2:3], v[24:25] op_sel_hi:[1,0,0] neg_lo:[1,0,0] neg_hi:[1,0,0]
	v_cvt_f32_ubyte0_e32 v3, v7
	v_cvt_f32_ubyte0_e32 v2, v52
	v_and_b32_e32 v6, 8, v43
	v_pk_fma_f32 v[66:67], v[2:3], s[2:3], v[24:25] op_sel_hi:[1,0,0] neg_lo:[1,0,0] neg_hi:[1,0,0]
	v_cvt_f32_ubyte0_e32 v7, v6
	v_cvt_f32_ubyte0_e32 v6, v5
	v_pk_fma_f32 v[2:3], v[66:67], v[42:43], 0 op_sel_hi:[1,0,0]
	v_pk_fma_f32 v[42:43], v[6:7], s[2:3], v[24:25] op_sel_hi:[1,0,0] neg_lo:[1,0,0] neg_hi:[1,0,0]
	v_pk_fma_f32 v[0:1], v[44:45], v[40:41], v[0:1] op_sel_hi:[1,0,1]
	v_mov_b32_e32 v48, 0
	v_mov_b32_e32 v52, 0
	s_waitcnt vmcnt(4)
	v_perm_b32 v5, v39, v69, s11
	s_waitcnt vmcnt(3)
	v_perm_b32 v6, v90, v70, s11
	v_pk_lshrrev_b16 v5, 12, v5 op_sel_hi:[0,1]
	v_pk_lshrrev_b16 v6, 8, v6 op_sel_hi:[0,1]
	v_and_or_b32 v5, v6, s35, v5
	s_waitcnt vmcnt(2)
	v_perm_b32 v6, v91, v71, s11
	v_pk_lshrrev_b16 v6, 4, v6 op_sel_hi:[0,1]
	s_waitcnt vmcnt(1)
	v_perm_b32 v7, v92, v72, s11
	v_and_b32_e32 v6, 0xf000f00, v6
	v_and_b32_e32 v7, 0xf000f000, v7
	v_or3_b32 v5, v5, v6, v7
	s_waitcnt vmcnt(0)
	v_perm_b32 v6, v93, v73, s11
	v_pk_lshrrev_b16 v6, v47, v6
	v_pk_fma_f32 v[2:3], v[42:43], v[38:39], v[2:3] op_sel_hi:[1,0,1]
	v_pk_lshlrev_b16 v7, 1, v6 op_sel_hi:[0,1]
	v_pk_lshrrev_b16 v6, 2, v6 op_sel_hi:[0,1]
	v_and_b32_e32 v6, 0xe000e, v6
	v_lshrrev_b32_e32 v38, 16, v7
	v_and_or_b32 v39, v7, 14, 1
	v_or_b32_e32 v40, 0x10001, v6
	v_cvt_f32_i32_e32 v7, v74
	v_cvt_f32_i32_e32 v6, v46
	v_and_or_b32 v38, v38, 14, 1
	v_cvt_f32_ubyte2_e32 v73, v40
	v_cvt_f32_ubyte0_e32 v72, v40
	v_pk_add_f32 v[0:1], v[0:1], v[6:7]
	v_cvt_f32_i32_e32 v7, v75
	v_cvt_f32_i32_e32 v6, v41
	v_cvt_f32_ubyte0_e32 v70, v39
	v_cvt_f32_ubyte0_e32 v71, v38
	v_cvt_f32_f16_e32 v68, v5
	v_pk_add_f32 v[2:3], v[2:3], v[6:7]
	v_cvt_f32_f16_sdwa v69, v5 dst_sel:DWORD dst_unused:UNUSED_PAD src0_sel:WORD_1
	v_pk_mul_f32 v[2:3], v[2:3], v[72:73]
	v_mov_b32_e32 v46, 0
	v_pk_fma_f32 v[6:7], v[0:1], v[70:71], v[2:3]
	scratch_load_dwordx4 v[0:3], off, off offset:16
	v_pk_mul_f32 v[4:5], v[4:5], v[68:69] op_sel_hi:[0,1]
	s_waitcnt vmcnt(0)
	v_pk_fma_f32 v[0:1], v[4:5], v[6:7], v[0:1]
	v_add_u32_e32 v4, s31, v49
	v_mad_u64_u32 v[4:5], s[36:37], v4, 36, s[24:25]
	v_mad_u64_u32 v[74:75], s[36:37], v14, 36, v[4:5]
	global_load_dwordx4 v[4:7], v[74:75], off
	global_load_dword v90, v[74:75], off offset:32
	global_load_dwordx4 v[38:41], v[74:75], off offset:16
	v_mov_b32_e32 v74, 0
	v_mov_b32_e32 v75, 0
	s_waitcnt vmcnt(2)
	v_dot4c_i32_i8_e32 v74, v54, v5
	v_dot4c_i32_i8_e32 v74, v63, v6
	v_mov_b32_e32 v63, 0
	v_dot4c_i32_i8_e32 v46, 0x1010101, v5
	v_dot4c_i32_i8_e32 v63, v82, v5
	;; [unrolled: 1-line block ×4, first 2 shown]
	v_mov_b32_e32 v54, 0
	v_dot4c_i32_i8_e32 v63, v83, v6
	v_cvt_f32_i32_e32 v46, v46
	s_waitcnt vmcnt(0)
	v_dot4c_i32_i8_e32 v48, 0x1010101, v38
	v_dot4c_i32_i8_e32 v74, v76, v7
	;; [unrolled: 1-line block ×5, first 2 shown]
	v_cvt_f32_i32_e32 v48, v48
	v_dot4c_i32_i8_e32 v50, 0x1010101, v39
	v_dot4c_i32_i8_e32 v74, v77, v38
	;; [unrolled: 1-line block ×9, first 2 shown]
	v_cvt_f32_i32_e32 v41, v63
	v_cvt_f32_i32_e32 v40, v74
	;; [unrolled: 1-line block ×3, first 2 shown]
	v_dot4c_i32_i8_e32 v52, 0x1010101, v90
	v_pk_fma_f32 v[6:7], v[64:65], v[46:47], 0 op_sel_hi:[1,0,0]
	v_dot4c_i32_i8_e32 v54, v81, v90
	v_dot4c_i32_i8_e32 v75, v89, v90
	v_cvt_f32_i32_e32 v52, v52
	v_pk_fma_f32 v[6:7], v[44:45], v[48:49], v[6:7] op_sel_hi:[1,0,1]
	v_cvt_f32_f16_e32 v4, v4
	v_pk_add_f32 v[6:7], v[6:7], v[40:41]
	v_cvt_f32_i32_e32 v41, v75
	v_cvt_f32_i32_e32 v40, v54
	v_pk_fma_f32 v[38:39], v[66:67], v[50:51], 0 op_sel_hi:[1,0,0]
	v_pk_mul_f32 v[4:5], v[4:5], v[68:69] op_sel_hi:[0,1]
	v_pk_fma_f32 v[38:39], v[42:43], v[52:53], v[38:39] op_sel_hi:[1,0,1]
	v_mov_b32_e32 v74, 0
	v_pk_add_f32 v[38:39], v[38:39], v[40:41]
	v_mov_b32_e32 v75, 0
	v_pk_mul_f32 v[38:39], v[38:39], v[72:73]
	s_nop 0
	v_pk_fma_f32 v[6:7], v[6:7], v[70:71], v[38:39]
	v_mov_b32_e32 v38, 0
	v_pk_fma_f32 v[2:3], v[4:5], v[6:7], v[2:3]
	scratch_store_dwordx4 off, v[0:3], off offset:16
	s_nop 1
	v_add_u32_e32 v0, s29, v49
	v_mad_u64_u32 v[0:1], s[36:37], v0, 36, s[24:25]
	v_mad_u64_u32 v[40:41], s[36:37], v14, 36, v[0:1]
	global_load_dwordx4 v[4:7], v[40:41], off
	global_load_dword v39, v[40:41], off offset:32
	global_load_dwordx4 v[0:3], v[40:41], off offset:16
	global_load_ubyte v45, v[26:27], off offset:32
	s_waitcnt vmcnt(3)
	v_dot4c_i32_i8_e32 v38, 0x1010101, v5
	global_load_dword v41, v[32:33], off
	v_dot4c_i32_i8_e32 v38, 0x1010101, v6
	s_waitcnt vmcnt(1)
	v_lshlrev_b32_e32 v48, 8, v45
	v_lshrrev_b32_e32 v50, 4, v45
	v_cvt_f32_f16_e32 v4, v4
	v_cvt_f32_i32_e32 v44, v38
	v_mov_b32_e32 v38, 0
	v_dot4c_i32_i8_e32 v38, 0x1010101, v7
	v_dot4c_i32_i8_e32 v38, 0x1010101, v0
	s_waitcnt vmcnt(0)
	v_and_b32_e32 v46, 0xff, v41
	v_and_or_b32 v46, v48, s33, v46
	v_and_b32_e32 v48, 8, v45
	v_bfe_u32 v52, v41, 8, 8
	v_lshlrev_b32_e32 v45, 4, v45
	v_and_or_b32 v45, v45, s33, v52
	v_lshlrev_b32_e32 v45, 2, v45
	global_load_dword v45, v45, s[22:23]
	v_lshrrev_b32_e32 v43, 24, v41
	v_bfe_u32 v41, v41, 16, 8
	v_lshlrev_b32_e32 v46, 2, v46
	global_load_dword v46, v46, s[22:23]
	v_cvt_f32_i32_e32 v40, v38
	v_mov_b32_e32 v38, 0
	v_dot4c_i32_i8_e32 v38, 0x1010101, v1
	v_dot4c_i32_i8_e32 v38, 0x1010101, v2
	s_waitcnt vmcnt(1)
	v_and_b32_e32 v76, 0xf0f0f0f, v45
	v_lshrrev_b32_e32 v45, 4, v45
	v_and_b32_e32 v77, 0xf0f0f0f, v45
	global_load_ubyte v45, v[26:27], off offset:33
	v_cvt_f32_i32_e32 v42, v38
	v_mov_b32_e32 v38, 0
	v_dot4c_i32_i8_e32 v38, 0x1010101, v3
	v_dot4c_i32_i8_e32 v38, 0x1010101, v39
	s_waitcnt vmcnt(0)
	v_lshlrev_b32_e32 v52, 8, v45
	v_and_or_b32 v41, v52, s33, v41
	v_and_b32_e32 v52, 8, v45
	v_lshrrev_b32_e32 v68, 4, v45
	v_lshlrev_b32_e32 v45, 4, v45
	v_and_or_b32 v43, v45, s33, v43
	v_lshlrev_b32_e32 v41, 2, v41
	v_lshlrev_b32_e32 v43, 2, v43
	global_load_dword v43, v43, s[22:23]
	v_and_b32_e32 v54, 0xf0f0f0f, v46
	global_load_dword v41, v41, s[22:23]
	v_lshrrev_b32_e32 v46, 4, v46
	v_and_b32_e32 v63, 0xf0f0f0f, v46
	v_mov_b32_e32 v46, 0
	v_dot4c_i32_i8_e32 v46, v54, v5
	v_dot4c_i32_i8_e32 v46, v63, v6
	;; [unrolled: 1-line block ×4, first 2 shown]
	v_cvt_f32_i32_e32 v38, v38
	s_waitcnt vmcnt(1)
	v_and_b32_e32 v80, 0xf0f0f0f, v43
	v_lshrrev_b32_e32 v43, 4, v43
	v_and_b32_e32 v81, 0xf0f0f0f, v43
	global_load_ushort v69, v[10:11], off offset:48
	global_load_ushort v70, v[10:11], off offset:50
	;; [unrolled: 1-line block ×5, first 2 shown]
	global_load_dword v43, v[36:37], off
	global_load_ubyte v64, v[30:31], off offset:32
	s_waitcnt vmcnt(7)
	v_and_b32_e32 v78, 0xf0f0f0f, v41
	v_lshrrev_b32_e32 v41, 4, v41
	v_and_b32_e32 v79, 0xf0f0f0f, v41
	v_mov_b32_e32 v41, 0
	v_dot4c_i32_i8_e32 v41, v78, v1
	v_dot4c_i32_i8_e32 v41, v79, v2
	;; [unrolled: 1-line block ×4, first 2 shown]
	s_waitcnt vmcnt(1)
	v_and_b32_e32 v65, 0xff, v43
	s_waitcnt vmcnt(0)
	v_lshlrev_b32_e32 v66, 8, v64
	v_and_or_b32 v65, v66, s33, v65
	v_lshlrev_b32_e32 v65, 2, v65
	global_load_dword v65, v65, s[22:23]
	v_lshrrev_b32_e32 v45, 24, v43
	s_waitcnt vmcnt(0)
	v_and_b32_e32 v82, 0xf0f0f0f, v65
	v_lshrrev_b32_e32 v65, 4, v65
	v_and_b32_e32 v83, 0xf0f0f0f, v65
	v_dot4c_i32_i8_e32 v74, v82, v5
	v_dot4c_i32_i8_e32 v74, v83, v6
	v_and_b32_e32 v5, 8, v64
	v_lshrrev_b32_e32 v6, 4, v64
	v_bfe_u32 v65, v43, 8, 8
	v_lshlrev_b32_e32 v64, 4, v64
	v_and_or_b32 v64, v64, s33, v65
	v_lshlrev_b32_e32 v64, 2, v64
	global_load_dword v64, v64, s[22:23]
	s_waitcnt vmcnt(0)
	v_and_b32_e32 v84, 0xf0f0f0f, v64
	v_lshrrev_b32_e32 v64, 4, v64
	v_and_b32_e32 v85, 0xf0f0f0f, v64
	v_dot4c_i32_i8_e32 v74, v84, v7
	v_dot4c_i32_i8_e32 v74, v85, v0
	global_load_ubyte v0, v[30:31], off offset:33
	v_bfe_u32 v7, v43, 16, 8
	s_waitcnt vmcnt(0)
	v_lshlrev_b32_e32 v43, 8, v0
	v_and_or_b32 v7, v43, s33, v7
	v_lshlrev_b32_e32 v7, 2, v7
	global_load_dword v7, v7, s[22:23]
	v_lshrrev_b32_e32 v43, 4, v0
	s_waitcnt vmcnt(0)
	v_and_b32_e32 v86, 0xf0f0f0f, v7
	v_lshrrev_b32_e32 v7, 4, v7
	v_and_b32_e32 v87, 0xf0f0f0f, v7
	v_and_b32_e32 v7, 8, v0
	v_lshlrev_b32_e32 v0, 4, v0
	v_and_or_b32 v0, v0, s33, v45
	v_lshlrev_b32_e32 v0, 2, v0
	global_load_dword v0, v0, s[22:23]
	v_dot4c_i32_i8_e32 v75, v86, v1
	v_dot4c_i32_i8_e32 v75, v87, v2
	v_cvt_f32_ubyte0_e32 v1, v5
	v_and_b32_e32 v2, 8, v50
	v_cvt_f32_ubyte0_e32 v2, v2
	v_and_b32_e32 v5, 8, v68
	v_mov_b32_e32 v50, 0
	s_waitcnt vmcnt(0)
	v_and_b32_e32 v88, 0xf0f0f0f, v0
	v_lshrrev_b32_e32 v0, 4, v0
	v_and_b32_e32 v89, 0xf0f0f0f, v0
	v_dot4c_i32_i8_e32 v75, v88, v3
	v_dot4c_i32_i8_e32 v75, v89, v39
	global_load_ushort v39, v[8:9], off offset:48
	global_load_ushort v90, v[8:9], off offset:50
	;; [unrolled: 1-line block ×5, first 2 shown]
	v_cvt_f32_ubyte0_e32 v0, v48
	v_and_b32_e32 v3, 8, v6
	v_pk_fma_f32 v[64:65], v[0:1], s[2:3], v[24:25] op_sel_hi:[1,0,0] neg_lo:[1,0,0] neg_hi:[1,0,0]
	v_cvt_f32_ubyte0_e32 v3, v3
	v_pk_fma_f32 v[0:1], v[64:65], v[44:45], 0 op_sel_hi:[1,0,0]
	v_pk_fma_f32 v[44:45], v[2:3], s[2:3], v[24:25] op_sel_hi:[1,0,0] neg_lo:[1,0,0] neg_hi:[1,0,0]
	v_cvt_f32_ubyte0_e32 v3, v7
	v_cvt_f32_ubyte0_e32 v2, v52
	v_and_b32_e32 v6, 8, v43
	v_pk_fma_f32 v[66:67], v[2:3], s[2:3], v[24:25] op_sel_hi:[1,0,0] neg_lo:[1,0,0] neg_hi:[1,0,0]
	v_cvt_f32_ubyte0_e32 v7, v6
	v_cvt_f32_ubyte0_e32 v6, v5
	v_pk_fma_f32 v[2:3], v[66:67], v[42:43], 0 op_sel_hi:[1,0,0]
	v_pk_fma_f32 v[42:43], v[6:7], s[2:3], v[24:25] op_sel_hi:[1,0,0] neg_lo:[1,0,0] neg_hi:[1,0,0]
	v_pk_fma_f32 v[0:1], v[44:45], v[40:41], v[0:1] op_sel_hi:[1,0,1]
	v_mov_b32_e32 v48, 0
	v_mov_b32_e32 v52, 0
	s_waitcnt vmcnt(4)
	v_perm_b32 v5, v39, v69, s11
	s_waitcnt vmcnt(3)
	v_perm_b32 v6, v90, v70, s11
	v_pk_lshrrev_b16 v5, 12, v5 op_sel_hi:[0,1]
	v_pk_lshrrev_b16 v6, 8, v6 op_sel_hi:[0,1]
	v_and_or_b32 v5, v6, s35, v5
	s_waitcnt vmcnt(2)
	v_perm_b32 v6, v91, v71, s11
	v_pk_lshrrev_b16 v6, 4, v6 op_sel_hi:[0,1]
	s_waitcnt vmcnt(1)
	v_perm_b32 v7, v92, v72, s11
	v_and_b32_e32 v6, 0xf000f00, v6
	v_and_b32_e32 v7, 0xf000f000, v7
	v_or3_b32 v5, v5, v6, v7
	s_waitcnt vmcnt(0)
	v_perm_b32 v6, v93, v73, s11
	v_pk_lshrrev_b16 v6, v47, v6
	v_pk_fma_f32 v[2:3], v[42:43], v[38:39], v[2:3] op_sel_hi:[1,0,1]
	v_pk_lshlrev_b16 v7, 1, v6 op_sel_hi:[0,1]
	v_pk_lshrrev_b16 v6, 2, v6 op_sel_hi:[0,1]
	v_and_b32_e32 v6, 0xe000e, v6
	v_lshrrev_b32_e32 v38, 16, v7
	v_and_or_b32 v39, v7, 14, 1
	v_or_b32_e32 v40, 0x10001, v6
	v_cvt_f32_i32_e32 v7, v74
	v_cvt_f32_i32_e32 v6, v46
	v_and_or_b32 v38, v38, 14, 1
	v_cvt_f32_ubyte2_e32 v73, v40
	v_cvt_f32_ubyte0_e32 v72, v40
	v_pk_add_f32 v[0:1], v[0:1], v[6:7]
	v_cvt_f32_i32_e32 v7, v75
	v_cvt_f32_i32_e32 v6, v41
	v_cvt_f32_ubyte0_e32 v70, v39
	v_cvt_f32_ubyte0_e32 v71, v38
	v_cvt_f32_f16_e32 v68, v5
	v_pk_add_f32 v[2:3], v[2:3], v[6:7]
	v_cvt_f32_f16_sdwa v69, v5 dst_sel:DWORD dst_unused:UNUSED_PAD src0_sel:WORD_1
	v_pk_mul_f32 v[2:3], v[2:3], v[72:73]
	v_mov_b32_e32 v46, 0
	v_pk_fma_f32 v[6:7], v[0:1], v[70:71], v[2:3]
	scratch_load_dwordx4 v[0:3], off, off offset:32
	v_pk_mul_f32 v[4:5], v[4:5], v[68:69] op_sel_hi:[0,1]
	s_waitcnt vmcnt(0)
	v_pk_fma_f32 v[0:1], v[4:5], v[6:7], v[0:1]
	v_add_u32_e32 v4, s28, v49
	v_mad_u64_u32 v[4:5], s[36:37], v4, 36, s[24:25]
	v_mad_u64_u32 v[74:75], s[36:37], v14, 36, v[4:5]
	global_load_dwordx4 v[4:7], v[74:75], off
	global_load_dword v90, v[74:75], off offset:32
	global_load_dwordx4 v[38:41], v[74:75], off offset:16
	v_mov_b32_e32 v74, 0
	v_mov_b32_e32 v75, 0
	s_waitcnt vmcnt(2)
	v_dot4c_i32_i8_e32 v74, v54, v5
	v_dot4c_i32_i8_e32 v74, v63, v6
	v_mov_b32_e32 v63, 0
	v_dot4c_i32_i8_e32 v46, 0x1010101, v5
	v_dot4c_i32_i8_e32 v63, v82, v5
	;; [unrolled: 1-line block ×4, first 2 shown]
	v_mov_b32_e32 v54, 0
	v_dot4c_i32_i8_e32 v63, v83, v6
	v_cvt_f32_i32_e32 v46, v46
	s_waitcnt vmcnt(0)
	v_dot4c_i32_i8_e32 v48, 0x1010101, v38
	v_dot4c_i32_i8_e32 v74, v76, v7
	;; [unrolled: 1-line block ×5, first 2 shown]
	v_cvt_f32_i32_e32 v48, v48
	v_dot4c_i32_i8_e32 v50, 0x1010101, v39
	v_dot4c_i32_i8_e32 v74, v77, v38
	;; [unrolled: 1-line block ×9, first 2 shown]
	v_cvt_f32_i32_e32 v41, v63
	v_cvt_f32_i32_e32 v40, v74
	;; [unrolled: 1-line block ×3, first 2 shown]
	v_dot4c_i32_i8_e32 v52, 0x1010101, v90
	v_pk_fma_f32 v[6:7], v[64:65], v[46:47], 0 op_sel_hi:[1,0,0]
	v_dot4c_i32_i8_e32 v54, v81, v90
	v_dot4c_i32_i8_e32 v75, v89, v90
	v_cvt_f32_i32_e32 v52, v52
	v_pk_fma_f32 v[6:7], v[44:45], v[48:49], v[6:7] op_sel_hi:[1,0,1]
	v_cvt_f32_f16_e32 v4, v4
	v_pk_add_f32 v[6:7], v[6:7], v[40:41]
	v_cvt_f32_i32_e32 v41, v75
	v_cvt_f32_i32_e32 v40, v54
	v_pk_fma_f32 v[38:39], v[66:67], v[50:51], 0 op_sel_hi:[1,0,0]
	v_pk_mul_f32 v[4:5], v[4:5], v[68:69] op_sel_hi:[0,1]
	v_pk_fma_f32 v[38:39], v[42:43], v[52:53], v[38:39] op_sel_hi:[1,0,1]
	v_mov_b32_e32 v66, 0
	v_pk_add_f32 v[38:39], v[38:39], v[40:41]
	v_mov_b32_e32 v69, 0
	v_pk_mul_f32 v[38:39], v[38:39], v[72:73]
	s_nop 0
	v_pk_fma_f32 v[6:7], v[6:7], v[70:71], v[38:39]
	s_nop 0
	v_pk_fma_f32 v[2:3], v[4:5], v[6:7], v[2:3]
	scratch_store_dwordx4 off, v[0:3], off offset:32
	s_nop 1
	v_add_u32_e32 v0, s27, v49
	v_mad_u64_u32 v[0:1], s[36:37], v0, 36, s[24:25]
	v_mad_u64_u32 v[38:39], s[36:37], v14, 36, v[0:1]
	global_load_dwordx4 v[4:7], v[38:39], off
	global_load_dword v65, v[38:39], off offset:32
	global_load_dwordx4 v[0:3], v[38:39], off offset:16
	global_load_ubyte v43, v[26:27], off offset:32
	v_mov_b32_e32 v38, 0
	global_load_dword v32, v[32:33], off
	s_waitcnt vmcnt(4)
	v_dot4c_i32_i8_e32 v38, 0x1010101, v5
	global_load_ubyte v26, v[26:27], off offset:33
	v_dot4c_i32_i8_e32 v38, 0x1010101, v6
	s_waitcnt vmcnt(2)
	v_lshlrev_b32_e32 v39, 8, v43
	v_and_b32_e32 v67, 8, v43
	s_waitcnt vmcnt(1)
	v_and_b32_e32 v41, 0xff, v32
	v_and_or_b32 v39, v39, s33, v41
	v_lshlrev_b32_e32 v39, 2, v39
	global_load_dword v39, v39, s[22:23]
	v_lshrrev_b32_e32 v68, 4, v43
	v_lshlrev_b32_e32 v43, 4, v43
	v_lshrrev_b32_e32 v33, 24, v32
	v_bfe_u32 v27, v32, 16, 8
	v_cvt_f32_i32_e32 v44, v38
	v_mov_b32_e32 v38, 0
	v_dot4c_i32_i8_e32 v38, 0x1010101, v7
	v_dot4c_i32_i8_e32 v38, 0x1010101, v0
	v_cvt_f32_f16_e32 v4, v4
	s_waitcnt vmcnt(1)
	v_lshrrev_b32_e32 v70, 4, v26
	v_cvt_f32_i32_e32 v40, v38
	v_mov_b32_e32 v38, 0
	v_dot4c_i32_i8_e32 v38, 0x1010101, v1
	v_dot4c_i32_i8_e32 v38, 0x1010101, v2
	s_waitcnt vmcnt(0)
	v_and_b32_e32 v45, 0xf0f0f0f, v39
	v_lshrrev_b32_e32 v39, 4, v39
	v_and_b32_e32 v39, 0xf0f0f0f, v39
	v_dot4c_i32_i8_e32 v66, v45, v5
	v_dot4c_i32_i8_e32 v66, v39, v6
	v_bfe_u32 v39, v32, 8, 8
	v_and_or_b32 v43, v43, s33, v39
	v_lshlrev_b32_e32 v32, 8, v26
	v_lshlrev_b32_e32 v43, 2, v43
	v_and_or_b32 v27, v32, s33, v27
	global_load_dword v43, v43, s[22:23]
	v_lshlrev_b32_e32 v27, 2, v27
	global_load_dword v27, v27, s[22:23]
	v_cvt_f32_i32_e32 v42, v38
	v_mov_b32_e32 v38, 0
	v_dot4c_i32_i8_e32 v38, 0x1010101, v3
	v_dot4c_i32_i8_e32 v38, 0x1010101, v65
	s_waitcnt vmcnt(1)
	v_and_b32_e32 v45, 0xf0f0f0f, v43
	v_dot4c_i32_i8_e32 v66, v45, v7
	s_waitcnt vmcnt(0)
	v_and_b32_e32 v45, 0xf0f0f0f, v27
	v_lshrrev_b32_e32 v27, 4, v27
	v_and_b32_e32 v46, 0xf0f0f0f, v27
	v_and_b32_e32 v27, 8, v26
	v_lshlrev_b32_e32 v26, 4, v26
	v_and_or_b32 v26, v26, s33, v33
	v_lshlrev_b32_e32 v26, 2, v26
	global_load_dword v26, v26, s[22:23]
	v_lshrrev_b32_e32 v43, 4, v43
	v_and_b32_e32 v43, 0xf0f0f0f, v43
	v_dot4c_i32_i8_e32 v66, v43, v0
	v_dot4c_i32_i8_e32 v69, v45, v1
	;; [unrolled: 1-line block ×3, first 2 shown]
	v_cvt_f32_i32_e32 v38, v38
	s_waitcnt vmcnt(0)
	v_and_b32_e32 v50, 0xf0f0f0f, v26
	v_lshrrev_b32_e32 v26, 4, v26
	v_and_b32_e32 v52, 0xf0f0f0f, v26
	global_load_ushort v26, v[10:11], off offset:48
	global_load_ushort v71, v[10:11], off offset:50
	global_load_ushort v72, v[10:11], off offset:52
	global_load_ushort v73, v[10:11], off offset:54
	global_load_ushort v74, v[34:35], off offset:48
	global_load_dword v32, v[36:37], off
	v_mov_b32_e32 v36, 0
	global_load_ubyte v11, v[30:31], off offset:32
	v_dot4c_i32_i8_e32 v69, v50, v3
	v_dot4c_i32_i8_e32 v69, v52, v65
	s_waitcnt vmcnt(1)
	v_and_b32_e32 v64, 0xff, v32
	v_bfe_u32 v63, v32, 8, 8
	s_waitcnt vmcnt(0)
	v_lshlrev_b32_e32 v33, 8, v11
	v_and_or_b32 v33, v33, s33, v64
	v_lshlrev_b32_e32 v33, 2, v33
	global_load_dword v33, v33, s[22:23]
	v_lshrrev_b32_e32 v10, 24, v32
	s_waitcnt vmcnt(0)
	v_and_b32_e32 v34, 0xf0f0f0f, v33
	v_lshrrev_b32_e32 v33, 4, v33
	v_and_b32_e32 v33, 0xf0f0f0f, v33
	v_dot4c_i32_i8_e32 v36, v34, v5
	v_dot4c_i32_i8_e32 v36, v33, v6
	v_and_b32_e32 v5, 8, v11
	v_lshrrev_b32_e32 v6, 4, v11
	v_lshlrev_b32_e32 v11, 4, v11
	v_and_or_b32 v11, v11, s33, v63
	v_lshlrev_b32_e32 v11, 2, v11
	global_load_dword v11, v11, s[22:23]
	s_waitcnt vmcnt(0)
	v_and_b32_e32 v33, 0xf0f0f0f, v11
	v_lshrrev_b32_e32 v11, 4, v11
	v_and_b32_e32 v11, 0xf0f0f0f, v11
	v_dot4c_i32_i8_e32 v36, v33, v7
	v_dot4c_i32_i8_e32 v36, v11, v0
	global_load_ubyte v0, v[30:31], off offset:33
	v_bfe_u32 v7, v32, 16, 8
	s_waitcnt vmcnt(0)
	v_lshlrev_b32_e32 v11, 8, v0
	v_and_or_b32 v7, v11, s33, v7
	v_lshlrev_b32_e32 v7, 2, v7
	global_load_dword v7, v7, s[22:23]
	v_lshrrev_b32_e32 v30, 4, v0
	v_mov_b32_e32 v11, 0
	s_waitcnt vmcnt(0)
	v_and_b32_e32 v54, 0xf0f0f0f, v7
	v_lshrrev_b32_e32 v7, 4, v7
	v_and_b32_e32 v48, 0xf0f0f0f, v7
	v_and_b32_e32 v7, 8, v0
	v_lshlrev_b32_e32 v0, 4, v0
	v_and_or_b32 v0, v0, s33, v10
	v_lshlrev_b32_e32 v0, 2, v0
	global_load_dword v0, v0, s[22:23]
	v_dot4c_i32_i8_e32 v11, v54, v1
	v_dot4c_i32_i8_e32 v11, v48, v2
	v_cvt_f32_ubyte0_e32 v1, v5
	v_and_b32_e32 v2, 8, v68
	v_cvt_f32_ubyte0_e32 v2, v2
	v_and_b32_e32 v5, 8, v70
	s_waitcnt vmcnt(0)
	v_and_b32_e32 v37, 0xf0f0f0f, v0
	v_lshrrev_b32_e32 v0, 4, v0
	v_and_b32_e32 v43, 0xf0f0f0f, v0
	v_dot4c_i32_i8_e32 v11, v37, v3
	v_dot4c_i32_i8_e32 v11, v43, v65
	global_load_ushort v10, v[8:9], off offset:48
	global_load_ushort v34, v[8:9], off offset:50
	;; [unrolled: 1-line block ×5, first 2 shown]
	v_cvt_f32_ubyte0_e32 v0, v67
	v_and_b32_e32 v3, 8, v6
	v_pk_fma_f32 v[0:1], v[0:1], s[2:3], v[24:25] op_sel_hi:[1,0,0] neg_lo:[1,0,0] neg_hi:[1,0,0]
	v_cvt_f32_ubyte0_e32 v3, v3
	v_pk_fma_f32 v[0:1], v[0:1], v[44:45], 0 op_sel_hi:[1,0,0]
	v_pk_fma_f32 v[2:3], v[2:3], s[2:3], v[24:25] op_sel_hi:[1,0,0] neg_lo:[1,0,0] neg_hi:[1,0,0]
	v_and_b32_e32 v6, 8, v30
	v_pk_fma_f32 v[0:1], v[2:3], v[40:41], v[0:1] op_sel_hi:[1,0,1]
	v_cvt_f32_ubyte0_e32 v3, v7
	v_cvt_f32_ubyte0_e32 v7, v6
	;; [unrolled: 1-line block ×3, first 2 shown]
	v_pk_fma_f32 v[30:31], v[6:7], s[2:3], v[24:25] op_sel_hi:[1,0,0] neg_lo:[1,0,0] neg_hi:[1,0,0]
	v_cvt_f32_ubyte0_e32 v2, v27
	v_pk_fma_f32 v[32:33], v[2:3], s[2:3], v[24:25] op_sel_hi:[1,0,0] neg_lo:[1,0,0] neg_hi:[1,0,0]
	v_lshlrev_b32_e32 v44, 8, v61
	v_pk_fma_f32 v[2:3], v[32:33], v[42:43], 0 op_sel_hi:[1,0,0]
	v_and_or_b32 v41, v44, s33, v41
	v_pk_fma_f32 v[2:3], v[30:31], v[38:39], v[2:3] op_sel_hi:[1,0,1]
	v_lshlrev_b32_e32 v41, 2, v41
	s_waitcnt vmcnt(4)
	v_perm_b32 v5, v10, v26, s11
	s_waitcnt vmcnt(3)
	v_perm_b32 v6, v34, v71, s11
	v_pk_lshrrev_b16 v5, 12, v5 op_sel_hi:[0,1]
	v_pk_lshrrev_b16 v6, 8, v6 op_sel_hi:[0,1]
	v_and_or_b32 v5, v6, s35, v5
	s_waitcnt vmcnt(2)
	v_perm_b32 v6, v35, v72, s11
	v_pk_lshrrev_b16 v6, 4, v6 op_sel_hi:[0,1]
	s_waitcnt vmcnt(1)
	v_perm_b32 v7, v65, v73, s11
	v_and_b32_e32 v6, 0xf000f00, v6
	v_and_b32_e32 v35, 0xf000f000, v7
	v_or3_b32 v5, v5, v6, v35
	v_cvt_f32_f16_e32 v6, v5
	v_cvt_f32_f16_sdwa v7, v5 dst_sel:DWORD dst_unused:UNUSED_PAD src0_sel:WORD_1
	v_mov_b32_e32 v34, 0
	v_pk_mul_f32 v[4:5], v[4:5], v[6:7] op_sel_hi:[0,1]
	s_waitcnt vmcnt(0)
	v_perm_b32 v6, v75, v74, s11
	v_pk_lshrrev_b16 v6, v47, v6
	s_nop 0
	v_pk_lshlrev_b16 v7, 1, v6 op_sel_hi:[0,1]
	v_pk_lshrrev_b16 v6, 2, v6 op_sel_hi:[0,1]
	v_and_b32_e32 v6, 0xe000e, v6
	v_lshrrev_b32_e32 v8, 16, v7
	v_and_or_b32 v9, v7, 14, 1
	v_or_b32_e32 v10, 0x10001, v6
	v_cvt_f32_i32_e32 v7, v36
	v_cvt_f32_i32_e32 v6, v66
	v_and_or_b32 v8, v8, 14, 1
	v_cvt_f32_ubyte2_e32 v29, v10
	v_cvt_f32_ubyte0_e32 v28, v10
	v_pk_add_f32 v[0:1], v[0:1], v[6:7]
	v_cvt_f32_i32_e32 v7, v11
	v_cvt_f32_i32_e32 v6, v69
	v_cvt_f32_ubyte0_e32 v26, v9
	v_cvt_f32_ubyte0_e32 v27, v8
	v_pk_add_f32 v[2:3], v[2:3], v[6:7]
	s_nop 0
	v_pk_mul_f32 v[2:3], v[2:3], v[28:29]
	s_nop 0
	v_pk_fma_f32 v[6:7], v[0:1], v[26:27], v[2:3]
	scratch_load_dwordx4 v[0:3], off, off offset:48
	s_waitcnt vmcnt(0)
	v_pk_fma_f32 v[0:1], v[4:5], v[6:7], v[0:1]
	v_add_u32_e32 v4, s26, v49
	v_mad_u64_u32 v[4:5], s[36:37], v4, 36, s[24:25]
	v_mad_u64_u32 v[66:67], s[36:37], v14, 36, v[4:5]
	global_load_dwordx4 v[8:11], v[66:67], off
	global_load_dword v42, v[66:67], off offset:32
	global_load_dwordx4 v[4:7], v[66:67], off offset:16
	v_and_b32_e32 v66, 8, v61
	global_load_dword v41, v41, s[22:23]
	v_add_u32_e32 v49, 64, v49
	s_waitcnt vmcnt(3)
	v_dot4c_i32_i8_e32 v34, 0x1010101, v9
	v_dot4c_i32_i8_e32 v34, 0x1010101, v10
	v_cvt_f32_f16_e32 v8, v8
	s_waitcnt vmcnt(0)
	v_and_b32_e32 v44, 0xf0f0f0f, v41
	v_lshrrev_b32_e32 v41, 4, v41
	v_and_b32_e32 v65, 0xf0f0f0f, v41
	v_mov_b32_e32 v41, 0
	v_dot4c_i32_i8_e32 v41, v44, v9
	v_lshlrev_b32_e32 v44, 4, v61
	v_and_or_b32 v39, v44, s33, v39
	v_lshlrev_b32_e32 v39, 2, v39
	global_load_dword v39, v39, s[22:23]
	v_dot4c_i32_i8_e32 v41, v65, v10
	v_cvt_f32_i32_e32 v40, v34
	v_mov_b32_e32 v34, 0
	v_dot4c_i32_i8_e32 v34, 0x1010101, v11
	v_dot4c_i32_i8_e32 v34, 0x1010101, v4
	v_lshrrev_b32_e32 v65, 4, v61
	s_waitcnt vmcnt(0)
	v_and_b32_e32 v44, 0xf0f0f0f, v39
	v_dot4c_i32_i8_e32 v41, v44, v11
	v_lshlrev_b32_e32 v44, 8, v62
	v_and_or_b32 v44, v44, s33, v64
	v_lshlrev_b32_e32 v44, 2, v44
	global_load_dword v44, v44, s[22:23]
	v_lshrrev_b32_e32 v39, 4, v39
	v_and_b32_e32 v39, 0xf0f0f0f, v39
	v_dot4c_i32_i8_e32 v41, v39, v4
	v_mov_b32_e32 v39, 0
	v_dot4c_i32_i8_e32 v39, v45, v5
	v_dot4c_i32_i8_e32 v39, v46, v6
	v_cvt_f32_i32_e32 v38, v34
	v_mov_b32_e32 v34, 0
	v_dot4c_i32_i8_e32 v34, 0x1010101, v5
	v_dot4c_i32_i8_e32 v34, 0x1010101, v6
	;; [unrolled: 1-line block ×4, first 2 shown]
	s_waitcnt vmcnt(0)
	v_and_b32_e32 v45, 0xf0f0f0f, v44
	v_lshrrev_b32_e32 v44, 4, v44
	v_and_b32_e32 v46, 0xf0f0f0f, v44
	v_mov_b32_e32 v44, 0
	v_dot4c_i32_i8_e32 v44, v45, v9
	v_dot4c_i32_i8_e32 v44, v46, v10
	v_lshlrev_b32_e32 v10, 4, v62
	v_and_or_b32 v10, v10, s33, v63
	v_lshlrev_b32_e32 v10, 2, v10
	global_load_dword v10, v10, s[22:23]
	v_cvt_f32_i32_e32 v36, v34
	v_mov_b32_e32 v34, 0
	v_lshrrev_b32_e32 v9, 4, v62
	v_dot4c_i32_i8_e32 v34, 0x1010101, v7
	v_dot4c_i32_i8_e32 v34, 0x1010101, v42
	v_and_b32_e32 v45, 8, v62
	s_waitcnt vmcnt(0)
	v_and_b32_e32 v46, 0xf0f0f0f, v10
	v_lshrrev_b32_e32 v10, 4, v10
	v_and_b32_e32 v10, 0xf0f0f0f, v10
	v_dot4c_i32_i8_e32 v44, v46, v11
	v_dot4c_i32_i8_e32 v44, v10, v4
	v_mov_b32_e32 v10, 0
	v_dot4c_i32_i8_e32 v10, v54, v5
	v_dot4c_i32_i8_e32 v10, v48, v6
	;; [unrolled: 1-line block ×3, first 2 shown]
	v_and_b32_e32 v7, 8, v9
	v_perm_b32 v9, v60, v57, s11
	v_perm_b32 v11, v59, v56, s11
	v_pk_lshrrev_b16 v9, 12, v9 op_sel_hi:[0,1]
	v_pk_lshrrev_b16 v11, 8, v11 op_sel_hi:[0,1]
	v_cvt_f32_i32_e32 v34, v34
	v_cvt_f32_ubyte0_e32 v5, v45
	v_cvt_f32_ubyte0_e32 v4, v66
	v_and_b32_e32 v6, 8, v65
	v_and_or_b32 v9, v11, s35, v9
	v_perm_b32 v11, v58, v55, s11
	v_pk_fma_f32 v[4:5], v[4:5], s[2:3], v[24:25] op_sel_hi:[1,0,0] neg_lo:[1,0,0] neg_hi:[1,0,0]
	v_cvt_f32_ubyte0_e32 v7, v7
	v_cvt_f32_ubyte0_e32 v6, v6
	v_pk_lshrrev_b16 v11, 4, v11 op_sel_hi:[0,1]
	v_pk_fma_f32 v[4:5], v[4:5], v[40:41], 0 op_sel_hi:[1,0,0]
	v_pk_fma_f32 v[6:7], v[6:7], s[2:3], v[24:25] op_sel_hi:[1,0,0] neg_lo:[1,0,0] neg_hi:[1,0,0]
	v_and_b32_e32 v11, 0xf000f00, v11
	v_pk_fma_f32 v[4:5], v[6:7], v[38:39], v[4:5] op_sel_hi:[1,0,1]
	v_pk_fma_f32 v[6:7], v[32:33], v[36:37], 0 op_sel_hi:[1,0,0]
	v_or3_b32 v9, v9, v11, v35
	v_pk_fma_f32 v[6:7], v[30:31], v[34:35], v[6:7] op_sel_hi:[1,0,1]
	v_cvt_f32_f16_e32 v30, v9
	v_cvt_f32_f16_sdwa v31, v9 dst_sel:DWORD dst_unused:UNUSED_PAD src0_sel:WORD_1
	v_dot4c_i32_i8_e32 v10, v43, v42
	v_pk_mul_f32 v[8:9], v[8:9], v[30:31] op_sel_hi:[0,1]
	s_nop 1
	v_cvt_f32_i32_e32 v11, v10
	v_cvt_f32_i32_e32 v10, v39
	;; [unrolled: 1-line block ×4, first 2 shown]
	v_pk_add_f32 v[6:7], v[6:7], v[10:11]
	s_nop 0
	v_pk_mul_f32 v[6:7], v[6:7], v[28:29]
	v_pk_add_f32 v[4:5], v[4:5], v[30:31]
	s_nop 0
	v_pk_fma_f32 v[4:5], v[4:5], v[26:27], v[6:7]
	s_nop 0
	v_pk_fma_f32 v[2:3], v[8:9], v[4:5], v[2:3]
	scratch_store_dwordx4 off, v[0:3], off offset:48
	s_andn2_b64 exec, exec, s[12:13]
	s_cbranch_execnz .LBB227_2
.LBB227_3:
	s_or_b64 exec, exec, s[6:7]
	s_mov_b32 s5, 0
	v_cmp_eq_u32_e32 vcc, 0, v13
	s_waitcnt lgkmcnt(0)
	; wave barrier
	s_and_saveexec_b64 s[6:7], vcc
	s_cbranch_execz .LBB227_20
; %bb.4:
	scratch_load_dwordx2 v[2:3], off, off
	v_mbcnt_lo_u32_b32 v0, -1, 0
	v_mbcnt_hi_u32_b32 v13, -1, v0
	s_load_dwordx2 s[6:7], s[0:1], 0x38
	s_mul_i32 s0, s3, s14
	v_or_b32_e32 v1, s19, v12
	v_and_b32_e32 v0, 64, v13
	s_mul_i32 s4, s4, s18
	s_add_i32 s2, s0, s19
	v_cmp_gt_u32_e64 s[0:1], s10, v1
	v_xor_b32_e32 v1, 32, v13
	v_add_u32_e32 v14, 64, v0
	s_add_i32 s4, s2, s4
	v_cmp_lt_i32_e64 s[2:3], v1, v14
	v_cmp_gt_u32_e32 vcc, 2, v12
	s_nop 0
	v_cndmask_b32_e64 v0, v13, v1, s[2:3]
	v_lshlrev_b32_e32 v0, 2, v0
	v_xor_b32_e32 v1, 16, v13
	v_cmp_lt_i32_e64 s[2:3], v1, v14
	s_waitcnt vmcnt(0)
	ds_bpermute_b32 v4, v0, v2
	ds_bpermute_b32 v5, v0, v3
	v_cndmask_b32_e64 v1, v13, v1, s[2:3]
	v_lshlrev_b32_e32 v1, 2, v1
	s_waitcnt lgkmcnt(0)
	v_pk_add_f32 v[4:5], v[2:3], v[4:5]
	ds_bpermute_b32 v6, v1, v4
	ds_bpermute_b32 v7, v1, v5
	v_xor_b32_e32 v2, 8, v13
	v_cmp_lt_i32_e64 s[2:3], v2, v14
	v_xor_b32_e32 v3, 4, v13
	s_waitcnt lgkmcnt(0)
	v_pk_add_f32 v[4:5], v[4:5], v[6:7]
	v_cndmask_b32_e64 v2, v13, v2, s[2:3]
	v_lshlrev_b32_e32 v2, 2, v2
	ds_bpermute_b32 v6, v2, v4
	ds_bpermute_b32 v7, v2, v5
	v_cmp_lt_i32_e64 s[2:3], v3, v14
	s_waitcnt lgkmcnt(0)
	v_pk_add_f32 v[6:7], v[4:5], v[6:7]
	v_cndmask_b32_e64 v3, v13, v3, s[2:3]
	v_lshlrev_b32_e32 v3, 2, v3
	ds_bpermute_b32 v8, v3, v6
	ds_bpermute_b32 v9, v3, v7
	v_xor_b32_e32 v4, 2, v13
	v_cmp_lt_i32_e64 s[2:3], v4, v14
	v_xor_b32_e32 v5, 1, v13
	s_waitcnt lgkmcnt(0)
	v_pk_add_f32 v[8:9], v[6:7], v[8:9]
	v_cndmask_b32_e64 v4, v13, v4, s[2:3]
	v_lshlrev_b32_e32 v4, 2, v4
	ds_bpermute_b32 v10, v4, v8
	ds_bpermute_b32 v11, v4, v9
	v_cmp_lt_i32_e64 s[2:3], v5, v14
	s_waitcnt lgkmcnt(0)
	v_pk_add_f32 v[8:9], v[8:9], v[10:11]
	v_cndmask_b32_e64 v5, v13, v5, s[2:3]
	v_lshlrev_b32_e32 v6, 2, v5
	ds_bpermute_b32 v10, v6, v8
	ds_bpermute_b32 v11, v6, v9
	s_lshl_b64 s[2:3], s[4:5], 2
	s_add_u32 s2, s6, s2
	s_addc_u32 s3, s7, s3
	s_and_b64 s[0:1], vcc, s[0:1]
	s_waitcnt lgkmcnt(0)
	v_pk_add_f32 v[8:9], v[8:9], v[10:11]
	v_lshlrev_b32_e32 v5, 2, v12
	scratch_store_dwordx2 off, v[8:9], off
	s_and_saveexec_b64 s[4:5], s[0:1]
	s_cbranch_execz .LBB227_6
; %bb.5:
	scratch_load_dword v7, v5, off
	s_waitcnt vmcnt(0)
	global_store_dword v5, v7, s[2:3]
.LBB227_6:
	s_or_b64 exec, exec, s[4:5]
	scratch_load_dwordx2 v[8:9], off, off offset:8
	s_waitcnt vmcnt(0)
	ds_bpermute_b32 v10, v0, v8
	ds_bpermute_b32 v11, v0, v9
	s_waitcnt lgkmcnt(0)
	v_pk_add_f32 v[8:9], v[8:9], v[10:11]
	ds_bpermute_b32 v10, v1, v8
	ds_bpermute_b32 v11, v1, v9
	s_waitcnt lgkmcnt(0)
	v_pk_add_f32 v[8:9], v[8:9], v[10:11]
	;; [unrolled: 4-line block ×6, first 2 shown]
	scratch_store_dwordx2 off, v[8:9], off offset:8
	s_and_saveexec_b64 s[4:5], s[0:1]
	s_cbranch_execz .LBB227_8
; %bb.7:
	scratch_load_dword v7, v5, off offset:8
	v_add_u32_e32 v8, s10, v12
	v_mov_b32_e32 v9, 0
	v_lshl_add_u64 v[8:9], v[8:9], 2, s[2:3]
	s_waitcnt vmcnt(0)
	global_store_dword v[8:9], v7, off
.LBB227_8:
	s_or_b64 exec, exec, s[4:5]
	scratch_load_dwordx2 v[8:9], off, off offset:16
	s_waitcnt vmcnt(0)
	ds_bpermute_b32 v10, v0, v8
	ds_bpermute_b32 v11, v0, v9
	s_waitcnt lgkmcnt(0)
	v_pk_add_f32 v[8:9], v[8:9], v[10:11]
	ds_bpermute_b32 v10, v1, v8
	ds_bpermute_b32 v11, v1, v9
	s_waitcnt lgkmcnt(0)
	v_pk_add_f32 v[8:9], v[8:9], v[10:11]
	ds_bpermute_b32 v10, v2, v8
	ds_bpermute_b32 v11, v2, v9
	s_waitcnt lgkmcnt(0)
	v_pk_add_f32 v[8:9], v[8:9], v[10:11]
	ds_bpermute_b32 v10, v3, v8
	ds_bpermute_b32 v11, v3, v9
	s_waitcnt lgkmcnt(0)
	v_pk_add_f32 v[8:9], v[8:9], v[10:11]
	ds_bpermute_b32 v10, v4, v8
	ds_bpermute_b32 v11, v4, v9
	s_waitcnt lgkmcnt(0)
	v_pk_add_f32 v[8:9], v[8:9], v[10:11]
	ds_bpermute_b32 v10, v6, v8
	ds_bpermute_b32 v11, v6, v9
	s_waitcnt lgkmcnt(0)
	v_pk_add_f32 v[8:9], v[8:9], v[10:11]
	scratch_store_dwordx2 off, v[8:9], off offset:16
	s_and_saveexec_b64 s[4:5], s[0:1]
	s_cbranch_execz .LBB227_10
; %bb.9:
	scratch_load_dword v7, v5, off offset:16
	v_lshl_or_b32 v8, s10, 1, v12
	v_mov_b32_e32 v9, 0
	v_lshl_add_u64 v[8:9], v[8:9], 2, s[2:3]
	s_waitcnt vmcnt(0)
	global_store_dword v[8:9], v7, off
.LBB227_10:
	s_or_b64 exec, exec, s[4:5]
	scratch_load_dwordx2 v[8:9], off, off offset:24
	s_waitcnt vmcnt(0)
	ds_bpermute_b32 v10, v0, v8
	ds_bpermute_b32 v11, v0, v9
	s_waitcnt lgkmcnt(0)
	v_pk_add_f32 v[8:9], v[8:9], v[10:11]
	ds_bpermute_b32 v10, v1, v8
	ds_bpermute_b32 v11, v1, v9
	s_waitcnt lgkmcnt(0)
	v_pk_add_f32 v[8:9], v[8:9], v[10:11]
	ds_bpermute_b32 v10, v2, v8
	ds_bpermute_b32 v11, v2, v9
	s_waitcnt lgkmcnt(0)
	v_pk_add_f32 v[8:9], v[8:9], v[10:11]
	ds_bpermute_b32 v10, v3, v8
	ds_bpermute_b32 v11, v3, v9
	s_waitcnt lgkmcnt(0)
	v_pk_add_f32 v[8:9], v[8:9], v[10:11]
	ds_bpermute_b32 v10, v4, v8
	ds_bpermute_b32 v11, v4, v9
	s_waitcnt lgkmcnt(0)
	v_pk_add_f32 v[8:9], v[8:9], v[10:11]
	ds_bpermute_b32 v10, v6, v8
	ds_bpermute_b32 v11, v6, v9
	s_waitcnt lgkmcnt(0)
	v_pk_add_f32 v[8:9], v[8:9], v[10:11]
	scratch_store_dwordx2 off, v[8:9], off offset:24
	s_and_saveexec_b64 s[4:5], s[0:1]
	s_cbranch_execz .LBB227_12
; %bb.11:
	scratch_load_dword v7, v5, off offset:24
	v_mad_u64_u32 v[8:9], s[6:7], s10, 3, v[12:13]
	v_mov_b32_e32 v9, 0
	v_lshl_add_u64 v[8:9], v[8:9], 2, s[2:3]
	s_waitcnt vmcnt(0)
	global_store_dword v[8:9], v7, off
.LBB227_12:
	s_or_b64 exec, exec, s[4:5]
	scratch_load_dwordx2 v[8:9], off, off offset:32
	s_waitcnt vmcnt(0)
	ds_bpermute_b32 v10, v0, v8
	ds_bpermute_b32 v11, v0, v9
	s_waitcnt lgkmcnt(0)
	v_pk_add_f32 v[8:9], v[8:9], v[10:11]
	ds_bpermute_b32 v10, v1, v8
	ds_bpermute_b32 v11, v1, v9
	s_waitcnt lgkmcnt(0)
	v_pk_add_f32 v[8:9], v[8:9], v[10:11]
	;; [unrolled: 4-line block ×6, first 2 shown]
	scratch_store_dwordx2 off, v[8:9], off offset:32
	s_and_saveexec_b64 s[4:5], s[0:1]
	s_cbranch_execz .LBB227_14
; %bb.13:
	scratch_load_dword v7, v5, off offset:32
	v_lshl_or_b32 v8, s10, 2, v12
	v_mov_b32_e32 v9, 0
	v_lshl_add_u64 v[8:9], v[8:9], 2, s[2:3]
	s_waitcnt vmcnt(0)
	global_store_dword v[8:9], v7, off
.LBB227_14:
	s_or_b64 exec, exec, s[4:5]
	scratch_load_dwordx2 v[8:9], off, off offset:40
	s_waitcnt vmcnt(0)
	ds_bpermute_b32 v10, v0, v8
	ds_bpermute_b32 v11, v0, v9
	s_waitcnt lgkmcnt(0)
	v_pk_add_f32 v[8:9], v[8:9], v[10:11]
	ds_bpermute_b32 v10, v1, v8
	ds_bpermute_b32 v11, v1, v9
	s_waitcnt lgkmcnt(0)
	v_pk_add_f32 v[8:9], v[8:9], v[10:11]
	;; [unrolled: 4-line block ×6, first 2 shown]
	scratch_store_dwordx2 off, v[8:9], off offset:40
	s_and_saveexec_b64 s[4:5], s[0:1]
	s_cbranch_execz .LBB227_16
; %bb.15:
	scratch_load_dword v7, v5, off offset:40
	v_mad_u64_u32 v[8:9], s[6:7], s10, 5, v[12:13]
	v_mov_b32_e32 v9, 0
	v_lshl_add_u64 v[8:9], v[8:9], 2, s[2:3]
	s_waitcnt vmcnt(0)
	global_store_dword v[8:9], v7, off
.LBB227_16:
	s_or_b64 exec, exec, s[4:5]
	scratch_load_dwordx2 v[8:9], off, off offset:48
	s_waitcnt vmcnt(0)
	ds_bpermute_b32 v10, v0, v8
	ds_bpermute_b32 v11, v0, v9
	s_waitcnt lgkmcnt(0)
	v_pk_add_f32 v[8:9], v[8:9], v[10:11]
	ds_bpermute_b32 v10, v1, v8
	ds_bpermute_b32 v11, v1, v9
	s_waitcnt lgkmcnt(0)
	v_pk_add_f32 v[8:9], v[8:9], v[10:11]
	;; [unrolled: 4-line block ×6, first 2 shown]
	scratch_store_dwordx2 off, v[8:9], off offset:48
	s_and_saveexec_b64 s[4:5], s[0:1]
	s_cbranch_execz .LBB227_18
; %bb.17:
	scratch_load_dword v7, v5, off offset:48
	s_mul_i32 s6, s10, 6
	v_or_b32_e32 v8, s6, v12
	v_mov_b32_e32 v9, 0
	v_lshl_add_u64 v[8:9], v[8:9], 2, s[2:3]
	s_waitcnt vmcnt(0)
	global_store_dword v[8:9], v7, off
.LBB227_18:
	s_or_b64 exec, exec, s[4:5]
	scratch_load_dwordx2 v[8:9], off, off offset:56
	s_waitcnt vmcnt(0)
	ds_bpermute_b32 v10, v0, v8
	ds_bpermute_b32 v11, v0, v9
	s_waitcnt lgkmcnt(0)
	v_pk_add_f32 v[8:9], v[8:9], v[10:11]
	ds_bpermute_b32 v0, v1, v8
	ds_bpermute_b32 v1, v1, v9
	s_waitcnt lgkmcnt(0)
	v_pk_add_f32 v[0:1], v[8:9], v[0:1]
	;; [unrolled: 4-line block ×6, first 2 shown]
	scratch_store_dwordx2 off, v[0:1], off offset:56
	s_and_b64 exec, exec, s[0:1]
	s_cbranch_execz .LBB227_20
; %bb.19:
	scratch_load_dword v2, v5, off offset:56
	v_mad_u64_u32 v[0:1], s[0:1], s10, 7, v[12:13]
	v_mov_b32_e32 v1, 0
	v_lshl_add_u64 v[0:1], v[0:1], 2, s[2:3]
	s_waitcnt vmcnt(0)
	global_store_dword v[0:1], v2, off
.LBB227_20:
	s_endpgm
	.section	.rodata,"a",@progbits
	.p2align	6, 0x0
	.amdhsa_kernel _ZL13mul_mat_vec_qIL9ggml_type29ELi8ELb0ELb0EEvPKvS2_PKi31ggml_cuda_mm_fusion_args_devicePfj15HIP_vector_typeIjLj3EEjjjS8_jjjS8_jjjj
		.amdhsa_group_segment_fixed_size 0
		.amdhsa_private_segment_fixed_size 80
		.amdhsa_kernarg_size 144
		.amdhsa_user_sgpr_count 2
		.amdhsa_user_sgpr_dispatch_ptr 0
		.amdhsa_user_sgpr_queue_ptr 0
		.amdhsa_user_sgpr_kernarg_segment_ptr 1
		.amdhsa_user_sgpr_dispatch_id 0
		.amdhsa_user_sgpr_kernarg_preload_length 0
		.amdhsa_user_sgpr_kernarg_preload_offset 0
		.amdhsa_user_sgpr_private_segment_size 0
		.amdhsa_uses_dynamic_stack 0
		.amdhsa_enable_private_segment 1
		.amdhsa_system_sgpr_workgroup_id_x 1
		.amdhsa_system_sgpr_workgroup_id_y 1
		.amdhsa_system_sgpr_workgroup_id_z 1
		.amdhsa_system_sgpr_workgroup_info 0
		.amdhsa_system_vgpr_workitem_id 1
		.amdhsa_next_free_vgpr 94
		.amdhsa_next_free_sgpr 38
		.amdhsa_accum_offset 96
		.amdhsa_reserve_vcc 1
		.amdhsa_float_round_mode_32 0
		.amdhsa_float_round_mode_16_64 0
		.amdhsa_float_denorm_mode_32 3
		.amdhsa_float_denorm_mode_16_64 3
		.amdhsa_dx10_clamp 1
		.amdhsa_ieee_mode 1
		.amdhsa_fp16_overflow 0
		.amdhsa_tg_split 0
		.amdhsa_exception_fp_ieee_invalid_op 0
		.amdhsa_exception_fp_denorm_src 0
		.amdhsa_exception_fp_ieee_div_zero 0
		.amdhsa_exception_fp_ieee_overflow 0
		.amdhsa_exception_fp_ieee_underflow 0
		.amdhsa_exception_fp_ieee_inexact 0
		.amdhsa_exception_int_div_zero 0
	.end_amdhsa_kernel
	.section	.text._ZL13mul_mat_vec_qIL9ggml_type29ELi8ELb0ELb0EEvPKvS2_PKi31ggml_cuda_mm_fusion_args_devicePfj15HIP_vector_typeIjLj3EEjjjS8_jjjS8_jjjj,"axG",@progbits,_ZL13mul_mat_vec_qIL9ggml_type29ELi8ELb0ELb0EEvPKvS2_PKi31ggml_cuda_mm_fusion_args_devicePfj15HIP_vector_typeIjLj3EEjjjS8_jjjS8_jjjj,comdat
.Lfunc_end227:
	.size	_ZL13mul_mat_vec_qIL9ggml_type29ELi8ELb0ELb0EEvPKvS2_PKi31ggml_cuda_mm_fusion_args_devicePfj15HIP_vector_typeIjLj3EEjjjS8_jjjS8_jjjj, .Lfunc_end227-_ZL13mul_mat_vec_qIL9ggml_type29ELi8ELb0ELb0EEvPKvS2_PKi31ggml_cuda_mm_fusion_args_devicePfj15HIP_vector_typeIjLj3EEjjjS8_jjjS8_jjjj
                                        ; -- End function
	.section	.AMDGPU.csdata,"",@progbits
; Kernel info:
; codeLenInByte = 9928
; NumSgprs: 44
; NumVgprs: 94
; NumAgprs: 0
; TotalNumVgprs: 94
; ScratchSize: 80
; MemoryBound: 0
; FloatMode: 240
; IeeeMode: 1
; LDSByteSize: 0 bytes/workgroup (compile time only)
; SGPRBlocks: 5
; VGPRBlocks: 11
; NumSGPRsForWavesPerEU: 44
; NumVGPRsForWavesPerEU: 94
; AccumOffset: 96
; Occupancy: 5
; WaveLimiterHint : 0
; COMPUTE_PGM_RSRC2:SCRATCH_EN: 1
; COMPUTE_PGM_RSRC2:USER_SGPR: 2
; COMPUTE_PGM_RSRC2:TRAP_HANDLER: 0
; COMPUTE_PGM_RSRC2:TGID_X_EN: 1
; COMPUTE_PGM_RSRC2:TGID_Y_EN: 1
; COMPUTE_PGM_RSRC2:TGID_Z_EN: 1
; COMPUTE_PGM_RSRC2:TIDIG_COMP_CNT: 1
; COMPUTE_PGM_RSRC3_GFX90A:ACCUM_OFFSET: 23
; COMPUTE_PGM_RSRC3_GFX90A:TG_SPLIT: 0
	.section	.text._ZL17mul_mat_vec_q_moeIL9ggml_type20ELi2EEvPKvS2_PKiPfj15HIP_vector_typeIjLj3EEjjjjjjjjj,"axG",@progbits,_ZL17mul_mat_vec_q_moeIL9ggml_type20ELi2EEvPKvS2_PKiPfj15HIP_vector_typeIjLj3EEjjjjjjjjj,comdat
	.globl	_ZL17mul_mat_vec_q_moeIL9ggml_type20ELi2EEvPKvS2_PKiPfj15HIP_vector_typeIjLj3EEjjjjjjjjj ; -- Begin function _ZL17mul_mat_vec_q_moeIL9ggml_type20ELi2EEvPKvS2_PKiPfj15HIP_vector_typeIjLj3EEjjjjjjjjj
	.p2align	8
	.type	_ZL17mul_mat_vec_q_moeIL9ggml_type20ELi2EEvPKvS2_PKiPfj15HIP_vector_typeIjLj3EEjjjjjjjjj,@function
_ZL17mul_mat_vec_q_moeIL9ggml_type20ELi2EEvPKvS2_PKiPfj15HIP_vector_typeIjLj3EEjjjjjjjjj: ; @_ZL17mul_mat_vec_q_moeIL9ggml_type20ELi2EEvPKvS2_PKiPfj15HIP_vector_typeIjLj3EEjjjjjjjjj
; %bb.0:
	s_load_dwordx8 s[4:11], s[0:1], 0x30
	v_bfe_u32 v8, v0, 10, 10
	s_waitcnt lgkmcnt(0)
	v_cmp_gt_u32_e32 vcc, s11, v8
	s_and_saveexec_b64 s[12:13], vcc
	s_cbranch_execz .LBB228_7
; %bb.1:
	s_load_dword s11, s[0:1], 0x20
	s_load_dword s20, s[0:1], 0x50
	s_load_dwordx8 s[12:19], s[0:1], 0x0
	v_and_b32_e32 v9, 0x3ff, v0
	v_lshrrev_b32_e32 v10, 1, v9
	s_waitcnt lgkmcnt(0)
	s_lshr_b32 s11, s11, 5
	v_mov_b32_e32 v3, 0
	s_lshl_b32 s2, s2, 1
	v_cmp_gt_u32_e32 vcc, s11, v10
	v_mov_b32_e32 v2, v3
	s_and_saveexec_b64 s[24:25], vcc
	s_cbranch_execz .LBB228_5
; %bb.2:
	v_mul_lo_u32 v0, v8, s20
	v_mov_b32_e32 v2, s16
	v_mov_b32_e32 v3, s17
	v_add_u32_e32 v0, s3, v0
	v_mov_b32_e32 v1, 0
	v_lshl_add_u64 v[2:3], v[0:1], 2, v[2:3]
	global_load_dword v3, v[2:3], off
	s_load_dwordx4 s[20:23], s[0:1], 0x24
	v_mul_lo_u32 v0, v8, s6
	v_lshlrev_b32_e32 v2, 2, v9
	v_lshrrev_b32_e32 v14, 1, v9
	v_mad_u64_u32 v[6:7], s[26:27], v0, 36, 0
	s_waitcnt lgkmcnt(0)
	s_mul_hi_u32 s20, s20, s3
	s_add_i32 s20, s3, s20
	s_lshr_b32 s20, s20, s21
	s_mul_i32 s20, s20, s22
	s_sub_i32 s20, s3, s20
	s_mul_i32 s9, s20, s9
	s_mul_hi_u32 s20, s9, 36
	s_mul_i32 s9, s9, 36
	s_add_u32 s14, s14, s9
	s_addc_u32 s15, s15, s20
	s_add_i32 s9, s2, 1
	s_mul_i32 s28, s2, s5
	v_and_b32_e32 v13, 1, v9
	v_and_b32_e32 v4, 4, v2
	v_mad_u64_u32 v[6:7], s[26:27], v14, 36, v[6:7]
	s_mul_i32 s5, s5, s9
	s_mov_b64 s[0:1], 0
	s_mov_b32 s6, 0xf6eaddcf
	v_mov_b32_e32 v11, 0xbfad9881
	s_mov_b32 s23, 0x71594535
	v_mov_b32_e32 v12, 0x26190d01
	s_mov_b64 s[16:17], 0x480
	v_mov_b32_e32 v5, v1
	v_mov_b32_e32 v2, v1
	v_lshlrev_b32_e32 v0, 3, v13
	v_lshlrev_b32_e32 v4, 1, v4
	v_lshl_add_u64 v[6:7], s[14:15], 0, v[6:7]
	s_waitcnt vmcnt(0)
	v_mul_lo_u32 v3, v3, s8
	v_add_u32_e32 v13, s5, v3
	v_add_u32_e32 v14, s28, v3
	v_mov_b32_e32 v3, v1
.LBB228_3:                              ; =>This Inner Loop Header: Depth=1
	v_lshl_add_u64 v[16:17], v[6:7], 0, v[0:1]
	v_add_u32_e32 v22, v14, v10
	global_load_dword v15, v[6:7], off
	v_add_u32_e32 v23, v13, v10
	global_load_dwordx2 v[18:19], v[16:17], off offset:4
	global_load_dwordx2 v[20:21], v[16:17], off offset:20
	v_mad_i64_i32 v[16:17], s[8:9], v22, 18, s[12:13]
	v_mad_i64_i32 v[22:23], s[8:9], v23, 18, s[12:13]
	v_lshl_add_u64 v[24:25], v[16:17], 0, v[4:5]
	v_lshl_add_u64 v[26:27], v[22:23], 0, v[4:5]
	global_load_dword v28, v[24:25], off offset:2
	global_load_dword v29, v[24:25], off offset:6
	;; [unrolled: 1-line block ×4, first 2 shown]
	global_load_ushort v32, v[22:23], off
	global_load_ushort v33, v[16:17], off
	v_mov_b32_e32 v17, 0
	v_mov_b32_e32 v24, 0
	v_add_u32_e32 v10, 32, v10
	v_cmp_le_u32_e32 vcc, s11, v10
	v_lshl_add_u64 v[6:7], v[6:7], 0, s[16:17]
	s_or_b64 s[0:1], vcc, s[0:1]
	s_waitcnt vmcnt(8)
	v_cvt_f32_f16_e32 v16, v15
	s_waitcnt vmcnt(5)
	v_ashrrev_i32_e32 v15, 4, v28
	v_and_b32_e32 v25, 0x7070707, v28
	v_lshrrev_b32_e32 v26, 1, v28
	s_waitcnt vmcnt(4)
	v_ashrrev_i32_e32 v27, 4, v29
	v_and_b32_e32 v28, 0x7070707, v29
	v_lshrrev_b32_e32 v29, 1, v29
	;; [unrolled: 4-line block ×3, first 2 shown]
	s_waitcnt vmcnt(0)
	v_cvt_f32_f16_e32 v22, v33
	v_and_b32_e32 v33, 0x7070707, v15
	v_and_b32_e32 v26, 0x4040404, v26
	v_lshrrev_b32_e32 v15, 1, v15
	v_and_b32_e32 v39, 0x7070707, v27
	v_and_b32_e32 v29, 0x4040404, v29
	v_lshrrev_b32_e32 v27, 1, v27
	;; [unrolled: 3-line block ×3, first 2 shown]
	v_ashrrev_i32_e32 v36, 4, v31
	v_and_b32_e32 v37, 0x7070707, v31
	v_lshrrev_b32_e32 v31, 1, v31
	v_cvt_f32_f16_e32 v23, v32
	v_perm_b32 v32, s6, v11, v25
	v_perm_b32 v25, s23, v12, v25
	;; [unrolled: 1-line block ×6, first 2 shown]
	v_or_b32_e32 v26, 0x3020100, v26
	v_and_b32_e32 v15, 0x4040404, v15
	v_or_b32_e32 v29, 0x3020100, v29
	v_and_b32_e32 v27, 0x4040404, v27
	;; [unrolled: 2-line block ×3, first 2 shown]
	v_and_b32_e32 v43, 0x7070707, v36
	v_and_b32_e32 v31, 0x4040404, v31
	v_lshrrev_b32_e32 v36, 1, v36
	v_perm_b32 v44, s6, v11, v33
	v_perm_b32 v33, s23, v12, v33
	;; [unrolled: 1-line block ×7, first 2 shown]
	v_or_b32_e32 v15, 0x3020100, v15
	v_perm_b32 v26, v28, v38, v29
	v_or_b32_e32 v27, 0x3020100, v27
	v_perm_b32 v28, v35, v40, v30
	;; [unrolled: 2-line block ×3, first 2 shown]
	v_perm_b32 v37, s23, v12, v37
	v_or_b32_e32 v31, 0x3020100, v31
	v_and_b32_e32 v36, 0x4040404, v36
	v_perm_b32 v15, v33, v44, v15
	v_dot4c_i32_i8_e32 v17, v25, v18
	v_perm_b32 v25, v39, v45, v27
	v_perm_b32 v27, v41, v46, v29
	v_dot4c_i32_i8_e32 v24, v28, v18
	v_perm_b32 v47, s6, v11, v43
	v_perm_b32 v43, s23, v12, v43
	;; [unrolled: 1-line block ×3, first 2 shown]
	v_or_b32_e32 v31, 0x3020100, v36
	v_dot4c_i32_i8_e32 v17, v15, v20
	v_dot4c_i32_i8_e32 v24, v27, v20
	v_perm_b32 v18, v43, v47, v31
	v_dot4c_i32_i8_e32 v17, v26, v19
	v_dot4c_i32_i8_e32 v24, v30, v19
	v_dot4c_i32_i8_e32 v17, v25, v21
	v_dot4c_i32_i8_e32 v24, v18, v21
	s_nop 1
	v_cvt_f32_i32_e32 v18, v17
	v_cvt_f32_i32_e32 v19, v24
	v_pk_mul_f32 v[16:17], v[16:17], v[22:23] op_sel_hi:[0,1]
	v_pk_fma_f32 v[2:3], v[16:17], v[18:19], v[2:3]
	s_andn2_b64 exec, exec, s[0:1]
	s_cbranch_execnz .LBB228_3
; %bb.4:
	s_or_b64 exec, exec, s[0:1]
.LBB228_5:
	s_or_b64 exec, exec, s[24:25]
	v_mbcnt_lo_u32_b32 v0, -1, 0
	v_mbcnt_hi_u32_b32 v4, -1, v0
	v_and_b32_e32 v0, 64, v4
	v_add_u32_e32 v5, 64, v0
	v_xor_b32_e32 v0, 32, v4
	v_cmp_lt_i32_e32 vcc, v0, v5
	v_xor_b32_e32 v6, 16, v4
	s_nop 0
	v_cndmask_b32_e32 v0, v4, v0, vcc
	v_lshlrev_b32_e32 v1, 2, v0
	ds_bpermute_b32 v0, v1, v2
	ds_bpermute_b32 v1, v1, v3
	v_cmp_lt_i32_e32 vcc, v6, v5
	s_waitcnt lgkmcnt(0)
	v_pk_add_f32 v[0:1], v[2:3], v[0:1]
	v_cndmask_b32_e32 v6, v4, v6, vcc
	v_lshlrev_b32_e32 v6, 2, v6
	ds_bpermute_b32 v2, v6, v0
	ds_bpermute_b32 v3, v6, v1
	v_xor_b32_e32 v6, 8, v4
	v_cmp_lt_i32_e32 vcc, v6, v5
	s_waitcnt lgkmcnt(0)
	v_pk_add_f32 v[0:1], v[0:1], v[2:3]
	v_cndmask_b32_e32 v6, v4, v6, vcc
	v_lshlrev_b32_e32 v6, 2, v6
	ds_bpermute_b32 v2, v6, v0
	ds_bpermute_b32 v3, v6, v1
	v_xor_b32_e32 v6, 4, v4
	;; [unrolled: 8-line block ×4, first 2 shown]
	v_cmp_lt_i32_e32 vcc, v6, v5
	s_waitcnt lgkmcnt(0)
	v_pk_add_f32 v[0:1], v[0:1], v[2:3]
	v_cndmask_b32_e32 v4, v4, v6, vcc
	v_lshlrev_b32_e32 v4, 2, v4
	ds_bpermute_b32 v2, v4, v0
	ds_bpermute_b32 v3, v4, v1
	v_add_u32_e32 v4, s2, v9
	v_cmp_gt_u32_e32 vcc, 2, v9
	v_cmp_gt_u32_e64 s[0:1], s4, v4
	s_and_b64 s[0:1], vcc, s[0:1]
	s_and_b64 exec, exec, s[0:1]
	s_cbranch_execz .LBB228_7
; %bb.6:
	v_cmp_eq_u32_e32 vcc, 1, v9
	s_mul_i32 s3, s3, s10
	v_mov_b32_e32 v4, s18
	s_waitcnt lgkmcnt(0)
	v_cndmask_b32_e32 v2, v2, v3, vcc
	v_cndmask_b32_e32 v0, v0, v1, vcc
	v_add_f32_e32 v2, v0, v2
	v_mul_lo_u32 v0, v8, s7
	v_or_b32_e32 v1, s2, v9
	v_mov_b32_e32 v5, s19
	v_add3_u32 v0, v1, v0, s3
	v_mov_b32_e32 v1, 0
	v_lshl_add_u64 v[0:1], v[0:1], 2, v[4:5]
	global_store_dword v[0:1], v2, off
.LBB228_7:
	s_endpgm
	.section	.rodata,"a",@progbits
	.p2align	6, 0x0
	.amdhsa_kernel _ZL17mul_mat_vec_q_moeIL9ggml_type20ELi2EEvPKvS2_PKiPfj15HIP_vector_typeIjLj3EEjjjjjjjjj
		.amdhsa_group_segment_fixed_size 0
		.amdhsa_private_segment_fixed_size 0
		.amdhsa_kernarg_size 84
		.amdhsa_user_sgpr_count 2
		.amdhsa_user_sgpr_dispatch_ptr 0
		.amdhsa_user_sgpr_queue_ptr 0
		.amdhsa_user_sgpr_kernarg_segment_ptr 1
		.amdhsa_user_sgpr_dispatch_id 0
		.amdhsa_user_sgpr_kernarg_preload_length 0
		.amdhsa_user_sgpr_kernarg_preload_offset 0
		.amdhsa_user_sgpr_private_segment_size 0
		.amdhsa_uses_dynamic_stack 0
		.amdhsa_enable_private_segment 0
		.amdhsa_system_sgpr_workgroup_id_x 1
		.amdhsa_system_sgpr_workgroup_id_y 1
		.amdhsa_system_sgpr_workgroup_id_z 0
		.amdhsa_system_sgpr_workgroup_info 0
		.amdhsa_system_vgpr_workitem_id 1
		.amdhsa_next_free_vgpr 48
		.amdhsa_next_free_sgpr 29
		.amdhsa_accum_offset 48
		.amdhsa_reserve_vcc 1
		.amdhsa_float_round_mode_32 0
		.amdhsa_float_round_mode_16_64 0
		.amdhsa_float_denorm_mode_32 3
		.amdhsa_float_denorm_mode_16_64 3
		.amdhsa_dx10_clamp 1
		.amdhsa_ieee_mode 1
		.amdhsa_fp16_overflow 0
		.amdhsa_tg_split 0
		.amdhsa_exception_fp_ieee_invalid_op 0
		.amdhsa_exception_fp_denorm_src 0
		.amdhsa_exception_fp_ieee_div_zero 0
		.amdhsa_exception_fp_ieee_overflow 0
		.amdhsa_exception_fp_ieee_underflow 0
		.amdhsa_exception_fp_ieee_inexact 0
		.amdhsa_exception_int_div_zero 0
	.end_amdhsa_kernel
	.section	.text._ZL17mul_mat_vec_q_moeIL9ggml_type20ELi2EEvPKvS2_PKiPfj15HIP_vector_typeIjLj3EEjjjjjjjjj,"axG",@progbits,_ZL17mul_mat_vec_q_moeIL9ggml_type20ELi2EEvPKvS2_PKiPfj15HIP_vector_typeIjLj3EEjjjjjjjjj,comdat
.Lfunc_end228:
	.size	_ZL17mul_mat_vec_q_moeIL9ggml_type20ELi2EEvPKvS2_PKiPfj15HIP_vector_typeIjLj3EEjjjjjjjjj, .Lfunc_end228-_ZL17mul_mat_vec_q_moeIL9ggml_type20ELi2EEvPKvS2_PKiPfj15HIP_vector_typeIjLj3EEjjjjjjjjj
                                        ; -- End function
	.section	.AMDGPU.csdata,"",@progbits
; Kernel info:
; codeLenInByte = 1408
; NumSgprs: 35
; NumVgprs: 48
; NumAgprs: 0
; TotalNumVgprs: 48
; ScratchSize: 0
; MemoryBound: 0
; FloatMode: 240
; IeeeMode: 1
; LDSByteSize: 0 bytes/workgroup (compile time only)
; SGPRBlocks: 4
; VGPRBlocks: 5
; NumSGPRsForWavesPerEU: 35
; NumVGPRsForWavesPerEU: 48
; AccumOffset: 48
; Occupancy: 8
; WaveLimiterHint : 1
; COMPUTE_PGM_RSRC2:SCRATCH_EN: 0
; COMPUTE_PGM_RSRC2:USER_SGPR: 2
; COMPUTE_PGM_RSRC2:TRAP_HANDLER: 0
; COMPUTE_PGM_RSRC2:TGID_X_EN: 1
; COMPUTE_PGM_RSRC2:TGID_Y_EN: 1
; COMPUTE_PGM_RSRC2:TGID_Z_EN: 0
; COMPUTE_PGM_RSRC2:TIDIG_COMP_CNT: 1
; COMPUTE_PGM_RSRC3_GFX90A:ACCUM_OFFSET: 11
; COMPUTE_PGM_RSRC3_GFX90A:TG_SPLIT: 0
	.section	.text._ZL13mul_mat_vec_qIL9ggml_type20ELi1ELb1ELb1EEvPKvS2_PKi31ggml_cuda_mm_fusion_args_devicePfj15HIP_vector_typeIjLj3EEjjjS8_jjjS8_jjjj,"axG",@progbits,_ZL13mul_mat_vec_qIL9ggml_type20ELi1ELb1ELb1EEvPKvS2_PKi31ggml_cuda_mm_fusion_args_devicePfj15HIP_vector_typeIjLj3EEjjjS8_jjjS8_jjjj,comdat
	.globl	_ZL13mul_mat_vec_qIL9ggml_type20ELi1ELb1ELb1EEvPKvS2_PKi31ggml_cuda_mm_fusion_args_devicePfj15HIP_vector_typeIjLj3EEjjjS8_jjjS8_jjjj ; -- Begin function _ZL13mul_mat_vec_qIL9ggml_type20ELi1ELb1ELb1EEvPKvS2_PKi31ggml_cuda_mm_fusion_args_devicePfj15HIP_vector_typeIjLj3EEjjjS8_jjjS8_jjjj
	.p2align	8
	.type	_ZL13mul_mat_vec_qIL9ggml_type20ELi1ELb1ELb1EEvPKvS2_PKi31ggml_cuda_mm_fusion_args_devicePfj15HIP_vector_typeIjLj3EEjjjS8_jjjS8_jjjj,@function
_ZL13mul_mat_vec_qIL9ggml_type20ELi1ELb1ELb1EEvPKvS2_PKi31ggml_cuda_mm_fusion_args_devicePfj15HIP_vector_typeIjLj3EEjjjS8_jjjS8_jjjj: ; @_ZL13mul_mat_vec_qIL9ggml_type20ELi1ELb1ELb1EEvPKvS2_PKi31ggml_cuda_mm_fusion_args_devicePfj15HIP_vector_typeIjLj3EEjjjS8_jjjS8_jjjj
; %bb.0:
	s_load_dwordx8 s[16:23], s[2:3], 0x0
	s_load_dwordx4 s[36:39], s[2:3], 0x20
	s_load_dwordx4 s[40:43], s[2:3], 0x40
	;; [unrolled: 1-line block ×3, first 2 shown]
	s_mov_b32 s14, s5
	s_waitcnt lgkmcnt(0)
	s_cmp_lg_u64 s[20:21], 0
	s_cselect_b64 s[8:9], -1, 0
	s_cmp_eq_u64 s[20:21], 0
	s_mov_b64 s[10:11], 0
	s_cbranch_scc1 .LBB229_5
; %bb.1:
	s_mov_b32 s15, 0
	s_lshl_b64 s[12:13], s[14:15], 2
	s_add_u32 s12, s20, s12
	s_addc_u32 s13, s21, s13
	s_load_dword s44, s[12:13], 0x0
	s_load_dword s33, s[2:3], 0x50
	s_load_dword s45, s[2:3], 0x78
	s_andn2_b64 vcc, exec, s[10:11]
	s_cbranch_vccnz .LBB229_3
.LBB229_2:
	s_load_dwordx2 s[10:11], s[2:3], 0x5c
	s_waitcnt lgkmcnt(0)
	s_mul_hi_u32 s5, s10, s14
	s_add_i32 s5, s14, s5
	s_lshr_b32 s44, s5, s11
.LBB229_3:
	s_andn2_b64 vcc, exec, s[8:9]
	s_cbranch_vccnz .LBB229_6
; %bb.4:
	s_mul_hi_u32 s5, s41, s14
	s_add_i32 s5, s14, s5
	s_lshr_b32 s5, s5, s42
	s_mul_i32 s5, s5, s43
	s_sub_i32 s41, s14, s5
	s_waitcnt lgkmcnt(0)
	s_mov_b32 s15, s44
	s_branch .LBB229_7
.LBB229_5:
                                        ; implicit-def: $sgpr44
	s_load_dword s33, s[2:3], 0x50
	s_load_dword s45, s[2:3], 0x78
	s_branch .LBB229_2
.LBB229_6:
	s_mov_b32 s15, s14
	s_mov_b32 s41, s14
.LBB229_7:
	s_load_dword s7, s[2:3], 0x58
	s_load_dwordx4 s[28:31], s[2:3], 0x80
	s_lshl_b32 s20, s4, 1
	s_cmp_eq_u64 s[22:23], 0
	v_and_b32_e32 v15, 0x3ff, v0
	v_bfe_u32 v20, v0, 10, 10
	s_cselect_b64 s[8:9], -1, 0
	s_and_b64 vcc, exec, s[8:9]
	v_mov_b32_e32 v16, 0
	v_cmp_gt_u32_e64 s[4:5], 2, v15
	v_cmp_eq_u32_e64 s[10:11], 0, v20
	v_or_b32_e32 v1, s20, v15
	v_mov_b32_e32 v17, 0
	s_cbranch_vccnz .LBB229_11
; %bb.8:
	s_waitcnt lgkmcnt(0)
	v_cmp_gt_u32_e32 vcc, s7, v1
	s_and_b64 s[4:5], s[4:5], vcc
	s_mov_b32 s13, 0
	s_and_b64 s[10:11], s[4:5], s[10:11]
	v_mov_b32_e32 v17, 0
	s_and_saveexec_b64 s[4:5], s[10:11]
	s_cbranch_execz .LBB229_10
; %bb.9:
	s_mul_i32 s12, s6, s30
	s_lshl_b64 s[10:11], s[12:13], 2
	s_add_u32 s21, s22, s10
	s_mul_i32 s12, s15, s26
	s_addc_u32 s22, s23, s11
	s_lshl_b64 s[10:11], s[12:13], 2
	s_add_u32 s12, s21, s10
	s_addc_u32 s13, s22, s11
	s_ashr_i32 s21, s20, 31
	s_lshl_b64 s[10:11], s[20:21], 2
	s_add_u32 s10, s12, s10
	s_addc_u32 s11, s13, s11
	v_lshlrev_b32_e32 v2, 2, v15
	global_load_dword v17, v2, s[10:11]
.LBB229_10:
	s_or_b64 exec, exec, s[4:5]
.LBB229_11:
	s_cmp_lg_u64 s[36:37], 0
	s_cselect_b64 s[22:23], -1, 0
	s_cmp_lg_u64 s[38:39], 0
	s_cselect_b64 s[4:5], -1, 0
	s_and_b64 s[10:11], s[4:5], s[22:23]
	s_andn2_b64 vcc, exec, s[10:11]
	s_cbranch_vccnz .LBB229_15
; %bb.12:
	v_cmp_gt_u32_e32 vcc, 2, v15
	s_waitcnt lgkmcnt(0)
	v_cmp_gt_u32_e64 s[12:13], s7, v1
	v_cmp_eq_u32_e64 s[10:11], 0, v20
	s_and_b64 s[12:13], vcc, s[12:13]
	s_mov_b32 s35, 0
	s_and_b64 s[12:13], s[12:13], s[10:11]
	v_mov_b32_e32 v16, 0
	s_and_saveexec_b64 s[10:11], s[12:13]
	s_cbranch_execz .LBB229_14
; %bb.13:
	s_mul_i32 s34, s6, s30
	s_lshl_b64 s[12:13], s[34:35], 2
	s_add_u32 s21, s38, s12
	s_mul_i32 s34, s15, s26
	s_addc_u32 s31, s39, s13
	s_lshl_b64 s[12:13], s[34:35], 2
	s_add_u32 s15, s21, s12
	s_addc_u32 s31, s31, s13
	s_ashr_i32 s21, s20, 31
	s_lshl_b64 s[12:13], s[20:21], 2
	s_add_u32 s12, s15, s12
	s_addc_u32 s13, s31, s13
	v_lshlrev_b32_e32 v1, 2, v15
	global_load_dword v16, v1, s[12:13]
.LBB229_14:
	s_or_b64 exec, exec, s[10:11]
.LBB229_15:
	s_load_dwordx2 s[0:1], s[0:1], 0x4
	v_bfe_u32 v1, v0, 20, 10
	v_lshlrev_b32_e32 v0, 6, v20
	s_lshr_b32 s15, s40, 5
	v_mov_b32_e32 v23, 0
	s_waitcnt lgkmcnt(0)
	s_lshr_b32 s0, s0, 16
	v_mul_u32_u24_e32 v2, s1, v20
	s_mul_i32 s0, s0, s1
	v_mad_u32_u24 v2, s0, v15, v2
	v_add_lshl_u32 v1, v2, v1, 3
	v_add_u32_e32 v19, 0x800, v1
	v_add_u32_e32 v18, 0x400, v1
	v_add_u16_e32 v1, v0, v15
	v_lshrrev_b16_e32 v21, 1, v1
	v_cndmask_b32_e64 v1, 0, 1, s[22:23]
	v_cmp_gt_u32_e32 vcc, s15, v21
	v_lshlrev_b32_e32 v14, 2, v15
	v_cmp_ne_u32_e64 s[10:11], 1, v1
	v_mov_b32_e32 v25, 0
	v_mov_b32_e32 v24, 0
	;; [unrolled: 1-line block ×3, first 2 shown]
	ds_write2_b32 v19, v23, v23 offset1:1
	ds_write2_b32 v18, v23, v23 offset1:1
	s_and_saveexec_b64 s[0:1], vcc
	s_cbranch_execz .LBB229_23
; %bb.16:
	s_mul_hi_u32 s21, s27, s6
	s_add_i32 s21, s6, s21
	s_mul_i32 s12, s6, s29
	s_lshr_b32 s21, s21, s45
	s_mul_i32 s21, s21, s28
	s_mul_hi_u32 s28, s12, 36
	s_mul_i32 s12, s12, 36
	s_mul_i32 s13, s41, s25
	s_add_u32 s12, s18, s12
	s_mul_hi_u32 s27, s13, 36
	s_mul_i32 s13, s13, 36
	s_addc_u32 s18, s19, s28
	v_add_u32_e32 v4, v0, v15
	s_add_u32 s12, s12, s13
	v_lshrrev_b32_e32 v4, 1, v4
	s_addc_u32 s13, s18, s27
	v_mad_u64_u32 v[4:5], s[12:13], v4, 36, s[12:13]
	s_mul_i32 s24, s44, s24
	s_add_i32 s12, s20, 1
	v_and_b32_e32 v0, 4, v14
	v_mov_b32_e32 v1, 0
	s_mul_i32 s25, s20, s33
	v_and_b32_e32 v2, 1, v15
	s_add_i32 s24, s21, s24
	s_mul_i32 s33, s33, s12
	v_lshlrev_b32_e32 v2, 3, v2
	v_mov_b32_e32 v3, v1
	s_add_i32 s21, s24, s33
	s_add_i32 s24, s24, s25
	s_mov_b64 s[12:13], 0
	v_lshlrev_b32_e32 v0, 1, v0
	s_mov_b32 s25, 0xf6eaddcf
	s_mov_b32 s27, 0x71594535
	s_mov_b64 s[18:19], 0x900
	v_mov_b32_e32 v26, 0xbfad9881
	v_mov_b32_e32 v27, 0x26190d01
	;; [unrolled: 1-line block ×7, first 2 shown]
	s_branch .LBB229_18
.LBB229_17:                             ;   in Loop: Header=BB229_18 Depth=1
	s_waitcnt vmcnt(1)
	v_ashrrev_i32_e32 v32, 4, v12
	v_and_b32_e32 v33, 0x7070707, v12
	v_lshrrev_b32_e32 v12, 1, v12
	v_and_b32_e32 v35, 0x7070707, v32
	v_and_b32_e32 v12, 0x4040404, v12
	v_lshrrev_b32_e32 v32, 1, v32
	v_perm_b32 v34, s25, v26, v33
	v_perm_b32 v33, s27, v27, v33
	v_or_b32_e32 v12, 0x3020100, v12
	v_and_b32_e32 v32, 0x4040404, v32
	v_perm_b32 v36, s25, v26, v35
	v_perm_b32 v35, s27, v27, v35
	;; [unrolled: 1-line block ×3, first 2 shown]
	v_or_b32_e32 v32, 0x3020100, v32
	v_mov_b32_e32 v33, 0
	v_perm_b32 v32, v35, v36, v32
	v_dot4c_i32_i8_e32 v33, v12, v8
	v_dot4c_i32_i8_e32 v33, v32, v6
	v_ashrrev_i32_e32 v12, 4, v13
	v_and_b32_e32 v32, 0x7070707, v13
	v_lshrrev_b32_e32 v13, 1, v13
	v_and_b32_e32 v35, 0x7070707, v12
	v_and_b32_e32 v13, 0x4040404, v13
	v_lshrrev_b32_e32 v12, 1, v12
	v_perm_b32 v34, s25, v26, v32
	v_perm_b32 v32, s27, v27, v32
	v_or_b32_e32 v13, 0x3020100, v13
	v_and_b32_e32 v12, 0x4040404, v12
	v_perm_b32 v36, s25, v26, v35
	v_perm_b32 v35, s27, v27, v35
	;; [unrolled: 1-line block ×3, first 2 shown]
	v_or_b32_e32 v12, 0x3020100, v12
	v_perm_b32 v12, v35, v36, v12
	v_dot4c_i32_i8_e32 v33, v13, v9
	v_dot4c_i32_i8_e32 v33, v12, v7
	s_waitcnt vmcnt(0)
	v_cvt_f32_f16_e32 v12, v31
	v_ashrrev_i32_e32 v31, 4, v10
	v_and_b32_e32 v32, 0x7070707, v10
	v_lshrrev_b32_e32 v10, 1, v10
	v_and_b32_e32 v34, 0x7070707, v31
	v_and_b32_e32 v10, 0x4040404, v10
	v_lshrrev_b32_e32 v31, 1, v31
	v_cvt_f32_i32_e32 v13, v33
	v_perm_b32 v33, s25, v26, v32
	v_perm_b32 v32, s27, v27, v32
	v_or_b32_e32 v10, 0x3020100, v10
	v_and_b32_e32 v31, 0x4040404, v31
	v_perm_b32 v35, s25, v26, v34
	v_perm_b32 v34, s27, v27, v34
	;; [unrolled: 1-line block ×3, first 2 shown]
	v_or_b32_e32 v31, 0x3020100, v31
	v_mov_b32_e32 v32, 0
	v_perm_b32 v31, v34, v35, v31
	v_dot4c_i32_i8_e32 v32, v10, v8
	v_dot4c_i32_i8_e32 v32, v31, v6
	v_ashrrev_i32_e32 v6, 4, v11
	v_and_b32_e32 v8, 0x7070707, v11
	v_lshrrev_b32_e32 v11, 1, v11
	v_and_b32_e32 v31, 0x7070707, v6
	v_and_b32_e32 v11, 0x4040404, v11
	v_lshrrev_b32_e32 v6, 1, v6
	v_perm_b32 v10, s25, v26, v8
	v_perm_b32 v8, s27, v27, v8
	v_or_b32_e32 v11, 0x3020100, v11
	v_and_b32_e32 v6, 0x4040404, v6
	v_perm_b32 v33, s25, v26, v31
	v_perm_b32 v31, s27, v27, v31
	;; [unrolled: 1-line block ×3, first 2 shown]
	v_or_b32_e32 v6, 0x3020100, v6
	v_perm_b32 v6, v31, v33, v6
	v_dot4c_i32_i8_e32 v32, v8, v9
	v_dot4c_i32_i8_e32 v32, v6, v7
	v_cvt_f32_f16_e32 v6, v29
	v_add_u32_e32 v21, 64, v21
	v_mul_f32_e32 v8, v12, v28
	v_cvt_f32_i32_e32 v7, v32
	v_mul_f32_e32 v6, v6, v28
	v_cmp_le_u32_e32 vcc, s15, v21
	v_fmac_f32_e32 v24, v8, v13
	v_fmac_f32_e32 v23, v6, v7
	s_or_b64 s[12:13], vcc, s[12:13]
	v_lshl_add_u64 v[4:5], v[4:5], 0, s[18:19]
	s_andn2_b64 exec, exec, s[12:13]
	s_cbranch_execz .LBB229_22
.LBB229_18:                             ; =>This Inner Loop Header: Depth=1
	v_lshl_add_u64 v[10:11], v[4:5], 0, v[2:3]
	global_load_dwordx2 v[8:9], v[10:11], off offset:4
	global_load_dwordx2 v[6:7], v[10:11], off offset:20
	global_load_dword v13, v[4:5], off
	v_add_u32_e32 v12, s24, v21
	v_mad_i64_i32 v[32:33], s[28:29], v12, 18, s[16:17]
	v_lshl_add_u64 v[34:35], v[32:33], 0, v[0:1]
	global_load_dwordx2 v[10:11], v[34:35], off offset:2
	global_load_ushort v29, v[32:33], off
	s_and_b64 vcc, exec, s[10:11]
	s_waitcnt vmcnt(2)
	v_cvt_f32_f16_e32 v28, v13
	s_cbranch_vccnz .LBB229_20
; %bb.19:                               ;   in Loop: Header=BB229_18 Depth=1
	v_mad_i64_i32 v[12:13], s[28:29], v12, 18, s[36:37]
	v_lshl_add_u64 v[32:33], v[12:13], 0, v[0:1]
	global_load_dword v31, v[32:33], off offset:2
	global_load_dword v34, v[32:33], off offset:6
	global_load_ushort v35, v[12:13], off
	v_mov_b32_e32 v12, 0
	s_waitcnt vmcnt(2)
	v_ashrrev_i32_e32 v13, 4, v31
	v_and_b32_e32 v32, 0x7070707, v31
	v_lshrrev_b32_e32 v31, 1, v31
	v_and_b32_e32 v38, 0x7070707, v13
	v_and_b32_e32 v31, 0x4040404, v31
	v_lshrrev_b32_e32 v13, 1, v13
	s_waitcnt vmcnt(1)
	v_ashrrev_i32_e32 v33, 4, v34
	v_and_b32_e32 v36, 0x7070707, v34
	v_lshrrev_b32_e32 v34, 1, v34
	v_perm_b32 v37, s25, v26, v32
	v_perm_b32 v32, s27, v27, v32
	v_or_b32_e32 v31, 0x3020100, v31
	v_and_b32_e32 v13, 0x4040404, v13
	v_and_b32_e32 v40, 0x7070707, v33
	;; [unrolled: 1-line block ×3, first 2 shown]
	v_lshrrev_b32_e32 v33, 1, v33
	v_perm_b32 v41, s25, v26, v38
	v_perm_b32 v38, s27, v27, v38
	;; [unrolled: 1-line block ×3, first 2 shown]
	v_or_b32_e32 v13, 0x3020100, v13
	v_perm_b32 v39, s25, v26, v36
	v_perm_b32 v36, s27, v27, v36
	v_or_b32_e32 v34, 0x3020100, v34
	v_and_b32_e32 v33, 0x4040404, v33
	v_perm_b32 v13, v38, v41, v13
	v_dot4c_i32_i8_e32 v12, v31, v8
	v_perm_b32 v42, s25, v26, v40
	v_perm_b32 v40, s27, v27, v40
	;; [unrolled: 1-line block ×3, first 2 shown]
	v_or_b32_e32 v33, 0x3020100, v33
	v_dot4c_i32_i8_e32 v12, v13, v6
	v_perm_b32 v31, v40, v42, v33
	v_dot4c_i32_i8_e32 v12, v32, v9
	v_dot4c_i32_i8_e32 v12, v31, v7
	s_waitcnt vmcnt(0)
	v_cvt_f32_f16_e32 v13, v35
	v_mul_f32_e32 v13, v28, v13
	v_cvt_f32_i32_e32 v12, v12
	v_fmac_f32_e32 v25, v13, v12
.LBB229_20:                             ;   in Loop: Header=BB229_18 Depth=1
	v_add_u32_e32 v32, s21, v21
	v_mad_i64_i32 v[34:35], s[28:29], v32, 18, s[16:17]
	v_lshl_add_u64 v[36:37], v[34:35], 0, v[0:1]
	global_load_dwordx2 v[12:13], v[36:37], off offset:2
	global_load_ushort v31, v[34:35], off
	s_and_b64 vcc, exec, s[10:11]
	s_cbranch_vccnz .LBB229_17
; %bb.21:                               ;   in Loop: Header=BB229_18 Depth=1
	v_mad_i64_i32 v[32:33], s[28:29], v32, 18, s[36:37]
	v_lshl_add_u64 v[34:35], v[32:33], 0, v[0:1]
	global_load_dword v30, v[34:35], off offset:2
	global_load_dword v36, v[34:35], off offset:6
	global_load_ushort v37, v[32:33], off
	v_mov_b32_e32 v32, v1
	s_waitcnt vmcnt(2)
	v_ashrrev_i32_e32 v33, 4, v30
	v_and_b32_e32 v34, 0x7070707, v30
	v_lshrrev_b32_e32 v30, 1, v30
	v_and_b32_e32 v40, 0x7070707, v33
	v_and_b32_e32 v30, 0x4040404, v30
	v_lshrrev_b32_e32 v33, 1, v33
	s_waitcnt vmcnt(1)
	v_ashrrev_i32_e32 v35, 4, v36
	v_and_b32_e32 v38, 0x7070707, v36
	v_lshrrev_b32_e32 v36, 1, v36
	v_perm_b32 v39, s25, v26, v34
	v_perm_b32 v34, s27, v27, v34
	v_or_b32_e32 v30, 0x3020100, v30
	v_and_b32_e32 v33, 0x4040404, v33
	v_and_b32_e32 v42, 0x7070707, v35
	;; [unrolled: 1-line block ×3, first 2 shown]
	v_lshrrev_b32_e32 v35, 1, v35
	v_perm_b32 v43, s25, v26, v40
	v_perm_b32 v40, s27, v27, v40
	;; [unrolled: 1-line block ×3, first 2 shown]
	v_or_b32_e32 v33, 0x3020100, v33
	v_perm_b32 v41, s25, v26, v38
	v_perm_b32 v38, s27, v27, v38
	v_or_b32_e32 v36, 0x3020100, v36
	v_and_b32_e32 v35, 0x4040404, v35
	v_perm_b32 v33, v40, v43, v33
	v_dot4c_i32_i8_e32 v32, v30, v8
	v_perm_b32 v44, s25, v26, v42
	v_perm_b32 v42, s27, v27, v42
	;; [unrolled: 1-line block ×3, first 2 shown]
	v_or_b32_e32 v35, 0x3020100, v35
	v_dot4c_i32_i8_e32 v32, v33, v6
	v_perm_b32 v30, v42, v44, v35
	v_dot4c_i32_i8_e32 v32, v34, v9
	v_dot4c_i32_i8_e32 v32, v30, v7
	s_waitcnt vmcnt(0)
	v_cvt_f32_f16_e32 v30, v37
	v_mul_f32_e32 v30, v28, v30
	v_cvt_f32_i32_e32 v32, v32
	v_fmac_f32_e32 v22, v30, v32
	v_mov_b32_e32 v30, v22
	s_branch .LBB229_17
.LBB229_22:
	s_or_b64 exec, exec, s[12:13]
	ds_write2_b32 v19, v23, v24 offset1:1
	ds_write2_b32 v18, v25, v30 offset1:1
.LBB229_23:
	s_or_b64 exec, exec, s[0:1]
	s_load_dword s15, s[2:3], 0x30
	s_mov_b32 s16, 0
	v_cmp_eq_u32_e64 s[0:1], 0, v20
	v_cmp_ne_u32_e32 vcc, 0, v20
	s_and_saveexec_b64 s[12:13], vcc
	s_cbranch_execz .LBB229_28
; %bb.24:
	v_add_u32_e32 v0, -1, v20
	v_lshl_or_b32 v1, v0, 9, v14
	s_and_b64 vcc, exec, s[22:23]
	ds_write_b32 v1, v23
	s_cbranch_vccz .LBB229_26
; %bb.25:
	s_movk_i32 s16, 0x200
	ds_write2st64_b32 v1, v24, v25 offset0:1 offset1:2
	s_branch .LBB229_27
.LBB229_26:
	v_mov_b32_e32 v22, v24
.LBB229_27:
	v_lshlrev_b32_e32 v0, 9, v0
	v_add3_u32 v0, s16, v0, v14
	ds_write_b32 v0, v22 offset:256
.LBB229_28:
	s_or_b64 exec, exec, s[12:13]
	s_waitcnt lgkmcnt(0)
	s_barrier
	s_and_saveexec_b64 s[12:13], s[0:1]
	s_cbranch_execz .LBB229_61
; %bb.29:
	ds_read_b32 v1, v14
	ds_read_b32 v2, v19
	s_and_b64 vcc, exec, s[10:11]
	s_cbranch_vccnz .LBB229_31
; %bb.30:
	ds_read_b32 v0, v14 offset:512
	ds_read_b32 v3, v18
	s_waitcnt lgkmcnt(0)
	v_add_f32_e32 v0, v0, v3
	ds_write_b32 v18, v0
.LBB229_31:
	v_mbcnt_lo_u32_b32 v0, -1, 0
	v_mbcnt_hi_u32_b32 v5, -1, v0
	v_and_b32_e32 v0, 64, v5
	v_add_u32_e32 v6, 64, v0
	v_xor_b32_e32 v0, 32, v5
	v_cmp_lt_i32_e32 vcc, v0, v6
	s_waitcnt lgkmcnt(0)
	v_add_f32_e32 v2, v1, v2
	v_xor_b32_e32 v1, 16, v5
	v_cndmask_b32_e32 v0, v5, v0, vcc
	v_lshlrev_b32_e32 v0, 2, v0
	ds_bpermute_b32 v3, v0, v2
	v_cmp_lt_i32_e32 vcc, v1, v6
	v_xor_b32_e32 v9, 1, v5
	s_waitcnt lgkmcnt(0)
	v_add_f32_e32 v3, v2, v3
	v_cndmask_b32_e32 v1, v5, v1, vcc
	v_lshlrev_b32_e32 v1, 2, v1
	ds_bpermute_b32 v4, v1, v3
	v_xor_b32_e32 v2, 8, v5
	v_cmp_lt_i32_e32 vcc, v2, v6
	s_waitcnt lgkmcnt(0)
	v_add_f32_e32 v4, v3, v4
	v_cndmask_b32_e32 v2, v5, v2, vcc
	v_lshlrev_b32_e32 v2, 2, v2
	ds_bpermute_b32 v7, v2, v4
	v_xor_b32_e32 v3, 4, v5
	v_cmp_lt_i32_e32 vcc, v3, v6
	;; [unrolled: 7-line block ×3, first 2 shown]
	s_waitcnt lgkmcnt(0)
	v_add_f32_e32 v7, v7, v8
	v_cndmask_b32_e32 v4, v5, v4, vcc
	v_lshlrev_b32_e32 v4, 2, v4
	ds_bpermute_b32 v8, v4, v7
	v_cmp_lt_i32_e32 vcc, v9, v6
	s_waitcnt lgkmcnt(0)
	v_add_f32_e32 v6, v7, v8
	v_cndmask_b32_e32 v5, v5, v9, vcc
	v_lshlrev_b32_e32 v5, 2, v5
	ds_bpermute_b32 v7, v5, v6
	s_and_b64 vcc, exec, s[10:11]
	s_waitcnt lgkmcnt(0)
	v_add_f32_e32 v6, v6, v7
	ds_write_b32 v19, v6
	s_cbranch_vccnz .LBB229_33
; %bb.32:
	ds_read_b32 v6, v18
	s_waitcnt lgkmcnt(0)
	ds_bpermute_b32 v7, v0, v6
	s_waitcnt lgkmcnt(0)
	v_add_f32_e32 v6, v6, v7
	ds_bpermute_b32 v7, v1, v6
	s_waitcnt lgkmcnt(0)
	v_add_f32_e32 v6, v6, v7
	;; [unrolled: 3-line block ×6, first 2 shown]
	ds_write_b32 v18, v6
.LBB229_33:
	ds_read_b32 v6, v14 offset:256
	ds_read_b32 v7, v19 offset:4
	s_and_b64 vcc, exec, s[10:11]
	s_cbranch_vccnz .LBB229_35
; %bb.34:
	ds_read_b32 v8, v14 offset:768
	ds_read_b32 v9, v18 offset:4
	s_waitcnt lgkmcnt(0)
	v_add_f32_e32 v8, v8, v9
	ds_write_b32 v18, v8 offset:4
.LBB229_35:
	s_waitcnt lgkmcnt(0)
	v_add_f32_e32 v6, v6, v7
	ds_bpermute_b32 v7, v0, v6
	s_and_b64 vcc, exec, s[10:11]
	s_waitcnt lgkmcnt(0)
	v_add_f32_e32 v6, v6, v7
	ds_bpermute_b32 v7, v1, v6
	s_waitcnt lgkmcnt(0)
	v_add_f32_e32 v6, v6, v7
	ds_bpermute_b32 v7, v2, v6
	;; [unrolled: 3-line block ×5, first 2 shown]
	s_waitcnt lgkmcnt(0)
	v_add_f32_e32 v6, v6, v7
	ds_write_b32 v19, v6 offset:4
	s_cbranch_vccnz .LBB229_37
; %bb.36:
	ds_read_b32 v6, v18 offset:4
	s_waitcnt lgkmcnt(0)
	ds_bpermute_b32 v0, v0, v6
	s_waitcnt lgkmcnt(0)
	v_add_f32_e32 v0, v6, v0
	ds_bpermute_b32 v1, v1, v0
	s_waitcnt lgkmcnt(0)
	v_add_f32_e32 v0, v0, v1
	;; [unrolled: 3-line block ×6, first 2 shown]
	ds_write_b32 v18, v0 offset:4
.LBB229_37:
	v_add_u32_e32 v0, s20, v15
	v_cmp_gt_u32_e32 vcc, 2, v15
	v_cmp_gt_u32_e64 s[0:1], s7, v0
	s_and_b64 s[0:1], vcc, s[0:1]
	s_and_b64 exec, exec, s[0:1]
	s_cbranch_execz .LBB229_61
; %bb.38:
	v_lshl_add_u32 v0, v15, 2, v19
	ds_read_b32 v0, v0
	s_and_b64 vcc, exec, s[10:11]
	s_waitcnt vmcnt(0) lgkmcnt(0)
	v_add_f32_e32 v1, v17, v0
	v_cndmask_b32_e64 v0, v1, v0, s[8:9]
	s_cbranch_vccnz .LBB229_60
; %bb.39:
	v_lshl_add_u32 v1, v15, 2, v18
	ds_read_b32 v1, v1
	s_cmp_lt_i32 s15, 2
	s_mov_b64 s[0:1], 0
	s_waitcnt lgkmcnt(0)
	v_add_f32_e32 v2, v16, v1
	v_cndmask_b32_e64 v1, v1, v2, s[4:5]
	s_cbranch_scc1 .LBB229_43
; %bb.40:
	s_cmp_gt_i32 s15, 2
	s_cbranch_scc0 .LBB229_44
; %bb.41:
	s_cmp_eq_u32 s15, 3
	s_cbranch_scc0 .LBB229_45
; %bb.42:
	v_max_f32_e32 v2, v1, v1
	v_min_f32_e32 v4, 0x40e00000, v2
	v_mul_f32_e32 v3, 0xbfd9db23, v4
	s_mov_b32 s4, 0x3fb8aa3b
	v_mul_f32_e32 v2, 0x3fb8aa3b, v3
	v_fma_f32 v5, v3, s4, -v2
	v_rndne_f32_e32 v6, v2
	v_fmamk_f32 v5, v3, 0x32a5705f, v5
	v_sub_f32_e32 v2, v2, v6
	v_add_f32_e32 v2, v2, v5
	v_exp_f32_e32 v5, v2
	v_cvt_i32_f32_e32 v6, v6
	s_mov_b32 s4, 0xc2ce8ed0
	v_max_f32_e32 v2, v0, v0
	v_cmp_ngt_f32_e32 vcc, s4, v3
	v_ldexp_f32 v5, v5, v6
	s_mov_b32 s4, 0x42b17218
	v_min_f32_e32 v2, 0x40e00000, v2
	v_cndmask_b32_e32 v5, 0, v5, vcc
	v_mov_b32_e32 v6, 0x7f800000
	v_cmp_nlt_f32_e32 vcc, s4, v3
	v_max_f32_e32 v2, 0xc0e00000, v2
	s_nop 0
	v_cndmask_b32_e32 v3, v6, v5, vcc
	v_pk_add_f32 v[2:3], v[2:3], 1.0 op_sel_hi:[1,0]
	s_nop 0
	v_div_scale_f32 v5, s[4:5], v3, v3, v4
	v_rcp_f32_e32 v6, v5
	s_mov_b64 s[4:5], 0
	v_fma_f32 v7, -v5, v6, 1.0
	v_fmac_f32_e32 v6, v7, v6
	v_div_scale_f32 v7, vcc, v4, v3, v4
	v_mul_f32_e32 v8, v7, v6
	v_fma_f32 v9, -v5, v8, v7
	v_fmac_f32_e32 v8, v9, v6
	v_fma_f32 v5, -v5, v8, v7
	v_div_fmas_f32 v5, v5, v6, v8
	v_div_fixup_f32 v3, v5, v3, v4
	v_mul_f32_e32 v2, v2, v3
	s_branch .LBB229_46
.LBB229_43:
                                        ; implicit-def: $vgpr2
	s_mov_b64 s[4:5], 0
	s_cbranch_execnz .LBB229_50
	s_branch .LBB229_51
.LBB229_44:
	s_mov_b64 s[8:9], -1
	s_mov_b64 s[4:5], 0
                                        ; implicit-def: $vgpr2
	s_branch .LBB229_47
.LBB229_45:
	s_mov_b64 s[4:5], -1
                                        ; implicit-def: $vgpr2
.LBB229_46:
	s_mov_b64 s[8:9], 0
.LBB229_47:
	s_and_b64 vcc, exec, s[8:9]
	s_cbranch_vccz .LBB229_49
; %bb.48:
	v_mul_f32_e32 v2, 0xbfb8aa3b, v1
	s_mov_b32 s7, 0xbfb8aa3b
	v_rndne_f32_e32 v3, v2
	v_sub_f32_e32 v4, v2, v3
	v_fma_f32 v2, v1, s7, -v2
	v_fmamk_f32 v2, v1, 0xb2a5705f, v2
	v_add_f32_e32 v2, v4, v2
	v_exp_f32_e32 v2, v2
	v_cvt_i32_f32_e32 v3, v3
	s_mov_b32 s7, 0x42ce8ed0
	v_cmp_nlt_f32_e32 vcc, s7, v1
	s_mov_b32 s7, 0xc2b17218
	v_ldexp_f32 v2, v2, v3
	v_cndmask_b32_e32 v2, 0, v2, vcc
	v_mov_b32_e32 v3, 0x7f800000
	v_cmp_ngt_f32_e32 vcc, s7, v1
	s_nop 1
	v_cndmask_b32_e32 v2, v3, v2, vcc
	v_add_f32_e32 v2, 1.0, v2
	v_div_scale_f32 v3, s[8:9], v2, v2, v1
	v_rcp_f32_e32 v4, v3
	s_nop 0
	v_fma_f32 v5, -v3, v4, 1.0
	v_fmac_f32_e32 v4, v5, v4
	v_div_scale_f32 v5, vcc, v1, v2, v1
	v_mul_f32_e32 v6, v5, v4
	v_fma_f32 v7, -v3, v6, v5
	v_fmac_f32_e32 v6, v7, v4
	v_fma_f32 v3, -v3, v6, v5
	v_div_fmas_f32 v3, v3, v4, v6
	v_div_fixup_f32 v2, v3, v2, v1
	v_mul_f32_e32 v2, v0, v2
.LBB229_49:
	s_branch .LBB229_51
.LBB229_50:
	s_cmp_lg_u32 s15, 1
	s_mov_b64 s[0:1], -1
	s_cselect_b64 s[4:5], -1, 0
                                        ; implicit-def: $vgpr2
.LBB229_51:
	s_andn2_b64 vcc, exec, s[4:5]
	s_cbranch_vccz .LBB229_53
; %bb.52:
	s_andn2_b64 vcc, exec, s[0:1]
	s_cbranch_vccz .LBB229_54
	s_branch .LBB229_59
.LBB229_53:
	v_mul_f32_e32 v2, v0, v1
	s_cbranch_execnz .LBB229_59
.LBB229_54:
	v_mul_f32_e32 v3, 0x3d372713, v1
	v_mul_f32_e32 v2, 0x3f4c422a, v1
	v_fma_f32 v3, v1, v3, 1.0
	v_mul_f32_e32 v2, v2, v3
	s_mov_b32 s0, 0x3f200000
	v_cmp_nlt_f32_e64 s[0:1], |v2|, s0
                                        ; implicit-def: $vgpr3
	s_and_saveexec_b64 s[4:5], s[0:1]
	s_xor_b64 s[0:1], exec, s[4:5]
	s_cbranch_execz .LBB229_56
; %bb.55:
	v_add_f32_e64 v3, |v2|, |v2|
	v_mul_f32_e32 v4, 0x3fb8aa3b, v3
	s_mov_b32 s4, 0x3fb8aa3b
	v_rndne_f32_e32 v5, v4
	v_sub_f32_e32 v6, v4, v5
	v_fma_f32 v4, v3, s4, -v4
	v_fmamk_f32 v4, v3, 0x32a5705f, v4
	v_add_f32_e32 v4, v6, v4
	v_exp_f32_e32 v4, v4
	v_cvt_i32_f32_e32 v5, v5
	s_mov_b32 s4, 0xc2ce8ed0
	v_cmp_ngt_f32_e32 vcc, s4, v3
	s_mov_b32 s4, 0x42b17218
	v_ldexp_f32 v4, v4, v5
	v_cndmask_b32_e32 v4, 0, v4, vcc
	v_mov_b32_e32 v5, 0x7f800000
	v_cmp_nlt_f32_e32 vcc, s4, v3
	s_nop 1
	v_cndmask_b32_e32 v3, v5, v4, vcc
	v_add_f32_e32 v3, 1.0, v3
	v_rcp_f32_e32 v3, v3
	s_nop 0
	v_fma_f32 v3, v3, -2.0, 1.0
.LBB229_56:
	s_andn2_saveexec_b64 s[0:1], s[0:1]
; %bb.57:
	v_mul_f32_e32 v3, v2, v2
	v_mov_b32_e32 v4, 0x3ca908c9
	v_fmac_f32_e32 v4, 0xbbbac73d, v3
	v_fmaak_f32 v4, v3, v4, 0xbd5c1c4e
	v_fmaak_f32 v4, v3, v4, 0x3e088382
	;; [unrolled: 1-line block ×3, first 2 shown]
	v_mul_f32_e64 v4, |v2|, v4
	v_fma_f32 v3, v3, v4, |v2|
; %bb.58:
	s_or_b64 exec, exec, s[0:1]
	s_brev_b32 s0, -2
	v_bfi_b32 v2, s0, v3, v2
	v_mul_f32_e32 v1, 0.5, v1
	v_add_f32_e32 v2, 1.0, v2
	v_mul_f32_e32 v1, v1, v2
	v_mul_f32_e32 v2, v0, v1
.LBB229_59:
	v_mov_b32_e32 v0, v2
.LBB229_60:
	s_load_dwordx2 s[0:1], s[2:3], 0x38
	s_mul_i32 s4, s14, s26
	s_mul_i32 s6, s6, s30
	s_add_i32 s2, s4, s20
	s_add_i32 s2, s2, s6
	s_mov_b32 s3, 0
	s_lshl_b64 s[2:3], s[2:3], 2
	s_waitcnt lgkmcnt(0)
	s_add_u32 s0, s0, s2
	s_addc_u32 s1, s1, s3
	global_store_dword v14, v0, s[0:1]
.LBB229_61:
	s_endpgm
	.section	.rodata,"a",@progbits
	.p2align	6, 0x0
	.amdhsa_kernel _ZL13mul_mat_vec_qIL9ggml_type20ELi1ELb1ELb1EEvPKvS2_PKi31ggml_cuda_mm_fusion_args_devicePfj15HIP_vector_typeIjLj3EEjjjS8_jjjS8_jjjj
		.amdhsa_group_segment_fixed_size 3072
		.amdhsa_private_segment_fixed_size 0
		.amdhsa_kernarg_size 144
		.amdhsa_user_sgpr_count 4
		.amdhsa_user_sgpr_dispatch_ptr 1
		.amdhsa_user_sgpr_queue_ptr 0
		.amdhsa_user_sgpr_kernarg_segment_ptr 1
		.amdhsa_user_sgpr_dispatch_id 0
		.amdhsa_user_sgpr_kernarg_preload_length 0
		.amdhsa_user_sgpr_kernarg_preload_offset 0
		.amdhsa_user_sgpr_private_segment_size 0
		.amdhsa_uses_dynamic_stack 0
		.amdhsa_enable_private_segment 0
		.amdhsa_system_sgpr_workgroup_id_x 1
		.amdhsa_system_sgpr_workgroup_id_y 1
		.amdhsa_system_sgpr_workgroup_id_z 1
		.amdhsa_system_sgpr_workgroup_info 0
		.amdhsa_system_vgpr_workitem_id 2
		.amdhsa_next_free_vgpr 45
		.amdhsa_next_free_sgpr 46
		.amdhsa_accum_offset 48
		.amdhsa_reserve_vcc 1
		.amdhsa_float_round_mode_32 0
		.amdhsa_float_round_mode_16_64 0
		.amdhsa_float_denorm_mode_32 3
		.amdhsa_float_denorm_mode_16_64 3
		.amdhsa_dx10_clamp 1
		.amdhsa_ieee_mode 1
		.amdhsa_fp16_overflow 0
		.amdhsa_tg_split 0
		.amdhsa_exception_fp_ieee_invalid_op 0
		.amdhsa_exception_fp_denorm_src 0
		.amdhsa_exception_fp_ieee_div_zero 0
		.amdhsa_exception_fp_ieee_overflow 0
		.amdhsa_exception_fp_ieee_underflow 0
		.amdhsa_exception_fp_ieee_inexact 0
		.amdhsa_exception_int_div_zero 0
	.end_amdhsa_kernel
	.section	.text._ZL13mul_mat_vec_qIL9ggml_type20ELi1ELb1ELb1EEvPKvS2_PKi31ggml_cuda_mm_fusion_args_devicePfj15HIP_vector_typeIjLj3EEjjjS8_jjjS8_jjjj,"axG",@progbits,_ZL13mul_mat_vec_qIL9ggml_type20ELi1ELb1ELb1EEvPKvS2_PKi31ggml_cuda_mm_fusion_args_devicePfj15HIP_vector_typeIjLj3EEjjjS8_jjjS8_jjjj,comdat
.Lfunc_end229:
	.size	_ZL13mul_mat_vec_qIL9ggml_type20ELi1ELb1ELb1EEvPKvS2_PKi31ggml_cuda_mm_fusion_args_devicePfj15HIP_vector_typeIjLj3EEjjjS8_jjjS8_jjjj, .Lfunc_end229-_ZL13mul_mat_vec_qIL9ggml_type20ELi1ELb1ELb1EEvPKvS2_PKi31ggml_cuda_mm_fusion_args_devicePfj15HIP_vector_typeIjLj3EEjjjS8_jjjS8_jjjj
                                        ; -- End function
	.section	.AMDGPU.csdata,"",@progbits
; Kernel info:
; codeLenInByte = 3968
; NumSgprs: 52
; NumVgprs: 45
; NumAgprs: 0
; TotalNumVgprs: 45
; ScratchSize: 0
; MemoryBound: 0
; FloatMode: 240
; IeeeMode: 1
; LDSByteSize: 3072 bytes/workgroup (compile time only)
; SGPRBlocks: 6
; VGPRBlocks: 5
; NumSGPRsForWavesPerEU: 52
; NumVGPRsForWavesPerEU: 45
; AccumOffset: 48
; Occupancy: 8
; WaveLimiterHint : 0
; COMPUTE_PGM_RSRC2:SCRATCH_EN: 0
; COMPUTE_PGM_RSRC2:USER_SGPR: 4
; COMPUTE_PGM_RSRC2:TRAP_HANDLER: 0
; COMPUTE_PGM_RSRC2:TGID_X_EN: 1
; COMPUTE_PGM_RSRC2:TGID_Y_EN: 1
; COMPUTE_PGM_RSRC2:TGID_Z_EN: 1
; COMPUTE_PGM_RSRC2:TIDIG_COMP_CNT: 2
; COMPUTE_PGM_RSRC3_GFX90A:ACCUM_OFFSET: 11
; COMPUTE_PGM_RSRC3_GFX90A:TG_SPLIT: 0
	.section	.text._ZL13mul_mat_vec_qIL9ggml_type20ELi1ELb0ELb1EEvPKvS2_PKi31ggml_cuda_mm_fusion_args_devicePfj15HIP_vector_typeIjLj3EEjjjS8_jjjS8_jjjj,"axG",@progbits,_ZL13mul_mat_vec_qIL9ggml_type20ELi1ELb0ELb1EEvPKvS2_PKi31ggml_cuda_mm_fusion_args_devicePfj15HIP_vector_typeIjLj3EEjjjS8_jjjS8_jjjj,comdat
	.globl	_ZL13mul_mat_vec_qIL9ggml_type20ELi1ELb0ELb1EEvPKvS2_PKi31ggml_cuda_mm_fusion_args_devicePfj15HIP_vector_typeIjLj3EEjjjS8_jjjS8_jjjj ; -- Begin function _ZL13mul_mat_vec_qIL9ggml_type20ELi1ELb0ELb1EEvPKvS2_PKi31ggml_cuda_mm_fusion_args_devicePfj15HIP_vector_typeIjLj3EEjjjS8_jjjS8_jjjj
	.p2align	8
	.type	_ZL13mul_mat_vec_qIL9ggml_type20ELi1ELb0ELb1EEvPKvS2_PKi31ggml_cuda_mm_fusion_args_devicePfj15HIP_vector_typeIjLj3EEjjjS8_jjjS8_jjjj,@function
_ZL13mul_mat_vec_qIL9ggml_type20ELi1ELb0ELb1EEvPKvS2_PKi31ggml_cuda_mm_fusion_args_devicePfj15HIP_vector_typeIjLj3EEjjjS8_jjjS8_jjjj: ; @_ZL13mul_mat_vec_qIL9ggml_type20ELi1ELb0ELb1EEvPKvS2_PKi31ggml_cuda_mm_fusion_args_devicePfj15HIP_vector_typeIjLj3EEjjjS8_jjjS8_jjjj
; %bb.0:
	s_load_dwordx2 s[8:9], s[2:3], 0x10
	s_load_dwordx4 s[16:19], s[2:3], 0x40
	s_mov_b32 s20, s5
	s_mov_b64 s[14:15], 0
	s_waitcnt lgkmcnt(0)
	s_cmp_lg_u64 s[8:9], 0
	s_cselect_b64 s[12:13], -1, 0
	s_cmp_eq_u64 s[8:9], 0
	s_cbranch_scc1 .LBB230_5
; %bb.1:
	s_mov_b32 s21, 0
	s_lshl_b64 s[10:11], s[20:21], 2
	s_add_u32 s8, s8, s10
	s_addc_u32 s9, s9, s11
	s_load_dword s21, s[8:9], 0x0
	s_nop 0
	s_load_dwordx4 s[8:11], s[2:3], 0x68
	s_load_dword s5, s[2:3], 0x50
	s_andn2_b64 vcc, exec, s[14:15]
	s_cbranch_vccnz .LBB230_3
.LBB230_2:
	s_load_dwordx2 s[14:15], s[2:3], 0x5c
	s_waitcnt lgkmcnt(0)
	s_mul_hi_u32 s7, s14, s20
	s_add_i32 s7, s20, s7
	s_lshr_b32 s21, s7, s15
.LBB230_3:
	s_load_dword s22, s[2:3], 0x78
	s_andn2_b64 vcc, exec, s[12:13]
	s_cbranch_vccnz .LBB230_6
; %bb.4:
	s_mul_hi_u32 s7, s17, s20
	s_add_i32 s7, s20, s7
	s_lshr_b32 s7, s7, s18
	s_mul_i32 s7, s7, s19
	s_sub_i32 s23, s20, s7
	s_branch .LBB230_7
.LBB230_5:
                                        ; implicit-def: $sgpr21
	s_load_dwordx4 s[8:11], s[2:3], 0x68
	s_load_dword s5, s[2:3], 0x50
	s_branch .LBB230_2
.LBB230_6:
	s_mov_b32 s23, s20
.LBB230_7:
	s_load_dwordx2 s[18:19], s[0:1], 0x4
	s_load_dwordx4 s[12:15], s[2:3], 0x80
	v_bfe_u32 v11, v0, 10, 10
	v_and_b32_e32 v10, 0x3ff, v0
	v_bfe_u32 v0, v0, 20, 10
	s_waitcnt lgkmcnt(0)
	s_lshr_b32 s0, s18, 16
	v_mul_u32_u24_e32 v1, s19, v11
	s_mul_i32 s0, s0, s19
	v_mad_u32_u24 v1, s0, v10, v1
	v_add_lshl_u32 v1, v1, v0, 3
	v_lshlrev_b32_e32 v0, 6, v11
	v_mov_b32_e32 v3, 0
	v_add_u32_e32 v8, 0x200, v1
	ds_write2_b32 v1, v3, v3 offset0:128 offset1:129
	v_add_u16_e32 v1, v0, v10
	s_lshr_b32 s15, s16, 5
	v_lshrrev_b16_e32 v12, 1, v1
	s_lshl_b32 s7, s4, 1
	v_cmp_gt_u32_e32 vcc, s15, v12
	v_lshlrev_b32_e32 v9, 2, v10
	v_mov_b32_e32 v2, v3
	s_and_saveexec_b64 s[0:1], vcc
	s_cbranch_execz .LBB230_11
; %bb.8:
	s_load_dwordx4 s[16:19], s[2:3], 0x0
	s_mul_i32 s4, s6, s13
	s_mul_i32 s13, s21, s8
	s_mul_hi_u32 s8, s11, s6
	s_add_i32 s8, s6, s8
	s_lshr_b32 s8, s8, s22
	s_mul_i32 s11, s8, s12
	s_mul_hi_u32 s8, s4, 36
	s_mul_i32 s4, s4, 36
	s_mul_i32 s9, s23, s9
	s_waitcnt lgkmcnt(0)
	s_add_u32 s4, s18, s4
	s_mul_hi_u32 s21, s9, 36
	s_mul_i32 s9, s9, 36
	s_addc_u32 s18, s19, s8
	v_add_u32_e32 v3, v0, v10
	s_add_u32 s8, s4, s9
	v_lshrrev_b32_e32 v3, 1, v3
	s_addc_u32 s9, s18, s21
	v_mad_u64_u32 v[4:5], s[8:9], v3, 36, s[8:9]
	s_add_i32 s8, s7, 1
	v_and_b32_e32 v2, 4, v9
	v_mov_b32_e32 v1, 0
	s_mul_i32 s12, s7, s5
	v_and_b32_e32 v0, 1, v10
	s_add_i32 s4, s11, s13
	s_mul_i32 s5, s5, s8
	v_lshlrev_b32_e32 v0, 3, v0
	s_add_i32 s11, s4, s5
	s_add_i32 s12, s4, s12
	s_mov_b64 s[4:5], 0
	v_lshlrev_b32_e32 v6, 1, v2
	v_mov_b32_e32 v7, v1
	s_mov_b32 s13, 0xf6eaddcf
	v_mov_b32_e32 v13, 0xbfad9881
	s_mov_b32 s18, 0x71594535
	v_mov_b32_e32 v14, 0x26190d01
	s_mov_b64 s[8:9], 0x900
	v_mov_b32_e32 v2, v1
	v_mov_b32_e32 v3, v1
.LBB230_9:                              ; =>This Inner Loop Header: Depth=1
	v_lshl_add_u64 v[16:17], v[4:5], 0, v[0:1]
	v_add_u32_e32 v22, s12, v12
	global_load_dword v15, v[4:5], off
	v_add_u32_e32 v23, s11, v12
	global_load_dwordx2 v[18:19], v[16:17], off offset:4
	global_load_dwordx2 v[20:21], v[16:17], off offset:20
	v_mad_i64_i32 v[16:17], s[22:23], v22, 18, s[16:17]
	v_mad_i64_i32 v[22:23], s[22:23], v23, 18, s[16:17]
	v_lshl_add_u64 v[24:25], v[16:17], 0, v[6:7]
	v_lshl_add_u64 v[26:27], v[22:23], 0, v[6:7]
	global_load_dword v28, v[24:25], off offset:2
	global_load_dword v29, v[24:25], off offset:6
	;; [unrolled: 1-line block ×4, first 2 shown]
	global_load_ushort v32, v[22:23], off
	global_load_ushort v33, v[16:17], off
	v_mov_b32_e32 v17, 0
	v_mov_b32_e32 v24, 0
	v_add_u32_e32 v12, 64, v12
	v_cmp_le_u32_e32 vcc, s15, v12
	v_lshl_add_u64 v[4:5], v[4:5], 0, s[8:9]
	s_or_b64 s[4:5], vcc, s[4:5]
	s_waitcnt vmcnt(8)
	v_cvt_f32_f16_e32 v16, v15
	s_waitcnt vmcnt(5)
	v_ashrrev_i32_e32 v15, 4, v28
	v_and_b32_e32 v25, 0x7070707, v28
	v_lshrrev_b32_e32 v26, 1, v28
	s_waitcnt vmcnt(4)
	v_ashrrev_i32_e32 v27, 4, v29
	v_and_b32_e32 v28, 0x7070707, v29
	v_lshrrev_b32_e32 v29, 1, v29
	;; [unrolled: 4-line block ×3, first 2 shown]
	s_waitcnt vmcnt(0)
	v_cvt_f32_f16_e32 v22, v33
	v_and_b32_e32 v33, 0x7070707, v15
	v_and_b32_e32 v26, 0x4040404, v26
	v_lshrrev_b32_e32 v15, 1, v15
	v_and_b32_e32 v39, 0x7070707, v27
	v_and_b32_e32 v29, 0x4040404, v29
	v_lshrrev_b32_e32 v27, 1, v27
	;; [unrolled: 3-line block ×3, first 2 shown]
	v_ashrrev_i32_e32 v36, 4, v31
	v_and_b32_e32 v37, 0x7070707, v31
	v_lshrrev_b32_e32 v31, 1, v31
	v_cvt_f32_f16_e32 v23, v32
	v_perm_b32 v32, s13, v13, v25
	v_perm_b32 v25, s18, v14, v25
	;; [unrolled: 1-line block ×6, first 2 shown]
	v_or_b32_e32 v26, 0x3020100, v26
	v_and_b32_e32 v15, 0x4040404, v15
	v_or_b32_e32 v29, 0x3020100, v29
	v_and_b32_e32 v27, 0x4040404, v27
	;; [unrolled: 2-line block ×3, first 2 shown]
	v_and_b32_e32 v43, 0x7070707, v36
	v_and_b32_e32 v31, 0x4040404, v31
	v_lshrrev_b32_e32 v36, 1, v36
	v_perm_b32 v44, s13, v13, v33
	v_perm_b32 v33, s18, v14, v33
	;; [unrolled: 1-line block ×7, first 2 shown]
	v_or_b32_e32 v15, 0x3020100, v15
	v_perm_b32 v26, v28, v38, v29
	v_or_b32_e32 v27, 0x3020100, v27
	v_perm_b32 v28, v35, v40, v30
	;; [unrolled: 2-line block ×3, first 2 shown]
	v_perm_b32 v37, s18, v14, v37
	v_or_b32_e32 v31, 0x3020100, v31
	v_and_b32_e32 v36, 0x4040404, v36
	v_perm_b32 v15, v33, v44, v15
	v_dot4c_i32_i8_e32 v17, v25, v18
	v_perm_b32 v25, v39, v45, v27
	v_perm_b32 v27, v41, v46, v29
	v_dot4c_i32_i8_e32 v24, v28, v18
	v_perm_b32 v47, s13, v13, v43
	v_perm_b32 v43, s18, v14, v43
	;; [unrolled: 1-line block ×3, first 2 shown]
	v_or_b32_e32 v31, 0x3020100, v36
	v_dot4c_i32_i8_e32 v17, v15, v20
	v_dot4c_i32_i8_e32 v24, v27, v20
	v_perm_b32 v18, v43, v47, v31
	v_dot4c_i32_i8_e32 v17, v26, v19
	v_dot4c_i32_i8_e32 v24, v30, v19
	;; [unrolled: 1-line block ×4, first 2 shown]
	s_nop 1
	v_cvt_f32_i32_e32 v18, v17
	v_cvt_f32_i32_e32 v19, v24
	v_pk_mul_f32 v[16:17], v[16:17], v[22:23] op_sel_hi:[0,1]
	v_pk_fma_f32 v[2:3], v[16:17], v[18:19], v[2:3]
	s_andn2_b64 exec, exec, s[4:5]
	s_cbranch_execnz .LBB230_9
; %bb.10:
	s_or_b64 exec, exec, s[4:5]
	ds_write2_b32 v8, v2, v3 offset1:1
.LBB230_11:
	s_or_b64 exec, exec, s[0:1]
	v_cmp_eq_u32_e32 vcc, 0, v11
	v_cmp_ne_u32_e64 s[0:1], 0, v11
	s_and_saveexec_b64 s[4:5], s[0:1]
	s_cbranch_execz .LBB230_13
; %bb.12:
	v_lshl_or_b32 v0, v11, 9, v9
	v_add_u32_e32 v0, 0xfffffe00, v0
	ds_write2st64_b32 v0, v2, v3 offset1:1
.LBB230_13:
	s_or_b64 exec, exec, s[4:5]
	s_waitcnt lgkmcnt(0)
	s_barrier
	s_and_saveexec_b64 s[0:1], vcc
	s_cbranch_execz .LBB230_16
; %bb.14:
	v_mbcnt_lo_u32_b32 v0, -1, 0
	v_mbcnt_hi_u32_b32 v4, -1, v0
	v_and_b32_e32 v0, 64, v4
	v_add_u32_e32 v5, 64, v0
	ds_read2st64_b32 v[0:1], v9 offset1:1
	ds_read2_b32 v[2:3], v8 offset1:1
	v_xor_b32_e32 v6, 32, v4
	v_cmp_lt_i32_e32 vcc, v6, v5
	s_load_dword s0, s[2:3], 0x58
	s_mov_b32 s5, 0
	v_cndmask_b32_e32 v6, v4, v6, vcc
	v_lshlrev_b32_e32 v6, 2, v6
	s_waitcnt lgkmcnt(0)
	v_pk_add_f32 v[0:1], v[0:1], v[2:3]
	ds_bpermute_b32 v2, v6, v0
	ds_bpermute_b32 v3, v6, v1
	v_xor_b32_e32 v6, 16, v4
	v_cmp_lt_i32_e32 vcc, v6, v5
	s_waitcnt lgkmcnt(0)
	v_pk_add_f32 v[0:1], v[0:1], v[2:3]
	v_cndmask_b32_e32 v6, v4, v6, vcc
	v_lshlrev_b32_e32 v6, 2, v6
	ds_bpermute_b32 v2, v6, v0
	ds_bpermute_b32 v3, v6, v1
	v_xor_b32_e32 v6, 8, v4
	v_cmp_lt_i32_e32 vcc, v6, v5
	s_waitcnt lgkmcnt(0)
	v_pk_add_f32 v[0:1], v[0:1], v[2:3]
	v_cndmask_b32_e32 v6, v4, v6, vcc
	v_lshlrev_b32_e32 v6, 2, v6
	;; [unrolled: 8-line block ×5, first 2 shown]
	ds_bpermute_b32 v2, v4, v0
	ds_bpermute_b32 v3, v4, v1
	v_cmp_gt_u32_e32 vcc, 2, v10
	s_waitcnt lgkmcnt(0)
	v_pk_add_f32 v[0:1], v[0:1], v[2:3]
	ds_write2_b32 v8, v0, v1 offset1:1
	v_or_b32_e32 v0, s7, v10
	v_cmp_gt_u32_e64 s[0:1], s0, v0
	s_and_b64 s[0:1], vcc, s[0:1]
	s_and_b64 exec, exec, s[0:1]
	s_cbranch_execz .LBB230_16
; %bb.15:
	s_load_dwordx2 s[0:1], s[2:3], 0x38
	s_mul_i32 s2, s20, s10
	v_add_u32_e32 v0, v8, v9
	s_add_i32 s2, s2, s7
	s_mul_i32 s6, s6, s14
	ds_read_b32 v0, v0
	s_add_i32 s4, s2, s6
	s_lshl_b64 s[2:3], s[4:5], 2
	s_waitcnt lgkmcnt(0)
	s_add_u32 s0, s0, s2
	s_addc_u32 s1, s1, s3
	global_store_dword v9, v0, s[0:1]
.LBB230_16:
	s_endpgm
	.section	.rodata,"a",@progbits
	.p2align	6, 0x0
	.amdhsa_kernel _ZL13mul_mat_vec_qIL9ggml_type20ELi1ELb0ELb1EEvPKvS2_PKi31ggml_cuda_mm_fusion_args_devicePfj15HIP_vector_typeIjLj3EEjjjS8_jjjS8_jjjj
		.amdhsa_group_segment_fixed_size 1536
		.amdhsa_private_segment_fixed_size 0
		.amdhsa_kernarg_size 144
		.amdhsa_user_sgpr_count 4
		.amdhsa_user_sgpr_dispatch_ptr 1
		.amdhsa_user_sgpr_queue_ptr 0
		.amdhsa_user_sgpr_kernarg_segment_ptr 1
		.amdhsa_user_sgpr_dispatch_id 0
		.amdhsa_user_sgpr_kernarg_preload_length 0
		.amdhsa_user_sgpr_kernarg_preload_offset 0
		.amdhsa_user_sgpr_private_segment_size 0
		.amdhsa_uses_dynamic_stack 0
		.amdhsa_enable_private_segment 0
		.amdhsa_system_sgpr_workgroup_id_x 1
		.amdhsa_system_sgpr_workgroup_id_y 1
		.amdhsa_system_sgpr_workgroup_id_z 1
		.amdhsa_system_sgpr_workgroup_info 0
		.amdhsa_system_vgpr_workitem_id 2
		.amdhsa_next_free_vgpr 48
		.amdhsa_next_free_sgpr 24
		.amdhsa_accum_offset 48
		.amdhsa_reserve_vcc 1
		.amdhsa_float_round_mode_32 0
		.amdhsa_float_round_mode_16_64 0
		.amdhsa_float_denorm_mode_32 3
		.amdhsa_float_denorm_mode_16_64 3
		.amdhsa_dx10_clamp 1
		.amdhsa_ieee_mode 1
		.amdhsa_fp16_overflow 0
		.amdhsa_tg_split 0
		.amdhsa_exception_fp_ieee_invalid_op 0
		.amdhsa_exception_fp_denorm_src 0
		.amdhsa_exception_fp_ieee_div_zero 0
		.amdhsa_exception_fp_ieee_overflow 0
		.amdhsa_exception_fp_ieee_underflow 0
		.amdhsa_exception_fp_ieee_inexact 0
		.amdhsa_exception_int_div_zero 0
	.end_amdhsa_kernel
	.section	.text._ZL13mul_mat_vec_qIL9ggml_type20ELi1ELb0ELb1EEvPKvS2_PKi31ggml_cuda_mm_fusion_args_devicePfj15HIP_vector_typeIjLj3EEjjjS8_jjjS8_jjjj,"axG",@progbits,_ZL13mul_mat_vec_qIL9ggml_type20ELi1ELb0ELb1EEvPKvS2_PKi31ggml_cuda_mm_fusion_args_devicePfj15HIP_vector_typeIjLj3EEjjjS8_jjjS8_jjjj,comdat
.Lfunc_end230:
	.size	_ZL13mul_mat_vec_qIL9ggml_type20ELi1ELb0ELb1EEvPKvS2_PKi31ggml_cuda_mm_fusion_args_devicePfj15HIP_vector_typeIjLj3EEjjjS8_jjjS8_jjjj, .Lfunc_end230-_ZL13mul_mat_vec_qIL9ggml_type20ELi1ELb0ELb1EEvPKvS2_PKi31ggml_cuda_mm_fusion_args_devicePfj15HIP_vector_typeIjLj3EEjjjS8_jjjS8_jjjj
                                        ; -- End function
	.section	.AMDGPU.csdata,"",@progbits
; Kernel info:
; codeLenInByte = 1692
; NumSgprs: 30
; NumVgprs: 48
; NumAgprs: 0
; TotalNumVgprs: 48
; ScratchSize: 0
; MemoryBound: 0
; FloatMode: 240
; IeeeMode: 1
; LDSByteSize: 1536 bytes/workgroup (compile time only)
; SGPRBlocks: 3
; VGPRBlocks: 5
; NumSGPRsForWavesPerEU: 30
; NumVGPRsForWavesPerEU: 48
; AccumOffset: 48
; Occupancy: 8
; WaveLimiterHint : 0
; COMPUTE_PGM_RSRC2:SCRATCH_EN: 0
; COMPUTE_PGM_RSRC2:USER_SGPR: 4
; COMPUTE_PGM_RSRC2:TRAP_HANDLER: 0
; COMPUTE_PGM_RSRC2:TGID_X_EN: 1
; COMPUTE_PGM_RSRC2:TGID_Y_EN: 1
; COMPUTE_PGM_RSRC2:TGID_Z_EN: 1
; COMPUTE_PGM_RSRC2:TIDIG_COMP_CNT: 2
; COMPUTE_PGM_RSRC3_GFX90A:ACCUM_OFFSET: 11
; COMPUTE_PGM_RSRC3_GFX90A:TG_SPLIT: 0
	.section	.text._ZL13mul_mat_vec_qIL9ggml_type20ELi1ELb1ELb0EEvPKvS2_PKi31ggml_cuda_mm_fusion_args_devicePfj15HIP_vector_typeIjLj3EEjjjS8_jjjS8_jjjj,"axG",@progbits,_ZL13mul_mat_vec_qIL9ggml_type20ELi1ELb1ELb0EEvPKvS2_PKi31ggml_cuda_mm_fusion_args_devicePfj15HIP_vector_typeIjLj3EEjjjS8_jjjS8_jjjj,comdat
	.globl	_ZL13mul_mat_vec_qIL9ggml_type20ELi1ELb1ELb0EEvPKvS2_PKi31ggml_cuda_mm_fusion_args_devicePfj15HIP_vector_typeIjLj3EEjjjS8_jjjS8_jjjj ; -- Begin function _ZL13mul_mat_vec_qIL9ggml_type20ELi1ELb1ELb0EEvPKvS2_PKi31ggml_cuda_mm_fusion_args_devicePfj15HIP_vector_typeIjLj3EEjjjS8_jjjS8_jjjj
	.p2align	8
	.type	_ZL13mul_mat_vec_qIL9ggml_type20ELi1ELb1ELb0EEvPKvS2_PKi31ggml_cuda_mm_fusion_args_devicePfj15HIP_vector_typeIjLj3EEjjjS8_jjjS8_jjjj,@function
_ZL13mul_mat_vec_qIL9ggml_type20ELi1ELb1ELb0EEvPKvS2_PKi31ggml_cuda_mm_fusion_args_devicePfj15HIP_vector_typeIjLj3EEjjjS8_jjjS8_jjjj: ; @_ZL13mul_mat_vec_qIL9ggml_type20ELi1ELb1ELb0EEvPKvS2_PKi31ggml_cuda_mm_fusion_args_devicePfj15HIP_vector_typeIjLj3EEjjjS8_jjjS8_jjjj
; %bb.0:
	s_load_dwordx8 s[16:23], s[0:1], 0x0
	s_load_dwordx4 s[36:39], s[0:1], 0x20
	s_load_dwordx4 s[8:11], s[0:1], 0x40
	;; [unrolled: 1-line block ×3, first 2 shown]
	s_mov_b32 s14, s3
	s_waitcnt lgkmcnt(0)
	s_cmp_lg_u64 s[20:21], 0
	s_cselect_b64 s[6:7], -1, 0
	s_cmp_eq_u64 s[20:21], 0
	s_mov_b64 s[12:13], 0
	s_cbranch_scc1 .LBB231_5
; %bb.1:
	s_mov_b32 s15, 0
	s_lshl_b64 s[28:29], s[14:15], 2
	s_add_u32 s20, s20, s28
	s_addc_u32 s21, s21, s29
	s_load_dword s5, s[20:21], 0x0
	s_load_dword s15, s[0:1], 0x50
	s_load_dword s33, s[0:1], 0x78
	s_andn2_b64 vcc, exec, s[12:13]
	s_cbranch_vccnz .LBB231_3
.LBB231_2:
	s_load_dwordx2 s[12:13], s[0:1], 0x5c
	s_waitcnt lgkmcnt(0)
	s_mul_hi_u32 s3, s12, s14
	s_add_i32 s3, s14, s3
	s_lshr_b32 s5, s3, s13
.LBB231_3:
	s_andn2_b64 vcc, exec, s[6:7]
	s_cbranch_vccnz .LBB231_6
; %bb.4:
	s_mul_hi_u32 s3, s9, s14
	s_add_i32 s3, s14, s3
	s_lshr_b32 s3, s3, s10
	s_mul_i32 s3, s3, s11
	s_sub_i32 s34, s14, s3
	s_waitcnt lgkmcnt(0)
	s_mov_b32 s3, s5
	s_branch .LBB231_7
.LBB231_5:
                                        ; implicit-def: $sgpr5
	s_load_dword s15, s[0:1], 0x50
	s_load_dword s33, s[0:1], 0x78
	s_branch .LBB231_2
.LBB231_6:
	s_mov_b32 s3, s14
	s_mov_b32 s34, s14
.LBB231_7:
	s_load_dwordx4 s[28:31], s[0:1], 0x80
	v_bfe_u32 v16, v0, 10, 10
	v_and_b32_e32 v13, 0x3ff, v0
	s_cmp_lg_u64 s[22:23], 0
	v_or_b32_e32 v0, v16, v13
	s_cselect_b64 s[12:13], -1, 0
	v_cmp_eq_u32_e32 vcc, 0, v0
	s_mov_b32 s21, 0
	s_and_b64 s[40:41], vcc, s[12:13]
	v_mov_b32_e32 v14, 0
	s_mul_i32 s10, s3, s26
	v_lshlrev_b32_e32 v12, 2, v13
	v_mov_b32_e32 v15, 0
	s_and_saveexec_b64 s[6:7], s[40:41]
	s_cbranch_execz .LBB231_9
; %bb.8:
	s_waitcnt lgkmcnt(0)
	s_mul_i32 s20, s4, s30
	s_lshl_b64 s[40:41], s[20:21], 2
	s_add_u32 s3, s22, s40
	s_mov_b32 s11, s21
	s_addc_u32 s9, s23, s41
	s_lshl_b64 s[20:21], s[10:11], 2
	s_add_u32 s11, s3, s20
	s_addc_u32 s9, s9, s21
	s_ashr_i32 s3, s2, 31
	s_lshl_b64 s[20:21], s[2:3], 2
	s_add_u32 s20, s11, s20
	s_addc_u32 s21, s9, s21
	global_load_dword v15, v12, s[20:21]
.LBB231_9:
	s_or_b64 exec, exec, s[6:7]
	s_cmp_lg_u64 s[36:37], 0
	s_cselect_b64 s[20:21], -1, 0
	s_cmp_lg_u64 s[38:39], 0
	s_cselect_b64 s[6:7], -1, 0
	s_and_b64 s[22:23], s[6:7], s[20:21]
	s_and_b64 s[40:41], vcc, s[22:23]
	s_and_saveexec_b64 s[22:23], s[40:41]
	s_cbranch_execz .LBB231_11
; %bb.10:
	s_waitcnt lgkmcnt(0)
	s_mul_i32 s40, s4, s30
	s_mov_b32 s41, 0
	s_lshl_b64 s[42:43], s[40:41], 2
	s_add_u32 s3, s38, s42
	s_mov_b32 s11, s41
	s_addc_u32 s9, s39, s43
	s_lshl_b64 s[10:11], s[10:11], 2
	s_add_u32 s31, s3, s10
	s_addc_u32 s9, s9, s11
	s_ashr_i32 s3, s2, 31
	s_lshl_b64 s[10:11], s[2:3], 2
	s_add_u32 s10, s31, s10
	s_addc_u32 s11, s9, s11
	global_load_dword v14, v12, s[10:11]
.LBB231_11:
	s_or_b64 exec, exec, s[22:23]
	v_lshlrev_b32_e32 v0, 6, v16
	v_xor_b32_e32 v2, v0, v13
	v_and_b32_e32 v1, v0, v13
	v_lshrrev_b16_e32 v2, 1, v2
	s_lshr_b32 s3, s8, 5
	v_add_u16_e32 v19, v1, v2
	v_cndmask_b32_e64 v1, 0, 1, s[20:21]
	v_cmp_gt_u32_e32 vcc, s3, v19
	v_mov_b32_e32 v18, 0
	v_cmp_ne_u32_e64 s[8:9], 1, v1
	v_mov_b32_e32 v17, 0
	s_and_saveexec_b64 s[10:11], vcc
	s_cbranch_execz .LBB231_17
; %bb.12:
	s_mul_hi_u32 s22, s27, s4
	s_add_i32 s22, s4, s22
	s_waitcnt lgkmcnt(0)
	s_lshr_b32 s22, s22, s33
	s_mul_i32 s5, s5, s24
	s_mul_i32 s22, s22, s28
	;; [unrolled: 1-line block ×4, first 2 shown]
	s_add_i32 s5, s22, s5
	s_add_i32 s5, s5, s15
	s_mul_hi_u32 s22, s20, 36
	s_mul_i32 s20, s20, 36
	s_mul_i32 s21, s34, s25
	s_add_u32 s18, s18, s20
	s_mul_hi_u32 s15, s21, 36
	s_mul_i32 s21, s21, 36
	s_addc_u32 s19, s19, s22
	v_add_u32_e32 v2, v0, v13
	s_add_u32 s18, s18, s21
	v_lshrrev_b32_e32 v2, 1, v2
	s_addc_u32 s19, s19, s15
	v_and_b32_e32 v4, 4, v12
	v_mov_b32_e32 v1, 0
	v_and_b32_e32 v0, 1, v13
	v_mad_u64_u32 v[2:3], s[18:19], v2, 36, s[18:19]
	v_lshlrev_b32_e32 v0, 3, v0
	s_mov_b64 s[18:19], 0
	v_lshlrev_b32_e32 v4, 1, v4
	v_mov_b32_e32 v5, v1
	s_mov_b32 s15, 0xf6eaddcf
	s_mov_b32 s22, 0x71594535
	v_mov_b32_e32 v20, 0xbfad9881
	v_mov_b32_e32 v21, 0x26190d01
	s_mov_b64 s[20:21], 0x900
	v_mov_b32_e32 v18, v1
	v_mov_b32_e32 v17, v1
	s_branch .LBB231_14
.LBB231_13:                             ;   in Loop: Header=BB231_14 Depth=1
	s_waitcnt vmcnt(3)
	v_ashrrev_i32_e32 v24, 4, v10
	v_and_b32_e32 v25, 0x7070707, v10
	v_lshrrev_b32_e32 v10, 1, v10
	v_and_b32_e32 v27, 0x7070707, v24
	v_and_b32_e32 v10, 0x4040404, v10
	v_lshrrev_b32_e32 v24, 1, v24
	v_perm_b32 v26, s15, v20, v25
	v_perm_b32 v25, s22, v21, v25
	v_or_b32_e32 v10, 0x3020100, v10
	v_and_b32_e32 v24, 0x4040404, v24
	v_perm_b32 v28, s15, v20, v27
	v_perm_b32 v27, s22, v21, v27
	;; [unrolled: 1-line block ×3, first 2 shown]
	v_or_b32_e32 v24, 0x3020100, v24
	v_mov_b32_e32 v25, 0
	v_perm_b32 v24, v27, v28, v24
	s_waitcnt vmcnt(2)
	v_dot4c_i32_i8_e32 v25, v10, v8
	s_waitcnt vmcnt(1)
	v_dot4c_i32_i8_e32 v25, v24, v6
	v_ashrrev_i32_e32 v6, 4, v11
	v_and_b32_e32 v8, 0x7070707, v11
	v_lshrrev_b32_e32 v11, 1, v11
	v_and_b32_e32 v24, 0x7070707, v6
	v_and_b32_e32 v11, 0x4040404, v11
	v_lshrrev_b32_e32 v6, 1, v6
	v_perm_b32 v10, s15, v20, v8
	v_perm_b32 v8, s22, v21, v8
	v_or_b32_e32 v11, 0x3020100, v11
	v_and_b32_e32 v6, 0x4040404, v6
	v_perm_b32 v26, s15, v20, v24
	v_perm_b32 v24, s22, v21, v24
	;; [unrolled: 1-line block ×3, first 2 shown]
	v_or_b32_e32 v6, 0x3020100, v6
	v_perm_b32 v6, v24, v26, v6
	v_dot4c_i32_i8_e32 v25, v8, v9
	v_dot4c_i32_i8_e32 v25, v6, v7
	s_waitcnt vmcnt(0)
	v_cvt_f32_f16_e32 v6, v22
	v_add_u32_e32 v19, 64, v19
	v_cmp_le_u32_e32 vcc, s3, v19
	v_cvt_f32_i32_e32 v7, v25
	v_mul_f32_e32 v6, v6, v23
	s_or_b64 s[18:19], vcc, s[18:19]
	v_lshl_add_u64 v[2:3], v[2:3], 0, s[20:21]
	v_fmac_f32_e32 v18, v6, v7
	s_andn2_b64 exec, exec, s[18:19]
	s_cbranch_execz .LBB231_16
.LBB231_14:                             ; =>This Inner Loop Header: Depth=1
	v_add_u32_e32 v24, s5, v19
	v_mad_i64_i32 v[26:27], s[24:25], v24, 18, s[16:17]
	v_lshl_add_u64 v[28:29], v[2:3], 0, v[0:1]
	v_lshl_add_u64 v[30:31], v[26:27], 0, v[4:5]
	global_load_dword v23, v[2:3], off
	global_load_dwordx2 v[10:11], v[30:31], off offset:2
	global_load_dwordx2 v[8:9], v[28:29], off offset:4
	;; [unrolled: 1-line block ×3, first 2 shown]
	global_load_ushort v22, v[26:27], off
	s_and_b64 vcc, exec, s[8:9]
	s_waitcnt vmcnt(4)
	v_cvt_f32_f16_e32 v23, v23
	s_cbranch_vccnz .LBB231_13
; %bb.15:                               ;   in Loop: Header=BB231_14 Depth=1
	v_mad_i64_i32 v[24:25], s[24:25], v24, 18, s[36:37]
	v_lshl_add_u64 v[26:27], v[24:25], 0, v[4:5]
	global_load_dword v28, v[26:27], off offset:2
	global_load_dword v29, v[26:27], off offset:6
	global_load_ushort v30, v[24:25], off
	v_mov_b32_e32 v24, 0
	s_waitcnt vmcnt(2)
	v_ashrrev_i32_e32 v25, 4, v28
	v_lshrrev_b32_e32 v27, 1, v28
	v_and_b32_e32 v26, 0x7070707, v28
	v_and_b32_e32 v33, 0x7070707, v25
	v_and_b32_e32 v27, 0x4040404, v27
	v_lshrrev_b32_e32 v25, 1, v25
	s_waitcnt vmcnt(1)
	v_ashrrev_i32_e32 v28, 4, v29
	v_and_b32_e32 v31, 0x7070707, v29
	v_lshrrev_b32_e32 v29, 1, v29
	v_perm_b32 v32, s15, v20, v26
	v_perm_b32 v26, s22, v21, v26
	v_or_b32_e32 v27, 0x3020100, v27
	v_and_b32_e32 v25, 0x4040404, v25
	v_and_b32_e32 v35, 0x7070707, v28
	;; [unrolled: 1-line block ×3, first 2 shown]
	v_lshrrev_b32_e32 v28, 1, v28
	v_perm_b32 v36, s15, v20, v33
	v_perm_b32 v33, s22, v21, v33
	;; [unrolled: 1-line block ×3, first 2 shown]
	v_or_b32_e32 v25, 0x3020100, v25
	v_perm_b32 v34, s15, v20, v31
	v_perm_b32 v31, s22, v21, v31
	v_or_b32_e32 v29, 0x3020100, v29
	v_and_b32_e32 v28, 0x4040404, v28
	v_perm_b32 v25, v33, v36, v25
	v_dot4c_i32_i8_e32 v24, v26, v8
	v_perm_b32 v37, s15, v20, v35
	v_perm_b32 v35, s22, v21, v35
	;; [unrolled: 1-line block ×3, first 2 shown]
	v_or_b32_e32 v28, 0x3020100, v28
	v_dot4c_i32_i8_e32 v24, v25, v6
	v_perm_b32 v26, v35, v37, v28
	v_dot4c_i32_i8_e32 v24, v27, v9
	v_dot4c_i32_i8_e32 v24, v26, v7
	s_waitcnt vmcnt(0)
	v_cvt_f32_f16_e32 v25, v30
	v_mul_f32_e32 v25, v23, v25
	v_cvt_f32_i32_e32 v24, v24
	v_fmac_f32_e32 v17, v25, v24
	s_branch .LBB231_13
.LBB231_16:
	s_or_b64 exec, exec, s[18:19]
.LBB231_17:
	s_or_b64 exec, exec, s[10:11]
	s_load_dword s3, s[0:1], 0x30
	v_cmp_eq_u32_e64 s[10:11], 0, v16
	v_cmp_ne_u32_e32 vcc, 0, v16
	s_and_saveexec_b64 s[16:17], vcc
	s_cbranch_execz .LBB231_20
; %bb.18:
	v_add_u32_e32 v0, -1, v16
	v_lshl_add_u32 v0, v0, 8, v12
	s_and_b64 vcc, exec, s[8:9]
	ds_write_b32 v0, v18
	s_cbranch_vccnz .LBB231_20
; %bb.19:
	ds_write_b32 v0, v17 offset:256
.LBB231_20:
	s_or_b64 exec, exec, s[16:17]
	s_waitcnt lgkmcnt(0)
	s_barrier
	s_and_saveexec_b64 s[16:17], s[10:11]
	s_cbranch_execz .LBB231_49
; %bb.21:
	ds_read_b32 v0, v12
	s_and_b64 vcc, exec, s[8:9]
	s_cbranch_vccnz .LBB231_23
; %bb.22:
	ds_read_b32 v1, v12 offset:256
	s_waitcnt lgkmcnt(0)
	v_add_f32_e32 v17, v17, v1
.LBB231_23:
	s_waitcnt lgkmcnt(0)
	v_add_f32_e32 v1, v18, v0
	v_mbcnt_lo_u32_b32 v0, -1, 0
	v_mbcnt_hi_u32_b32 v4, -1, v0
	v_and_b32_e32 v0, 64, v4
	v_add_u32_e32 v7, 64, v0
	v_xor_b32_e32 v0, 32, v4
	v_cmp_lt_i32_e32 vcc, v0, v7
	v_xor_b32_e32 v3, 16, v4
	v_xor_b32_e32 v5, 8, v4
	v_cndmask_b32_e32 v0, v4, v0, vcc
	v_lshlrev_b32_e32 v0, 2, v0
	ds_bpermute_b32 v2, v0, v1
	v_cmp_lt_i32_e32 vcc, v3, v7
	v_xor_b32_e32 v6, 4, v4
	v_xor_b32_e32 v8, 2, v4
	;; [unrolled: 1-line block ×3, first 2 shown]
	s_waitcnt lgkmcnt(0)
	v_add_f32_e32 v2, v1, v2
	v_cndmask_b32_e32 v1, v4, v3, vcc
	v_lshlrev_b32_e32 v1, 2, v1
	ds_bpermute_b32 v3, v1, v2
	v_cmp_lt_i32_e32 vcc, v5, v7
	s_waitcnt lgkmcnt(0)
	v_add_f32_e32 v2, v2, v3
	v_cndmask_b32_e32 v3, v4, v5, vcc
	v_lshlrev_b32_e32 v3, 2, v3
	ds_bpermute_b32 v5, v3, v2
	v_cmp_lt_i32_e32 vcc, v6, v7
	;; [unrolled: 6-line block ×4, first 2 shown]
	s_waitcnt lgkmcnt(0)
	v_add_f32_e32 v2, v2, v8
	v_cndmask_b32_e32 v4, v4, v9, vcc
	v_lshlrev_b32_e32 v7, 2, v4
	ds_bpermute_b32 v4, v7, v2
	s_and_b64 vcc, exec, s[8:9]
	s_cbranch_vccnz .LBB231_25
; %bb.24:
	ds_bpermute_b32 v0, v0, v17
	s_waitcnt lgkmcnt(0)
	v_add_f32_e32 v0, v17, v0
	ds_bpermute_b32 v1, v1, v0
	s_waitcnt lgkmcnt(0)
	v_add_f32_e32 v0, v0, v1
	;; [unrolled: 3-line block ×6, first 2 shown]
.LBB231_25:
	v_cmp_eq_u32_e32 vcc, 0, v13
	s_and_b64 exec, exec, vcc
	s_cbranch_execz .LBB231_49
; %bb.26:
	s_waitcnt lgkmcnt(0)
	v_add_f32_e32 v0, v2, v4
	s_waitcnt vmcnt(0)
	v_add_f32_e32 v1, v15, v0
	s_and_b64 vcc, exec, s[8:9]
	v_cndmask_b32_e64 v0, v0, v1, s[12:13]
	s_cbranch_vccnz .LBB231_48
; %bb.27:
	v_add_f32_e32 v1, v14, v17
	v_cndmask_b32_e64 v1, v17, v1, s[6:7]
	s_cmp_lt_i32 s3, 2
	s_mov_b64 s[6:7], 0
	s_cbranch_scc1 .LBB231_31
; %bb.28:
	s_cmp_gt_i32 s3, 2
	s_cbranch_scc0 .LBB231_32
; %bb.29:
	s_cmp_eq_u32 s3, 3
	s_cbranch_scc0 .LBB231_33
; %bb.30:
	v_max_f32_e32 v2, v1, v1
	v_min_f32_e32 v4, 0x40e00000, v2
	v_mul_f32_e32 v3, 0xbfd9db23, v4
	s_mov_b32 s5, 0x3fb8aa3b
	v_mul_f32_e32 v2, 0x3fb8aa3b, v3
	v_fma_f32 v5, v3, s5, -v2
	v_rndne_f32_e32 v6, v2
	v_fmamk_f32 v5, v3, 0x32a5705f, v5
	v_sub_f32_e32 v2, v2, v6
	v_add_f32_e32 v2, v2, v5
	v_exp_f32_e32 v5, v2
	v_cvt_i32_f32_e32 v6, v6
	s_mov_b32 s5, 0xc2ce8ed0
	v_max_f32_e32 v2, v0, v0
	v_cmp_ngt_f32_e32 vcc, s5, v3
	v_ldexp_f32 v5, v5, v6
	s_mov_b32 s5, 0x42b17218
	v_min_f32_e32 v2, 0x40e00000, v2
	v_cndmask_b32_e32 v5, 0, v5, vcc
	v_mov_b32_e32 v6, 0x7f800000
	v_cmp_nlt_f32_e32 vcc, s5, v3
	v_max_f32_e32 v2, 0xc0e00000, v2
	s_nop 0
	v_cndmask_b32_e32 v3, v6, v5, vcc
	v_pk_add_f32 v[2:3], v[2:3], 1.0 op_sel_hi:[1,0]
	s_nop 0
	v_div_scale_f32 v5, s[8:9], v3, v3, v4
	v_rcp_f32_e32 v6, v5
	s_mov_b64 s[8:9], 0
	v_fma_f32 v7, -v5, v6, 1.0
	v_fmac_f32_e32 v6, v7, v6
	v_div_scale_f32 v7, vcc, v4, v3, v4
	v_mul_f32_e32 v8, v7, v6
	v_fma_f32 v9, -v5, v8, v7
	v_fmac_f32_e32 v8, v9, v6
	v_fma_f32 v5, -v5, v8, v7
	v_div_fmas_f32 v5, v5, v6, v8
	v_div_fixup_f32 v3, v5, v3, v4
	v_mul_f32_e32 v2, v2, v3
	s_branch .LBB231_34
.LBB231_31:
                                        ; implicit-def: $vgpr2
	s_mov_b64 s[8:9], 0
	s_cbranch_execnz .LBB231_38
	s_branch .LBB231_39
.LBB231_32:
	s_mov_b64 s[10:11], -1
	s_mov_b64 s[8:9], 0
                                        ; implicit-def: $vgpr2
	s_branch .LBB231_35
.LBB231_33:
	s_mov_b64 s[8:9], -1
                                        ; implicit-def: $vgpr2
.LBB231_34:
	s_mov_b64 s[10:11], 0
.LBB231_35:
	s_and_b64 vcc, exec, s[10:11]
	s_cbranch_vccz .LBB231_37
; %bb.36:
	v_mul_f32_e32 v2, 0xbfb8aa3b, v1
	s_mov_b32 s5, 0xbfb8aa3b
	v_rndne_f32_e32 v3, v2
	v_sub_f32_e32 v4, v2, v3
	v_fma_f32 v2, v1, s5, -v2
	v_fmamk_f32 v2, v1, 0xb2a5705f, v2
	v_add_f32_e32 v2, v4, v2
	v_exp_f32_e32 v2, v2
	v_cvt_i32_f32_e32 v3, v3
	s_mov_b32 s5, 0x42ce8ed0
	v_cmp_nlt_f32_e32 vcc, s5, v1
	s_mov_b32 s5, 0xc2b17218
	v_ldexp_f32 v2, v2, v3
	v_cndmask_b32_e32 v2, 0, v2, vcc
	v_mov_b32_e32 v3, 0x7f800000
	v_cmp_ngt_f32_e32 vcc, s5, v1
	s_nop 1
	v_cndmask_b32_e32 v2, v3, v2, vcc
	v_add_f32_e32 v2, 1.0, v2
	v_div_scale_f32 v3, s[10:11], v2, v2, v1
	v_rcp_f32_e32 v4, v3
	s_nop 0
	v_fma_f32 v5, -v3, v4, 1.0
	v_fmac_f32_e32 v4, v5, v4
	v_div_scale_f32 v5, vcc, v1, v2, v1
	v_mul_f32_e32 v6, v5, v4
	v_fma_f32 v7, -v3, v6, v5
	v_fmac_f32_e32 v6, v7, v4
	v_fma_f32 v3, -v3, v6, v5
	v_div_fmas_f32 v3, v3, v4, v6
	v_div_fixup_f32 v2, v3, v2, v1
	v_mul_f32_e32 v2, v0, v2
.LBB231_37:
	s_branch .LBB231_39
.LBB231_38:
	s_cmp_lg_u32 s3, 1
	s_mov_b64 s[6:7], -1
	s_cselect_b64 s[8:9], -1, 0
                                        ; implicit-def: $vgpr2
.LBB231_39:
	s_andn2_b64 vcc, exec, s[8:9]
	s_cbranch_vccz .LBB231_41
; %bb.40:
	s_andn2_b64 vcc, exec, s[6:7]
	s_cbranch_vccz .LBB231_42
	s_branch .LBB231_47
.LBB231_41:
	v_mul_f32_e32 v2, v0, v1
	s_cbranch_execnz .LBB231_47
.LBB231_42:
	v_mul_f32_e32 v3, 0x3d372713, v1
	v_mul_f32_e32 v2, 0x3f4c422a, v1
	v_fma_f32 v3, v1, v3, 1.0
	v_mul_f32_e32 v2, v2, v3
	s_mov_b32 s3, 0x3f200000
	v_cmp_nlt_f32_e64 s[6:7], |v2|, s3
                                        ; implicit-def: $vgpr3
	s_and_saveexec_b64 s[8:9], s[6:7]
	s_xor_b64 s[6:7], exec, s[8:9]
	s_cbranch_execz .LBB231_44
; %bb.43:
	v_add_f32_e64 v3, |v2|, |v2|
	v_mul_f32_e32 v4, 0x3fb8aa3b, v3
	s_mov_b32 s3, 0x3fb8aa3b
	v_rndne_f32_e32 v5, v4
	v_sub_f32_e32 v6, v4, v5
	v_fma_f32 v4, v3, s3, -v4
	v_fmamk_f32 v4, v3, 0x32a5705f, v4
	v_add_f32_e32 v4, v6, v4
	v_exp_f32_e32 v4, v4
	v_cvt_i32_f32_e32 v5, v5
	s_mov_b32 s3, 0xc2ce8ed0
	v_cmp_ngt_f32_e32 vcc, s3, v3
	s_mov_b32 s3, 0x42b17218
	v_ldexp_f32 v4, v4, v5
	v_cndmask_b32_e32 v4, 0, v4, vcc
	v_mov_b32_e32 v5, 0x7f800000
	v_cmp_nlt_f32_e32 vcc, s3, v3
	s_nop 1
	v_cndmask_b32_e32 v3, v5, v4, vcc
	v_add_f32_e32 v3, 1.0, v3
	v_rcp_f32_e32 v3, v3
	s_nop 0
	v_fma_f32 v3, v3, -2.0, 1.0
.LBB231_44:
	s_andn2_saveexec_b64 s[6:7], s[6:7]
; %bb.45:
	v_mul_f32_e32 v3, v2, v2
	v_mov_b32_e32 v4, 0x3ca908c9
	v_fmac_f32_e32 v4, 0xbbbac73d, v3
	v_fmaak_f32 v4, v3, v4, 0xbd5c1c4e
	v_fmaak_f32 v4, v3, v4, 0x3e088382
	v_fmaak_f32 v4, v3, v4, 0xbeaaaa99
	v_mul_f32_e64 v4, |v2|, v4
	v_fma_f32 v3, v3, v4, |v2|
; %bb.46:
	s_or_b64 exec, exec, s[6:7]
	s_brev_b32 s3, -2
	v_bfi_b32 v2, s3, v3, v2
	v_mul_f32_e32 v1, 0.5, v1
	v_add_f32_e32 v2, 1.0, v2
	v_mul_f32_e32 v1, v1, v2
	v_mul_f32_e32 v2, v0, v1
.LBB231_47:
	v_mov_b32_e32 v0, v2
.LBB231_48:
	s_load_dwordx2 s[0:1], s[0:1], 0x38
	s_mul_i32 s3, s14, s26
	s_mul_i32 s4, s4, s30
	s_add_i32 s2, s3, s2
	s_add_i32 s2, s2, s4
	s_mov_b32 s3, 0
	s_lshl_b64 s[2:3], s[2:3], 2
	s_waitcnt lgkmcnt(0)
	s_add_u32 s0, s0, s2
	s_addc_u32 s1, s1, s3
	global_store_dword v12, v0, s[0:1]
.LBB231_49:
	s_endpgm
	.section	.rodata,"a",@progbits
	.p2align	6, 0x0
	.amdhsa_kernel _ZL13mul_mat_vec_qIL9ggml_type20ELi1ELb1ELb0EEvPKvS2_PKi31ggml_cuda_mm_fusion_args_devicePfj15HIP_vector_typeIjLj3EEjjjS8_jjjS8_jjjj
		.amdhsa_group_segment_fixed_size 512
		.amdhsa_private_segment_fixed_size 0
		.amdhsa_kernarg_size 144
		.amdhsa_user_sgpr_count 2
		.amdhsa_user_sgpr_dispatch_ptr 0
		.amdhsa_user_sgpr_queue_ptr 0
		.amdhsa_user_sgpr_kernarg_segment_ptr 1
		.amdhsa_user_sgpr_dispatch_id 0
		.amdhsa_user_sgpr_kernarg_preload_length 0
		.amdhsa_user_sgpr_kernarg_preload_offset 0
		.amdhsa_user_sgpr_private_segment_size 0
		.amdhsa_uses_dynamic_stack 0
		.amdhsa_enable_private_segment 0
		.amdhsa_system_sgpr_workgroup_id_x 1
		.amdhsa_system_sgpr_workgroup_id_y 1
		.amdhsa_system_sgpr_workgroup_id_z 1
		.amdhsa_system_sgpr_workgroup_info 0
		.amdhsa_system_vgpr_workitem_id 1
		.amdhsa_next_free_vgpr 38
		.amdhsa_next_free_sgpr 44
		.amdhsa_accum_offset 40
		.amdhsa_reserve_vcc 1
		.amdhsa_float_round_mode_32 0
		.amdhsa_float_round_mode_16_64 0
		.amdhsa_float_denorm_mode_32 3
		.amdhsa_float_denorm_mode_16_64 3
		.amdhsa_dx10_clamp 1
		.amdhsa_ieee_mode 1
		.amdhsa_fp16_overflow 0
		.amdhsa_tg_split 0
		.amdhsa_exception_fp_ieee_invalid_op 0
		.amdhsa_exception_fp_denorm_src 0
		.amdhsa_exception_fp_ieee_div_zero 0
		.amdhsa_exception_fp_ieee_overflow 0
		.amdhsa_exception_fp_ieee_underflow 0
		.amdhsa_exception_fp_ieee_inexact 0
		.amdhsa_exception_int_div_zero 0
	.end_amdhsa_kernel
	.section	.text._ZL13mul_mat_vec_qIL9ggml_type20ELi1ELb1ELb0EEvPKvS2_PKi31ggml_cuda_mm_fusion_args_devicePfj15HIP_vector_typeIjLj3EEjjjS8_jjjS8_jjjj,"axG",@progbits,_ZL13mul_mat_vec_qIL9ggml_type20ELi1ELb1ELb0EEvPKvS2_PKi31ggml_cuda_mm_fusion_args_devicePfj15HIP_vector_typeIjLj3EEjjjS8_jjjS8_jjjj,comdat
.Lfunc_end231:
	.size	_ZL13mul_mat_vec_qIL9ggml_type20ELi1ELb1ELb0EEvPKvS2_PKi31ggml_cuda_mm_fusion_args_devicePfj15HIP_vector_typeIjLj3EEjjjS8_jjjS8_jjjj, .Lfunc_end231-_ZL13mul_mat_vec_qIL9ggml_type20ELi1ELb1ELb0EEvPKvS2_PKi31ggml_cuda_mm_fusion_args_devicePfj15HIP_vector_typeIjLj3EEjjjS8_jjjS8_jjjj
                                        ; -- End function
	.section	.AMDGPU.csdata,"",@progbits
; Kernel info:
; codeLenInByte = 2740
; NumSgprs: 50
; NumVgprs: 38
; NumAgprs: 0
; TotalNumVgprs: 38
; ScratchSize: 0
; MemoryBound: 0
; FloatMode: 240
; IeeeMode: 1
; LDSByteSize: 512 bytes/workgroup (compile time only)
; SGPRBlocks: 6
; VGPRBlocks: 4
; NumSGPRsForWavesPerEU: 50
; NumVGPRsForWavesPerEU: 38
; AccumOffset: 40
; Occupancy: 8
; WaveLimiterHint : 0
; COMPUTE_PGM_RSRC2:SCRATCH_EN: 0
; COMPUTE_PGM_RSRC2:USER_SGPR: 2
; COMPUTE_PGM_RSRC2:TRAP_HANDLER: 0
; COMPUTE_PGM_RSRC2:TGID_X_EN: 1
; COMPUTE_PGM_RSRC2:TGID_Y_EN: 1
; COMPUTE_PGM_RSRC2:TGID_Z_EN: 1
; COMPUTE_PGM_RSRC2:TIDIG_COMP_CNT: 1
; COMPUTE_PGM_RSRC3_GFX90A:ACCUM_OFFSET: 9
; COMPUTE_PGM_RSRC3_GFX90A:TG_SPLIT: 0
	.section	.text._ZL13mul_mat_vec_qIL9ggml_type20ELi1ELb0ELb0EEvPKvS2_PKi31ggml_cuda_mm_fusion_args_devicePfj15HIP_vector_typeIjLj3EEjjjS8_jjjS8_jjjj,"axG",@progbits,_ZL13mul_mat_vec_qIL9ggml_type20ELi1ELb0ELb0EEvPKvS2_PKi31ggml_cuda_mm_fusion_args_devicePfj15HIP_vector_typeIjLj3EEjjjS8_jjjS8_jjjj,comdat
	.globl	_ZL13mul_mat_vec_qIL9ggml_type20ELi1ELb0ELb0EEvPKvS2_PKi31ggml_cuda_mm_fusion_args_devicePfj15HIP_vector_typeIjLj3EEjjjS8_jjjS8_jjjj ; -- Begin function _ZL13mul_mat_vec_qIL9ggml_type20ELi1ELb0ELb0EEvPKvS2_PKi31ggml_cuda_mm_fusion_args_devicePfj15HIP_vector_typeIjLj3EEjjjS8_jjjS8_jjjj
	.p2align	8
	.type	_ZL13mul_mat_vec_qIL9ggml_type20ELi1ELb0ELb0EEvPKvS2_PKi31ggml_cuda_mm_fusion_args_devicePfj15HIP_vector_typeIjLj3EEjjjS8_jjjS8_jjjj,@function
_ZL13mul_mat_vec_qIL9ggml_type20ELi1ELb0ELb0EEvPKvS2_PKi31ggml_cuda_mm_fusion_args_devicePfj15HIP_vector_typeIjLj3EEjjjS8_jjjS8_jjjj: ; @_ZL13mul_mat_vec_qIL9ggml_type20ELi1ELb0ELb0EEvPKvS2_PKi31ggml_cuda_mm_fusion_args_devicePfj15HIP_vector_typeIjLj3EEjjjS8_jjjS8_jjjj
; %bb.0:
	s_load_dwordx2 s[8:9], s[0:1], 0x10
	s_load_dwordx4 s[16:19], s[0:1], 0x40
	s_mov_b32 s20, s3
	s_mov_b64 s[12:13], 0
	s_waitcnt lgkmcnt(0)
	s_cmp_lg_u64 s[8:9], 0
	s_cselect_b64 s[6:7], -1, 0
	s_cmp_eq_u64 s[8:9], 0
	s_cbranch_scc1 .LBB232_5
; %bb.1:
	s_mov_b32 s21, 0
	s_lshl_b64 s[10:11], s[20:21], 2
	s_add_u32 s8, s8, s10
	s_addc_u32 s9, s9, s11
	s_load_dword s5, s[8:9], 0x0
	s_nop 0
	s_load_dwordx4 s[8:11], s[0:1], 0x68
	s_load_dword s21, s[0:1], 0x50
	s_andn2_b64 vcc, exec, s[12:13]
	s_cbranch_vccnz .LBB232_3
.LBB232_2:
	s_load_dwordx2 s[12:13], s[0:1], 0x5c
	s_waitcnt lgkmcnt(0)
	s_mul_hi_u32 s3, s12, s20
	s_add_i32 s3, s20, s3
	s_lshr_b32 s5, s3, s13
.LBB232_3:
	s_load_dword s22, s[0:1], 0x78
	s_andn2_b64 vcc, exec, s[6:7]
	s_cbranch_vccnz .LBB232_6
; %bb.4:
	s_mul_hi_u32 s3, s17, s20
	s_add_i32 s3, s20, s3
	s_lshr_b32 s3, s3, s18
	s_mul_i32 s3, s3, s19
	s_sub_i32 s23, s20, s3
	s_branch .LBB232_7
.LBB232_5:
                                        ; implicit-def: $sgpr5
	s_load_dwordx4 s[8:11], s[0:1], 0x68
	s_load_dword s21, s[0:1], 0x50
	s_branch .LBB232_2
.LBB232_6:
	s_mov_b32 s23, s20
.LBB232_7:
	s_load_dwordx4 s[12:15], s[0:1], 0x80
	v_bfe_u32 v8, v0, 10, 10
	v_lshlrev_b32_e32 v1, 6, v8
	v_and_b32_e32 v6, 0x3ff, v0
	v_add_u16_e32 v0, v1, v6
	s_lshr_b32 s3, s16, 5
	v_lshrrev_b16_e32 v9, 1, v0
	v_cmp_gt_u32_e32 vcc, s3, v9
	v_mov_b32_e32 v10, 0
	v_lshlrev_b32_e32 v7, 2, v6
	s_and_saveexec_b64 s[6:7], vcc
	s_cbranch_execz .LBB232_11
; %bb.8:
	s_waitcnt lgkmcnt(0)
	s_mul_i32 s5, s5, s8
	s_mul_hi_u32 s8, s11, s4
	s_load_dwordx4 s[16:19], s[0:1], 0x0
	s_add_i32 s8, s4, s8
	s_lshr_b32 s8, s8, s22
	s_mul_i32 s8, s8, s12
	s_mul_i32 s13, s4, s13
	;; [unrolled: 1-line block ×3, first 2 shown]
	s_add_i32 s5, s8, s5
	s_add_i32 s5, s5, s15
	s_mul_hi_u32 s8, s13, 36
	s_mul_i32 s13, s13, 36
	s_mul_i32 s9, s23, s9
	s_waitcnt lgkmcnt(0)
	s_add_u32 s12, s18, s13
	s_mul_hi_u32 s11, s9, 36
	s_mul_i32 s9, s9, 36
	s_addc_u32 s13, s19, s8
	v_add_u32_e32 v2, v1, v6
	s_add_u32 s8, s12, s9
	v_lshrrev_b32_e32 v2, 1, v2
	s_addc_u32 s9, s13, s11
	v_and_b32_e32 v4, 4, v7
	v_mov_b32_e32 v1, 0
	v_and_b32_e32 v0, 1, v6
	v_mad_u64_u32 v[2:3], s[8:9], v2, 36, s[8:9]
	v_lshlrev_b32_e32 v0, 3, v0
	s_mov_b64 s[8:9], 0
	v_lshlrev_b32_e32 v4, 1, v4
	v_mov_b32_e32 v5, v1
	s_mov_b32 s11, 0xf6eaddcf
	v_mov_b32_e32 v11, 0xbfad9881
	s_mov_b32 s15, 0x71594535
	v_mov_b32_e32 v12, 0x26190d01
	s_mov_b64 s[12:13], 0x900
	v_mov_b32_e32 v10, v1
.LBB232_9:                              ; =>This Inner Loop Header: Depth=1
	v_add_u32_e32 v13, s5, v9
	v_lshl_add_u64 v[14:15], v[2:3], 0, v[0:1]
	global_load_dword v22, v[2:3], off
	v_mad_i64_i32 v[16:17], s[18:19], v13, 18, s[16:17]
	global_load_dwordx2 v[18:19], v[14:15], off offset:4
	global_load_dwordx2 v[20:21], v[14:15], off offset:20
	v_lshl_add_u64 v[14:15], v[16:17], 0, v[4:5]
	global_load_dword v13, v[14:15], off offset:2
	global_load_dword v23, v[14:15], off offset:6
	global_load_ushort v24, v[16:17], off
	v_mov_b32_e32 v14, 0
	v_add_u32_e32 v9, 64, v9
	v_cmp_le_u32_e32 vcc, s3, v9
	v_lshl_add_u64 v[2:3], v[2:3], 0, s[12:13]
	s_or_b64 s[8:9], vcc, s[8:9]
	s_waitcnt vmcnt(5)
	v_cvt_f32_f16_e32 v15, v22
	s_waitcnt vmcnt(2)
	v_ashrrev_i32_e32 v17, 4, v13
	v_and_b32_e32 v22, 0x7070707, v13
	v_lshrrev_b32_e32 v13, 1, v13
	v_and_b32_e32 v27, 0x7070707, v17
	v_and_b32_e32 v13, 0x4040404, v13
	v_lshrrev_b32_e32 v17, 1, v17
	s_waitcnt vmcnt(0)
	v_cvt_f32_f16_e32 v16, v24
	v_ashrrev_i32_e32 v24, 4, v23
	v_and_b32_e32 v25, 0x7070707, v23
	v_lshrrev_b32_e32 v23, 1, v23
	v_perm_b32 v26, s11, v11, v22
	v_perm_b32 v22, s15, v12, v22
	v_or_b32_e32 v13, 0x3020100, v13
	v_and_b32_e32 v17, 0x4040404, v17
	v_and_b32_e32 v29, 0x7070707, v24
	;; [unrolled: 1-line block ×3, first 2 shown]
	v_lshrrev_b32_e32 v24, 1, v24
	v_perm_b32 v30, s11, v11, v27
	v_perm_b32 v27, s15, v12, v27
	;; [unrolled: 1-line block ×3, first 2 shown]
	v_or_b32_e32 v17, 0x3020100, v17
	v_perm_b32 v28, s11, v11, v25
	v_perm_b32 v25, s15, v12, v25
	v_or_b32_e32 v23, 0x3020100, v23
	v_and_b32_e32 v24, 0x4040404, v24
	v_perm_b32 v17, v27, v30, v17
	v_dot4c_i32_i8_e32 v14, v13, v18
	v_perm_b32 v31, s11, v11, v29
	v_perm_b32 v29, s15, v12, v29
	;; [unrolled: 1-line block ×3, first 2 shown]
	v_or_b32_e32 v23, 0x3020100, v24
	v_dot4c_i32_i8_e32 v14, v17, v20
	v_perm_b32 v13, v29, v31, v23
	v_dot4c_i32_i8_e32 v14, v22, v19
	v_dot4c_i32_i8_e32 v14, v13, v21
	s_nop 2
	v_cvt_f32_i32_e32 v13, v14
	v_mul_f32_e32 v14, v16, v15
	v_fmac_f32_e32 v10, v14, v13
	s_andn2_b64 exec, exec, s[8:9]
	s_cbranch_execnz .LBB232_9
; %bb.10:
	s_or_b64 exec, exec, s[8:9]
.LBB232_11:
	s_or_b64 exec, exec, s[6:7]
	v_cmp_eq_u32_e32 vcc, 0, v8
	v_cmp_ne_u32_e64 s[6:7], 0, v8
	s_waitcnt lgkmcnt(0)
	s_and_saveexec_b64 s[8:9], s[6:7]
	s_cbranch_execz .LBB232_13
; %bb.12:
	v_lshlrev_b32_e32 v0, 8, v8
	s_movk_i32 s3, 0xff00
	v_add3_u32 v0, v0, v7, s3
	ds_write_b32 v0, v10
.LBB232_13:
	s_or_b64 exec, exec, s[8:9]
	s_waitcnt lgkmcnt(0)
	s_barrier
	s_and_saveexec_b64 s[6:7], vcc
	s_cbranch_execz .LBB232_16
; %bb.14:
	v_mbcnt_lo_u32_b32 v1, -1, 0
	ds_read_b32 v0, v7
	v_mbcnt_hi_u32_b32 v1, -1, v1
	v_and_b32_e32 v2, 64, v1
	v_add_u32_e32 v2, 64, v2
	v_xor_b32_e32 v3, 32, v1
	v_cmp_lt_i32_e32 vcc, v3, v2
	s_waitcnt lgkmcnt(0)
	v_add_f32_e32 v0, v10, v0
	s_mov_b32 s3, 0
	v_cndmask_b32_e32 v3, v1, v3, vcc
	v_lshlrev_b32_e32 v3, 2, v3
	ds_bpermute_b32 v3, v3, v0
	s_waitcnt lgkmcnt(0)
	v_add_f32_e32 v0, v0, v3
	v_xor_b32_e32 v3, 16, v1
	v_cmp_lt_i32_e32 vcc, v3, v2
	s_nop 1
	v_cndmask_b32_e32 v3, v1, v3, vcc
	v_lshlrev_b32_e32 v3, 2, v3
	ds_bpermute_b32 v3, v3, v0
	s_waitcnt lgkmcnt(0)
	v_add_f32_e32 v0, v0, v3
	v_xor_b32_e32 v3, 8, v1
	v_cmp_lt_i32_e32 vcc, v3, v2
	s_nop 1
	v_cndmask_b32_e32 v3, v1, v3, vcc
	v_lshlrev_b32_e32 v3, 2, v3
	ds_bpermute_b32 v3, v3, v0
	s_waitcnt lgkmcnt(0)
	v_add_f32_e32 v0, v0, v3
	v_xor_b32_e32 v3, 4, v1
	v_cmp_lt_i32_e32 vcc, v3, v2
	s_nop 1
	v_cndmask_b32_e32 v3, v1, v3, vcc
	v_lshlrev_b32_e32 v3, 2, v3
	ds_bpermute_b32 v3, v3, v0
	s_waitcnt lgkmcnt(0)
	v_add_f32_e32 v0, v0, v3
	v_xor_b32_e32 v3, 2, v1
	v_cmp_lt_i32_e32 vcc, v3, v2
	s_nop 1
	v_cndmask_b32_e32 v3, v1, v3, vcc
	v_lshlrev_b32_e32 v3, 2, v3
	ds_bpermute_b32 v3, v3, v0
	s_waitcnt lgkmcnt(0)
	v_add_f32_e32 v0, v0, v3
	v_xor_b32_e32 v3, 1, v1
	v_cmp_lt_i32_e32 vcc, v3, v2
	s_nop 1
	v_cndmask_b32_e32 v1, v1, v3, vcc
	v_lshlrev_b32_e32 v1, 2, v1
	ds_bpermute_b32 v1, v1, v0
	v_cmp_eq_u32_e32 vcc, 0, v6
	s_and_b64 exec, exec, vcc
	s_cbranch_execz .LBB232_16
; %bb.15:
	s_load_dwordx2 s[0:1], s[0:1], 0x38
	s_mul_i32 s5, s20, s10
	s_mul_i32 s4, s4, s14
	s_add_i32 s2, s5, s2
	s_add_i32 s2, s2, s4
	s_lshl_b64 s[2:3], s[2:3], 2
	s_waitcnt lgkmcnt(0)
	s_add_u32 s0, s0, s2
	s_addc_u32 s1, s1, s3
	v_mov_b32_e32 v2, 0
	v_add_f32_e32 v0, v0, v1
	global_store_dword v2, v0, s[0:1]
.LBB232_16:
	s_endpgm
	.section	.rodata,"a",@progbits
	.p2align	6, 0x0
	.amdhsa_kernel _ZL13mul_mat_vec_qIL9ggml_type20ELi1ELb0ELb0EEvPKvS2_PKi31ggml_cuda_mm_fusion_args_devicePfj15HIP_vector_typeIjLj3EEjjjS8_jjjS8_jjjj
		.amdhsa_group_segment_fixed_size 256
		.amdhsa_private_segment_fixed_size 0
		.amdhsa_kernarg_size 144
		.amdhsa_user_sgpr_count 2
		.amdhsa_user_sgpr_dispatch_ptr 0
		.amdhsa_user_sgpr_queue_ptr 0
		.amdhsa_user_sgpr_kernarg_segment_ptr 1
		.amdhsa_user_sgpr_dispatch_id 0
		.amdhsa_user_sgpr_kernarg_preload_length 0
		.amdhsa_user_sgpr_kernarg_preload_offset 0
		.amdhsa_user_sgpr_private_segment_size 0
		.amdhsa_uses_dynamic_stack 0
		.amdhsa_enable_private_segment 0
		.amdhsa_system_sgpr_workgroup_id_x 1
		.amdhsa_system_sgpr_workgroup_id_y 1
		.amdhsa_system_sgpr_workgroup_id_z 1
		.amdhsa_system_sgpr_workgroup_info 0
		.amdhsa_system_vgpr_workitem_id 1
		.amdhsa_next_free_vgpr 32
		.amdhsa_next_free_sgpr 24
		.amdhsa_accum_offset 32
		.amdhsa_reserve_vcc 1
		.amdhsa_float_round_mode_32 0
		.amdhsa_float_round_mode_16_64 0
		.amdhsa_float_denorm_mode_32 3
		.amdhsa_float_denorm_mode_16_64 3
		.amdhsa_dx10_clamp 1
		.amdhsa_ieee_mode 1
		.amdhsa_fp16_overflow 0
		.amdhsa_tg_split 0
		.amdhsa_exception_fp_ieee_invalid_op 0
		.amdhsa_exception_fp_denorm_src 0
		.amdhsa_exception_fp_ieee_div_zero 0
		.amdhsa_exception_fp_ieee_overflow 0
		.amdhsa_exception_fp_ieee_underflow 0
		.amdhsa_exception_fp_ieee_inexact 0
		.amdhsa_exception_int_div_zero 0
	.end_amdhsa_kernel
	.section	.text._ZL13mul_mat_vec_qIL9ggml_type20ELi1ELb0ELb0EEvPKvS2_PKi31ggml_cuda_mm_fusion_args_devicePfj15HIP_vector_typeIjLj3EEjjjS8_jjjS8_jjjj,"axG",@progbits,_ZL13mul_mat_vec_qIL9ggml_type20ELi1ELb0ELb0EEvPKvS2_PKi31ggml_cuda_mm_fusion_args_devicePfj15HIP_vector_typeIjLj3EEjjjS8_jjjS8_jjjj,comdat
.Lfunc_end232:
	.size	_ZL13mul_mat_vec_qIL9ggml_type20ELi1ELb0ELb0EEvPKvS2_PKi31ggml_cuda_mm_fusion_args_devicePfj15HIP_vector_typeIjLj3EEjjjS8_jjjS8_jjjj, .Lfunc_end232-_ZL13mul_mat_vec_qIL9ggml_type20ELi1ELb0ELb0EEvPKvS2_PKi31ggml_cuda_mm_fusion_args_devicePfj15HIP_vector_typeIjLj3EEjjjS8_jjjS8_jjjj
                                        ; -- End function
	.section	.AMDGPU.csdata,"",@progbits
; Kernel info:
; codeLenInByte = 1192
; NumSgprs: 30
; NumVgprs: 32
; NumAgprs: 0
; TotalNumVgprs: 32
; ScratchSize: 0
; MemoryBound: 0
; FloatMode: 240
; IeeeMode: 1
; LDSByteSize: 256 bytes/workgroup (compile time only)
; SGPRBlocks: 3
; VGPRBlocks: 3
; NumSGPRsForWavesPerEU: 30
; NumVGPRsForWavesPerEU: 32
; AccumOffset: 32
; Occupancy: 8
; WaveLimiterHint : 0
; COMPUTE_PGM_RSRC2:SCRATCH_EN: 0
; COMPUTE_PGM_RSRC2:USER_SGPR: 2
; COMPUTE_PGM_RSRC2:TRAP_HANDLER: 0
; COMPUTE_PGM_RSRC2:TGID_X_EN: 1
; COMPUTE_PGM_RSRC2:TGID_Y_EN: 1
; COMPUTE_PGM_RSRC2:TGID_Z_EN: 1
; COMPUTE_PGM_RSRC2:TIDIG_COMP_CNT: 1
; COMPUTE_PGM_RSRC3_GFX90A:ACCUM_OFFSET: 7
; COMPUTE_PGM_RSRC3_GFX90A:TG_SPLIT: 0
	.section	.text._ZL13mul_mat_vec_qIL9ggml_type20ELi2ELb0ELb0EEvPKvS2_PKi31ggml_cuda_mm_fusion_args_devicePfj15HIP_vector_typeIjLj3EEjjjS8_jjjS8_jjjj,"axG",@progbits,_ZL13mul_mat_vec_qIL9ggml_type20ELi2ELb0ELb0EEvPKvS2_PKi31ggml_cuda_mm_fusion_args_devicePfj15HIP_vector_typeIjLj3EEjjjS8_jjjS8_jjjj,comdat
	.globl	_ZL13mul_mat_vec_qIL9ggml_type20ELi2ELb0ELb0EEvPKvS2_PKi31ggml_cuda_mm_fusion_args_devicePfj15HIP_vector_typeIjLj3EEjjjS8_jjjS8_jjjj ; -- Begin function _ZL13mul_mat_vec_qIL9ggml_type20ELi2ELb0ELb0EEvPKvS2_PKi31ggml_cuda_mm_fusion_args_devicePfj15HIP_vector_typeIjLj3EEjjjS8_jjjS8_jjjj
	.p2align	8
	.type	_ZL13mul_mat_vec_qIL9ggml_type20ELi2ELb0ELb0EEvPKvS2_PKi31ggml_cuda_mm_fusion_args_devicePfj15HIP_vector_typeIjLj3EEjjjS8_jjjS8_jjjj,@function
_ZL13mul_mat_vec_qIL9ggml_type20ELi2ELb0ELb0EEvPKvS2_PKi31ggml_cuda_mm_fusion_args_devicePfj15HIP_vector_typeIjLj3EEjjjS8_jjjS8_jjjj: ; @_ZL13mul_mat_vec_qIL9ggml_type20ELi2ELb0ELb0EEvPKvS2_PKi31ggml_cuda_mm_fusion_args_devicePfj15HIP_vector_typeIjLj3EEjjjS8_jjjS8_jjjj
; %bb.0:
	s_load_dwordx2 s[20:21], s[0:1], 0x4
	s_load_dword s7, s[2:3], 0x40
	s_load_dwordx4 s[8:11], s[2:3], 0x50
	s_load_dword s25, s[2:3], 0x60
	s_load_dwordx4 s[12:15], s[2:3], 0x68
	;; [unrolled: 2-line block ×3, first 2 shown]
	s_waitcnt lgkmcnt(0)
	s_lshr_b32 s0, s20, 16
	v_bfe_u32 v14, v0, 10, 10
	v_and_b32_e32 v12, 0x3ff, v0
	s_mul_i32 s0, s0, s21
	v_mul_u32_u24_e32 v1, s21, v14
	v_lshlrev_b32_e32 v5, 6, v14
	v_mad_u32_u24 v1, s0, v12, v1
	v_bfe_u32 v0, v0, 20, 10
	v_add_u16_e32 v6, v5, v12
	v_add_lshl_u32 v4, v1, v0, 4
	s_lshr_b32 s7, s7, 5
	v_mov_b32_e32 v0, 0
	v_lshrrev_b16_e32 v15, 1, v6
	v_add_u32_e32 v13, 0x400, v4
	s_lshl_b32 s4, s4, 1
	v_mov_b32_e32 v1, v0
	v_mov_b32_e32 v2, v0
	;; [unrolled: 1-line block ×3, first 2 shown]
	v_cmp_gt_u32_e32 vcc, s7, v15
	ds_write_b128 v4, v[0:3] offset:1024
	s_and_saveexec_b64 s[0:1], vcc
	s_cbranch_execz .LBB233_4
; %bb.1:
	s_load_dwordx4 s[20:23], s[2:3], 0x0
	s_mul_i32 s17, s6, s17
	s_mul_hi_u32 s19, s17, 36
	s_mul_i32 s17, s17, 36
	s_mul_i32 s13, s5, s13
	s_waitcnt lgkmcnt(0)
	s_add_u32 s17, s22, s17
	s_addc_u32 s19, s23, s19
	s_mul_hi_u32 s23, s13, 36
	s_mul_i32 s13, s13, 36
	s_add_u32 s22, s17, s13
	s_mul_hi_u32 s11, s11, s5
	s_addc_u32 s23, s19, s23
	s_add_i32 s11, s5, s11
	s_lshr_b32 s11, s11, s25
	s_mul_i32 s11, s11, s12
	s_mul_hi_u32 s12, s15, s6
	s_add_i32 s12, s6, s12
	v_and_b32_e32 v1, 1, v12
	s_lshr_b32 s12, s12, s24
	v_lshlrev_b32_e32 v4, 3, v1
	v_lshrrev_b16_e32 v1, 1, v6
	s_mul_i32 s15, s12, s16
	v_lshlrev_b32_e32 v0, 1, v12
	v_mad_u64_u32 v[6:7], s[12:13], v1, 36, s[22:23]
	v_and_b32_e32 v0, 2, v0
	s_add_i32 s12, s4, 1
	v_mov_b32_e32 v5, 0
	v_lshlrev_b32_e32 v2, 1, v0
	s_mul_i32 s16, s4, s8
	s_add_i32 s11, s15, s11
	s_mul_i32 s8, s8, s12
	s_add_i32 s8, s11, s8
	s_add_i32 s11, s11, s16
	s_mov_b64 s[12:13], 0
	v_lshlrev_b32_e32 v8, 1, v2
	s_mov_b32 s15, 0xf6eaddcf
	v_mov_b32_e32 v16, 0xbfad9881
	s_mov_b32 s19, 0x71594535
	v_mov_b32_e32 v17, 0x26190d01
	v_lshlrev_b32_e32 v10, 2, v0
	s_mov_b64 s[16:17], 0x900
	v_mov_b32_e32 v9, v5
	v_mov_b32_e32 v11, v5
	;; [unrolled: 1-line block ×6, first 2 shown]
.LBB233_2:                              ; =>This Inner Loop Header: Depth=1
	global_load_dword v38, v[6:7], off
	v_add_u32_e32 v24, s11, v15
	v_lshl_add_u64 v[18:19], v[6:7], 0, v[4:5]
	v_add_u32_e32 v25, s8, v15
	v_add_u32_e32 v26, s9, v15
	global_load_dwordx2 v[20:21], v[18:19], off offset:4
	global_load_dwordx2 v[22:23], v[18:19], off offset:20
	v_mad_i64_i32 v[18:19], s[24:25], v24, 18, s[20:21]
	v_mad_i64_i32 v[24:25], s[24:25], v25, 18, s[20:21]
	v_mad_u64_u32 v[26:27], s[24:25], v26, 36, s[22:23]
	v_lshl_add_u64 v[28:29], v[18:19], 0, v[8:9]
	v_lshl_add_u64 v[30:31], v[24:25], 0, v[8:9]
	;; [unrolled: 1-line block ×3, first 2 shown]
	global_load_dword v43, v[28:29], off offset:2
	global_load_dword v44, v[28:29], off offset:6
	;; [unrolled: 1-line block ×4, first 2 shown]
	global_load_ushort v47, v[24:25], off
	global_load_ushort v48, v[18:19], off
	global_load_dwordx2 v[34:35], v[32:33], off offset:20
	global_load_dword v49, v[26:27], off
	global_load_dwordx2 v[36:37], v[32:33], off offset:4
	v_mov_b32_e32 v39, 0
	v_mov_b32_e32 v40, 0
	;; [unrolled: 1-line block ×4, first 2 shown]
	v_add_u32_e32 v15, 64, v15
	v_cmp_le_u32_e32 vcc, s7, v15
	v_lshl_add_u64 v[6:7], v[6:7], 0, s[16:17]
	s_or_b64 s[12:13], vcc, s[12:13]
	s_waitcnt vmcnt(11)
	v_cvt_f32_f16_e32 v18, v38
	s_waitcnt vmcnt(8)
	v_ashrrev_i32_e32 v19, 4, v43
	v_lshrrev_b32_e32 v28, 1, v43
	s_waitcnt vmcnt(7)
	v_lshrrev_b32_e32 v31, 1, v44
	s_waitcnt vmcnt(6)
	v_ashrrev_i32_e32 v32, 4, v45
	v_lshrrev_b32_e32 v38, 1, v45
	v_and_b32_e32 v27, 0x7070707, v43
	v_and_b32_e32 v30, 0x7070707, v44
	;; [unrolled: 1-line block ×3, first 2 shown]
	s_waitcnt vmcnt(4)
	v_cvt_f32_f16_e32 v25, v47
	v_and_b32_e32 v47, 0x7070707, v19
	v_and_b32_e32 v28, 0x4040404, v28
	v_lshrrev_b32_e32 v19, 1, v19
	v_and_b32_e32 v31, 0x4040404, v31
	v_and_b32_e32 v51, 0x7070707, v32
	v_and_b32_e32 v38, 0x4040404, v38
	v_lshrrev_b32_e32 v32, 1, v32
	v_ashrrev_i32_e32 v29, 4, v44
	v_ashrrev_i32_e32 v43, 4, v46
	v_and_b32_e32 v44, 0x7070707, v46
	v_lshrrev_b32_e32 v45, 1, v46
	s_waitcnt vmcnt(3)
	v_cvt_f32_f16_e32 v24, v48
	v_perm_b32 v46, s15, v16, v27
	v_perm_b32 v27, s19, v17, v27
	;; [unrolled: 1-line block ×6, first 2 shown]
	v_or_b32_e32 v28, 0x3020100, v28
	v_and_b32_e32 v19, 0x4040404, v19
	v_or_b32_e32 v31, 0x3020100, v31
	v_or_b32_e32 v38, 0x3020100, v38
	v_and_b32_e32 v32, 0x4040404, v32
	s_waitcnt vmcnt(1)
	v_cvt_f32_f16_e32 v26, v49
	v_and_b32_e32 v49, 0x7070707, v29
	v_lshrrev_b32_e32 v29, 1, v29
	v_and_b32_e32 v53, 0x7070707, v43
	v_and_b32_e32 v45, 0x4040404, v45
	v_lshrrev_b32_e32 v43, 1, v43
	v_perm_b32 v54, s15, v16, v47
	v_perm_b32 v47, s19, v17, v47
	;; [unrolled: 1-line block ×5, first 2 shown]
	v_or_b32_e32 v19, 0x3020100, v19
	v_perm_b32 v30, v30, v48, v31
	v_perm_b32 v31, v33, v50, v38
	v_or_b32_e32 v32, 0x3020100, v32
	v_perm_b32 v52, s15, v16, v44
	v_perm_b32 v44, s19, v17, v44
	v_and_b32_e32 v29, 0x4040404, v29
	v_or_b32_e32 v45, 0x3020100, v45
	v_and_b32_e32 v43, 0x4040404, v43
	v_perm_b32 v19, v47, v54, v19
	v_dot4c_i32_i8_e32 v39, v27, v20
	v_perm_b32 v32, v51, v56, v32
	v_dot4c_i32_i8_e32 v40, v31, v20
	s_waitcnt vmcnt(0)
	v_dot4c_i32_i8_e32 v41, v27, v36
	v_dot4c_i32_i8_e32 v42, v31, v36
	v_perm_b32 v55, s15, v16, v49
	v_perm_b32 v49, s19, v17, v49
	;; [unrolled: 1-line block ×4, first 2 shown]
	v_or_b32_e32 v29, 0x3020100, v29
	v_perm_b32 v33, v44, v52, v45
	v_or_b32_e32 v38, 0x3020100, v43
	v_dot4c_i32_i8_e32 v39, v19, v22
	v_dot4c_i32_i8_e32 v40, v32, v22
	;; [unrolled: 1-line block ×4, first 2 shown]
	v_perm_b32 v29, v49, v55, v29
	v_perm_b32 v20, v46, v28, v38
	v_dot4c_i32_i8_e32 v39, v30, v21
	v_dot4c_i32_i8_e32 v40, v33, v21
	;; [unrolled: 1-line block ×8, first 2 shown]
	v_cvt_f32_i32_e32 v20, v39
	v_cvt_f32_i32_e32 v21, v40
	;; [unrolled: 1-line block ×4, first 2 shown]
	v_pk_mul_f32 v[18:19], v[18:19], v[24:25] op_sel_hi:[0,1]
	v_pk_mul_f32 v[24:25], v[26:27], v[24:25] op_sel_hi:[0,1]
	v_pk_fma_f32 v[2:3], v[18:19], v[20:21], v[2:3]
	v_pk_fma_f32 v[0:1], v[24:25], v[22:23], v[0:1]
	s_andn2_b64 exec, exec, s[12:13]
	s_cbranch_execnz .LBB233_2
; %bb.3:
	s_or_b64 exec, exec, s[12:13]
	v_mov_b32_e32 v4, v0
	v_mov_b32_e32 v5, v1
	ds_write_b128 v13, v[2:5]
.LBB233_4:
	s_or_b64 exec, exec, s[0:1]
	v_cmp_eq_u32_e32 vcc, 0, v14
	v_cmp_ne_u32_e64 s[0:1], 0, v14
	v_lshlrev_b32_e32 v4, 2, v12
	s_and_saveexec_b64 s[8:9], s[0:1]
	s_cbranch_execz .LBB233_6
; %bb.5:
	v_lshl_or_b32 v5, v14, 10, v4
	v_add_u32_e32 v5, 0xfffffc00, v5
	ds_write2st64_b32 v5, v2, v3 offset1:1
	ds_write2st64_b32 v5, v0, v1 offset0:2 offset1:3
.LBB233_6:
	s_or_b64 exec, exec, s[8:9]
	s_waitcnt lgkmcnt(0)
	s_barrier
	s_and_saveexec_b64 s[0:1], vcc
	s_cbranch_execz .LBB233_11
; %bb.7:
	v_mbcnt_lo_u32_b32 v0, -1, 0
	v_mbcnt_hi_u32_b32 v14, -1, v0
	ds_read2st64_b32 v[2:3], v4 offset1:1
	ds_read_b64 v[6:7], v13
	v_and_b32_e32 v0, 64, v14
	v_add_u32_e32 v15, 64, v0
	v_xor_b32_e32 v0, 32, v14
	v_cmp_lt_i32_e32 vcc, v0, v15
	s_waitcnt lgkmcnt(0)
	v_pk_add_f32 v[2:3], v[2:3], v[6:7]
	v_xor_b32_e32 v1, 16, v14
	v_cndmask_b32_e32 v0, v14, v0, vcc
	v_lshlrev_b32_e32 v0, 2, v0
	ds_bpermute_b32 v6, v0, v2
	ds_bpermute_b32 v7, v0, v3
	v_cmp_lt_i32_e32 vcc, v1, v15
	v_xor_b32_e32 v5, 2, v14
	s_load_dwordx2 s[0:1], s[2:3], 0x38
	v_cndmask_b32_e32 v1, v14, v1, vcc
	v_lshlrev_b32_e32 v1, 2, v1
	s_waitcnt lgkmcnt(0)
	v_pk_add_f32 v[6:7], v[2:3], v[6:7]
	ds_bpermute_b32 v8, v1, v6
	ds_bpermute_b32 v9, v1, v7
	v_xor_b32_e32 v2, 8, v14
	v_cmp_lt_i32_e32 vcc, v2, v15
	v_xor_b32_e32 v3, 4, v14
	s_mul_i32 s2, s5, s14
	v_cndmask_b32_e32 v2, v14, v2, vcc
	v_lshlrev_b32_e32 v2, 2, v2
	s_waitcnt lgkmcnt(0)
	v_pk_add_f32 v[6:7], v[6:7], v[8:9]
	ds_bpermute_b32 v8, v2, v6
	ds_bpermute_b32 v9, v2, v7
	v_cmp_lt_i32_e32 vcc, v3, v15
	s_mul_i32 s6, s6, s18
	s_add_i32 s2, s2, s4
	v_cndmask_b32_e32 v3, v14, v3, vcc
	v_lshlrev_b32_e32 v3, 2, v3
	s_waitcnt lgkmcnt(0)
	v_pk_add_f32 v[6:7], v[6:7], v[8:9]
	ds_bpermute_b32 v8, v3, v6
	ds_bpermute_b32 v9, v3, v7
	v_cmp_lt_i32_e32 vcc, v5, v15
	s_add_i32 s2, s2, s6
	s_mov_b32 s3, 0
	v_cndmask_b32_e32 v5, v14, v5, vcc
	v_lshlrev_b32_e32 v5, 2, v5
	s_waitcnt lgkmcnt(0)
	v_pk_add_f32 v[8:9], v[6:7], v[8:9]
	ds_bpermute_b32 v10, v5, v8
	ds_bpermute_b32 v11, v5, v9
	v_xor_b32_e32 v6, 1, v14
	v_cmp_lt_i32_e32 vcc, v6, v15
	s_lshl_b64 s[2:3], s[2:3], 2
	s_add_u32 s2, s0, s2
	v_cndmask_b32_e32 v6, v14, v6, vcc
	v_lshlrev_b32_e32 v6, 2, v6
	s_waitcnt lgkmcnt(0)
	v_pk_add_f32 v[8:9], v[8:9], v[10:11]
	ds_bpermute_b32 v10, v6, v8
	ds_bpermute_b32 v11, v6, v9
	v_or_b32_e32 v7, s4, v12
	s_addc_u32 s3, s1, s3
	v_cmp_gt_u32_e32 vcc, 2, v12
	v_cmp_gt_u32_e64 s[0:1], s10, v7
	s_and_b64 s[0:1], vcc, s[0:1]
	s_waitcnt lgkmcnt(0)
	v_pk_add_f32 v[8:9], v[8:9], v[10:11]
	ds_write_b64 v13, v[8:9]
	s_and_saveexec_b64 s[4:5], s[0:1]
	s_cbranch_execz .LBB233_9
; %bb.8:
	v_add_u32_e32 v7, v13, v4
	ds_read_b32 v7, v7
	s_waitcnt lgkmcnt(0)
	global_store_dword v4, v7, s[2:3]
.LBB233_9:
	s_or_b64 exec, exec, s[4:5]
	ds_read2st64_b32 v[8:9], v4 offset0:2 offset1:3
	ds_read_b64 v[10:11], v13 offset:8
	s_waitcnt lgkmcnt(0)
	v_pk_add_f32 v[8:9], v[8:9], v[10:11]
	ds_bpermute_b32 v10, v0, v8
	ds_bpermute_b32 v11, v0, v9
	s_waitcnt lgkmcnt(0)
	v_pk_add_f32 v[8:9], v[8:9], v[10:11]
	ds_bpermute_b32 v0, v1, v8
	ds_bpermute_b32 v1, v1, v9
	;; [unrolled: 4-line block ×6, first 2 shown]
	s_waitcnt lgkmcnt(0)
	v_pk_add_f32 v[0:1], v[0:1], v[2:3]
	ds_write_b64 v13, v[0:1] offset:8
	s_and_b64 exec, exec, s[0:1]
	s_cbranch_execz .LBB233_11
; %bb.10:
	v_lshl_add_u32 v0, v12, 2, v13
	ds_read_b32 v2, v0 offset:8
	v_add_u32_e32 v0, s10, v12
	v_mov_b32_e32 v1, 0
	v_lshl_add_u64 v[0:1], v[0:1], 2, s[2:3]
	s_waitcnt lgkmcnt(0)
	global_store_dword v[0:1], v2, off
.LBB233_11:
	s_endpgm
	.section	.rodata,"a",@progbits
	.p2align	6, 0x0
	.amdhsa_kernel _ZL13mul_mat_vec_qIL9ggml_type20ELi2ELb0ELb0EEvPKvS2_PKi31ggml_cuda_mm_fusion_args_devicePfj15HIP_vector_typeIjLj3EEjjjS8_jjjS8_jjjj
		.amdhsa_group_segment_fixed_size 3072
		.amdhsa_private_segment_fixed_size 0
		.amdhsa_kernarg_size 144
		.amdhsa_user_sgpr_count 4
		.amdhsa_user_sgpr_dispatch_ptr 1
		.amdhsa_user_sgpr_queue_ptr 0
		.amdhsa_user_sgpr_kernarg_segment_ptr 1
		.amdhsa_user_sgpr_dispatch_id 0
		.amdhsa_user_sgpr_kernarg_preload_length 0
		.amdhsa_user_sgpr_kernarg_preload_offset 0
		.amdhsa_user_sgpr_private_segment_size 0
		.amdhsa_uses_dynamic_stack 0
		.amdhsa_enable_private_segment 0
		.amdhsa_system_sgpr_workgroup_id_x 1
		.amdhsa_system_sgpr_workgroup_id_y 1
		.amdhsa_system_sgpr_workgroup_id_z 1
		.amdhsa_system_sgpr_workgroup_info 0
		.amdhsa_system_vgpr_workitem_id 2
		.amdhsa_next_free_vgpr 57
		.amdhsa_next_free_sgpr 26
		.amdhsa_accum_offset 60
		.amdhsa_reserve_vcc 1
		.amdhsa_float_round_mode_32 0
		.amdhsa_float_round_mode_16_64 0
		.amdhsa_float_denorm_mode_32 3
		.amdhsa_float_denorm_mode_16_64 3
		.amdhsa_dx10_clamp 1
		.amdhsa_ieee_mode 1
		.amdhsa_fp16_overflow 0
		.amdhsa_tg_split 0
		.amdhsa_exception_fp_ieee_invalid_op 0
		.amdhsa_exception_fp_denorm_src 0
		.amdhsa_exception_fp_ieee_div_zero 0
		.amdhsa_exception_fp_ieee_overflow 0
		.amdhsa_exception_fp_ieee_underflow 0
		.amdhsa_exception_fp_ieee_inexact 0
		.amdhsa_exception_int_div_zero 0
	.end_amdhsa_kernel
	.section	.text._ZL13mul_mat_vec_qIL9ggml_type20ELi2ELb0ELb0EEvPKvS2_PKi31ggml_cuda_mm_fusion_args_devicePfj15HIP_vector_typeIjLj3EEjjjS8_jjjS8_jjjj,"axG",@progbits,_ZL13mul_mat_vec_qIL9ggml_type20ELi2ELb0ELb0EEvPKvS2_PKi31ggml_cuda_mm_fusion_args_devicePfj15HIP_vector_typeIjLj3EEjjjS8_jjjS8_jjjj,comdat
.Lfunc_end233:
	.size	_ZL13mul_mat_vec_qIL9ggml_type20ELi2ELb0ELb0EEvPKvS2_PKi31ggml_cuda_mm_fusion_args_devicePfj15HIP_vector_typeIjLj3EEjjjS8_jjjS8_jjjj, .Lfunc_end233-_ZL13mul_mat_vec_qIL9ggml_type20ELi2ELb0ELb0EEvPKvS2_PKi31ggml_cuda_mm_fusion_args_devicePfj15HIP_vector_typeIjLj3EEjjjS8_jjjS8_jjjj
                                        ; -- End function
	.section	.AMDGPU.csdata,"",@progbits
; Kernel info:
; codeLenInByte = 1976
; NumSgprs: 32
; NumVgprs: 57
; NumAgprs: 0
; TotalNumVgprs: 57
; ScratchSize: 0
; MemoryBound: 0
; FloatMode: 240
; IeeeMode: 1
; LDSByteSize: 3072 bytes/workgroup (compile time only)
; SGPRBlocks: 3
; VGPRBlocks: 7
; NumSGPRsForWavesPerEU: 32
; NumVGPRsForWavesPerEU: 57
; AccumOffset: 60
; Occupancy: 8
; WaveLimiterHint : 0
; COMPUTE_PGM_RSRC2:SCRATCH_EN: 0
; COMPUTE_PGM_RSRC2:USER_SGPR: 4
; COMPUTE_PGM_RSRC2:TRAP_HANDLER: 0
; COMPUTE_PGM_RSRC2:TGID_X_EN: 1
; COMPUTE_PGM_RSRC2:TGID_Y_EN: 1
; COMPUTE_PGM_RSRC2:TGID_Z_EN: 1
; COMPUTE_PGM_RSRC2:TIDIG_COMP_CNT: 2
; COMPUTE_PGM_RSRC3_GFX90A:ACCUM_OFFSET: 14
; COMPUTE_PGM_RSRC3_GFX90A:TG_SPLIT: 0
	.section	.text._ZL13mul_mat_vec_qIL9ggml_type20ELi3ELb0ELb0EEvPKvS2_PKi31ggml_cuda_mm_fusion_args_devicePfj15HIP_vector_typeIjLj3EEjjjS8_jjjS8_jjjj,"axG",@progbits,_ZL13mul_mat_vec_qIL9ggml_type20ELi3ELb0ELb0EEvPKvS2_PKi31ggml_cuda_mm_fusion_args_devicePfj15HIP_vector_typeIjLj3EEjjjS8_jjjS8_jjjj,comdat
	.globl	_ZL13mul_mat_vec_qIL9ggml_type20ELi3ELb0ELb0EEvPKvS2_PKi31ggml_cuda_mm_fusion_args_devicePfj15HIP_vector_typeIjLj3EEjjjS8_jjjS8_jjjj ; -- Begin function _ZL13mul_mat_vec_qIL9ggml_type20ELi3ELb0ELb0EEvPKvS2_PKi31ggml_cuda_mm_fusion_args_devicePfj15HIP_vector_typeIjLj3EEjjjS8_jjjS8_jjjj
	.p2align	8
	.type	_ZL13mul_mat_vec_qIL9ggml_type20ELi3ELb0ELb0EEvPKvS2_PKi31ggml_cuda_mm_fusion_args_devicePfj15HIP_vector_typeIjLj3EEjjjS8_jjjS8_jjjj,@function
_ZL13mul_mat_vec_qIL9ggml_type20ELi3ELb0ELb0EEvPKvS2_PKi31ggml_cuda_mm_fusion_args_devicePfj15HIP_vector_typeIjLj3EEjjjS8_jjjS8_jjjj: ; @_ZL13mul_mat_vec_qIL9ggml_type20ELi3ELb0ELb0EEvPKvS2_PKi31ggml_cuda_mm_fusion_args_devicePfj15HIP_vector_typeIjLj3EEjjjS8_jjjS8_jjjj
; %bb.0:
	v_bfe_u32 v15, v0, 10, 10
	v_and_b32_e32 v14, 0x3ff, v0
	v_mov_b32_e32 v0, 0
	v_lshlrev_b32_e32 v8, 6, v15
	v_mov_b32_e32 v1, v0
	v_mov_b32_e32 v2, v0
	;; [unrolled: 1-line block ×3, first 2 shown]
	s_load_dword s6, s[0:1], 0x40
	s_load_dwordx4 s[8:11], s[0:1], 0x50
	s_load_dword s25, s[0:1], 0x60
	s_load_dwordx4 s[12:15], s[0:1], 0x68
	;; [unrolled: 2-line block ×3, first 2 shown]
	scratch_store_dwordx2 off, v[0:1], off offset:16
	scratch_store_dwordx4 off, v[0:3], off
	s_lshl_b32 s5, s2, 1
	s_waitcnt lgkmcnt(0)
	s_lshr_b32 s2, s6, 5
	v_add_u16_e32 v1, v8, v14
	v_lshrrev_b16_e32 v16, 1, v1
	v_cmp_gt_u32_e32 vcc, s2, v16
	v_mov_b32_e32 v1, v0
	v_mov_b32_e32 v4, v0
	;; [unrolled: 1-line block ×3, first 2 shown]
	s_and_saveexec_b64 s[6:7], vcc
	s_cbranch_execz .LBB234_4
; %bb.1:
	s_load_dwordx4 s[20:23], s[0:1], 0x0
	s_mul_i32 s17, s4, s17
	s_mul_hi_u32 s19, s17, 36
	s_mul_i32 s17, s17, 36
	s_mul_i32 s13, s3, s13
	s_waitcnt lgkmcnt(0)
	s_add_u32 s17, s22, s17
	s_addc_u32 s19, s23, s19
	s_mul_hi_u32 s23, s13, 36
	s_mul_i32 s13, s13, 36
	s_add_u32 s22, s17, s13
	s_mul_hi_u32 s11, s11, s3
	s_addc_u32 s23, s19, s23
	s_add_i32 s11, s3, s11
	s_lshr_b32 s11, s11, s25
	v_and_b32_e32 v1, 1, v14
	v_xor_b32_e32 v3, v8, v14
	s_mul_i32 s17, s11, s12
	s_mul_hi_u32 s11, s15, s4
	v_lshlrev_b32_e32 v6, 3, v1
	v_and_b32_e32 v1, v8, v14
	v_lshrrev_b16_e32 v3, 1, v3
	s_add_i32 s11, s4, s11
	v_add_u16_e32 v1, v1, v3
	s_lshr_b32 s11, s11, s24
	v_lshlrev_b32_e32 v0, 1, v14
	v_mad_u64_u32 v[8:9], s[12:13], v1, 36, s[22:23]
	s_mul_i32 s15, s11, s16
	v_and_b32_e32 v0, 2, v0
	s_add_i32 s12, s5, 1
	v_mov_b32_e32 v7, 0
	v_lshlrev_b32_e32 v2, 1, v0
	s_mul_i32 s16, s5, s8
	s_add_i32 s15, s15, s17
	s_mul_i32 s8, s8, s12
	s_lshl_b32 s11, s9, 1
	s_add_i32 s8, s15, s8
	s_add_i32 s15, s15, s16
	s_mov_b64 s[12:13], 0
	v_lshlrev_b32_e32 v10, 1, v2
	s_mov_b32 s19, 0xf6eaddcf
	v_mov_b32_e32 v17, 0xbfad9881
	s_mov_b32 s24, 0x71594535
	v_mov_b32_e32 v18, 0x26190d01
	v_lshlrev_b32_e32 v12, 2, v0
	s_mov_b64 s[16:17], 0x900
	v_mov_b32_e32 v11, v7
	v_mov_b32_e32 v13, v7
	v_mov_b32_e32 v0, v7
	v_mov_b32_e32 v1, v7
	v_mov_b32_e32 v2, v7
	v_mov_b32_e32 v3, v7
	v_mov_b32_e32 v4, v7
	v_mov_b32_e32 v5, v7
.LBB234_2:                              ; =>This Inner Loop Header: Depth=1
	global_load_dword v48, v[8:9], off
	v_add_u32_e32 v19, s15, v16
	v_lshl_add_u64 v[20:21], v[8:9], 0, v[6:7]
	v_add_u32_e32 v26, s8, v16
	v_add_u32_e32 v28, s9, v16
	;; [unrolled: 1-line block ×3, first 2 shown]
	global_load_dwordx2 v[22:23], v[20:21], off offset:4
	global_load_dwordx2 v[24:25], v[20:21], off offset:20
	v_mad_i64_i32 v[20:21], s[26:27], v19, 18, s[20:21]
	v_mad_i64_i32 v[26:27], s[26:27], v26, 18, s[20:21]
	v_mad_u64_u32 v[28:29], s[26:27], v28, 36, s[22:23]
	v_mad_u64_u32 v[30:31], s[26:27], v30, 36, s[22:23]
	v_lshl_add_u64 v[32:33], v[20:21], 0, v[10:11]
	v_lshl_add_u64 v[34:35], v[26:27], 0, v[10:11]
	;; [unrolled: 1-line block ×4, first 2 shown]
	global_load_dword v19, v[32:33], off offset:2
	global_load_dword v55, v[32:33], off offset:6
	;; [unrolled: 1-line block ×4, first 2 shown]
	global_load_ushort v58, v[26:27], off
	global_load_ushort v59, v[20:21], off
	global_load_dwordx2 v[40:41], v[36:37], off offset:20
	global_load_dword v60, v[30:31], off
	global_load_dword v61, v[28:29], off
	global_load_dwordx2 v[42:43], v[36:37], off offset:4
	global_load_dwordx2 v[44:45], v[38:39], off offset:4
	;; [unrolled: 1-line block ×3, first 2 shown]
	v_mov_b32_e32 v49, 0
	v_mov_b32_e32 v50, 0
	v_mov_b32_e32 v51, 0
	v_mov_b32_e32 v52, 0
	v_mov_b32_e32 v53, 0
	v_mov_b32_e32 v54, 0
	v_add_u32_e32 v16, 64, v16
	v_cmp_le_u32_e32 vcc, s2, v16
	v_lshl_add_u64 v[8:9], v[8:9], 0, s[16:17]
	s_or_b64 s[12:13], vcc, s[12:13]
	s_waitcnt vmcnt(14)
	v_cvt_f32_f16_e32 v20, v48
	s_waitcnt vmcnt(11)
	v_ashrrev_i32_e32 v21, 4, v19
	s_waitcnt vmcnt(10)
	v_lshrrev_b32_e32 v33, 1, v55
	v_and_b32_e32 v29, 0x7070707, v19
	v_lshrrev_b32_e32 v19, 1, v19
	v_and_b32_e32 v32, 0x7070707, v55
	v_and_b32_e32 v33, 0x4040404, v33
	s_waitcnt vmcnt(9)
	v_ashrrev_i32_e32 v34, 4, v56
	v_and_b32_e32 v35, 0x7070707, v56
	v_lshrrev_b32_e32 v36, 1, v56
	s_waitcnt vmcnt(8)
	v_lshrrev_b32_e32 v39, 1, v57
	v_and_b32_e32 v19, 0x4040404, v19
	v_perm_b32 v56, s19, v17, v32
	v_perm_b32 v32, s24, v18, v32
	v_or_b32_e32 v33, 0x3020100, v33
	v_ashrrev_i32_e32 v31, 4, v55
	v_and_b32_e32 v38, 0x7070707, v57
	v_perm_b32 v48, s19, v17, v29
	v_and_b32_e32 v55, 0x7070707, v21
	v_perm_b32 v29, s24, v18, v29
	v_lshrrev_b32_e32 v21, 1, v21
	v_or_b32_e32 v19, 0x3020100, v19
	v_perm_b32 v32, v32, v56, v33
	v_and_b32_e32 v33, 0x7070707, v34
	v_and_b32_e32 v36, 0x4040404, v36
	v_lshrrev_b32_e32 v34, 1, v34
	v_and_b32_e32 v39, 0x4040404, v39
	v_ashrrev_i32_e32 v37, 4, v57
	v_perm_b32 v19, v29, v48, v19
	v_perm_b32 v48, s19, v17, v35
	;; [unrolled: 1-line block ×4, first 2 shown]
	v_or_b32_e32 v36, 0x3020100, v36
	v_perm_b32 v38, s24, v18, v38
	v_and_b32_e32 v21, 0x4040404, v21
	v_or_b32_e32 v39, 0x3020100, v39
	v_and_b32_e32 v34, 0x4040404, v34
	v_and_b32_e32 v29, 0x7070707, v31
	v_lshrrev_b32_e32 v31, 1, v31
	v_perm_b32 v35, v35, v48, v36
	v_and_b32_e32 v36, 0x7070707, v37
	v_lshrrev_b32_e32 v37, 1, v37
	v_perm_b32 v48, s19, v17, v55
	v_perm_b32 v55, s24, v18, v55
	;; [unrolled: 1-line block ×5, first 2 shown]
	v_or_b32_e32 v21, 0x3020100, v21
	v_or_b32_e32 v34, 0x3020100, v34
	v_and_b32_e32 v31, 0x4040404, v31
	v_perm_b32 v48, v55, v48, v21
	v_and_b32_e32 v37, 0x4040404, v37
	v_dot4c_i32_i8_e32 v49, v19, v22
	v_perm_b32 v33, v33, v56, v34
	v_dot4c_i32_i8_e32 v50, v35, v22
	s_waitcnt vmcnt(2)
	v_dot4c_i32_i8_e32 v51, v19, v42
	v_dot4c_i32_i8_e32 v52, v35, v42
	s_waitcnt vmcnt(1)
	v_dot4c_i32_i8_e32 v53, v19, v44
	v_dot4c_i32_i8_e32 v54, v35, v44
	v_perm_b32 v39, s19, v17, v29
	v_perm_b32 v29, s24, v18, v29
	;; [unrolled: 1-line block ×4, first 2 shown]
	v_or_b32_e32 v31, 0x3020100, v31
	v_or_b32_e32 v37, 0x3020100, v37
	v_dot4c_i32_i8_e32 v49, v48, v24
	v_dot4c_i32_i8_e32 v50, v33, v24
	;; [unrolled: 1-line block ×4, first 2 shown]
	s_waitcnt vmcnt(0)
	v_dot4c_i32_i8_e32 v53, v48, v46
	v_dot4c_i32_i8_e32 v54, v33, v46
	v_perm_b32 v31, v29, v39, v31
	v_perm_b32 v22, v36, v21, v37
	v_dot4c_i32_i8_e32 v49, v32, v23
	v_dot4c_i32_i8_e32 v50, v38, v23
	;; [unrolled: 1-line block ×6, first 2 shown]
	v_cvt_f32_f16_e32 v27, v58
	v_cvt_f32_f16_e32 v26, v59
	;; [unrolled: 1-line block ×4, first 2 shown]
	v_dot4c_i32_i8_e32 v49, v31, v25
	v_dot4c_i32_i8_e32 v50, v22, v25
	;; [unrolled: 1-line block ×6, first 2 shown]
	v_cvt_f32_i32_e32 v23, v50
	v_cvt_f32_i32_e32 v22, v49
	;; [unrolled: 1-line block ×6, first 2 shown]
	v_pk_mul_f32 v[20:21], v[20:21], v[26:27] op_sel_hi:[0,1]
	v_pk_mul_f32 v[28:29], v[28:29], v[26:27] op_sel_hi:[0,1]
	;; [unrolled: 1-line block ×3, first 2 shown]
	v_pk_fma_f32 v[2:3], v[20:21], v[22:23], v[2:3]
	v_pk_fma_f32 v[4:5], v[28:29], v[24:25], v[4:5]
	;; [unrolled: 1-line block ×3, first 2 shown]
	s_andn2_b64 exec, exec, s[12:13]
	s_cbranch_execnz .LBB234_2
; %bb.3:
	s_or_b64 exec, exec, s[12:13]
	scratch_store_dwordx4 off, v[2:5], off
	scratch_store_dwordx2 off, v[0:1], off offset:16
.LBB234_4:
	s_or_b64 exec, exec, s[6:7]
	v_cmp_eq_u32_e32 vcc, 0, v15
	v_cmp_ne_u32_e64 s[6:7], 0, v15
	v_lshlrev_b32_e32 v6, 2, v14
	s_and_saveexec_b64 s[8:9], s[6:7]
	s_cbranch_execz .LBB234_6
; %bb.5:
	v_mul_u32_u24_e32 v7, 0x600, v15
	s_movk_i32 s2, 0xfa00
	v_add3_u32 v7, v7, v6, s2
	ds_write2st64_b32 v7, v2, v3 offset1:1
	ds_write2st64_b32 v7, v4, v5 offset0:2 offset1:3
	ds_write2st64_b32 v7, v0, v1 offset0:4 offset1:5
.LBB234_6:
	s_or_b64 exec, exec, s[8:9]
	s_waitcnt lgkmcnt(0)
	s_barrier
	s_and_saveexec_b64 s[6:7], vcc
	s_cbranch_execz .LBB234_13
; %bb.7:
	scratch_load_dwordx2 v[2:3], off, off
	v_mbcnt_lo_u32_b32 v0, -1, 0
	ds_read2st64_b32 v[4:5], v6 offset1:1
	v_mbcnt_hi_u32_b32 v7, -1, v0
	v_and_b32_e32 v0, 64, v7
	v_xor_b32_e32 v1, 32, v7
	v_add_u32_e32 v12, 64, v0
	v_cmp_lt_i32_e32 vcc, v1, v12
	v_xor_b32_e32 v8, 16, v7
	v_xor_b32_e32 v10, 8, v7
	v_cndmask_b32_e32 v0, v7, v1, vcc
	v_lshlrev_b32_e32 v0, 2, v0
	v_cmp_lt_i32_e32 vcc, v8, v12
	v_xor_b32_e32 v11, 4, v7
	v_xor_b32_e32 v13, 2, v7
	v_cndmask_b32_e32 v1, v7, v8, vcc
	v_lshlrev_b32_e32 v1, 2, v1
	v_cmp_lt_i32_e32 vcc, v10, v12
	v_xor_b32_e32 v15, 1, v7
	s_load_dwordx2 s[0:1], s[0:1], 0x38
	s_mul_i32 s2, s3, s14
	s_mul_i32 s4, s4, s18
	s_add_i32 s2, s2, s5
	s_mov_b32 s3, 0
	s_add_i32 s2, s2, s4
	s_lshl_b64 s[2:3], s[2:3], 2
	s_waitcnt lgkmcnt(0)
	s_add_u32 s2, s0, s2
	s_addc_u32 s3, s1, s3
	s_waitcnt vmcnt(0)
	v_pk_add_f32 v[2:3], v[4:5], v[2:3]
	ds_bpermute_b32 v4, v0, v2
	ds_bpermute_b32 v5, v0, v3
	s_waitcnt lgkmcnt(0)
	v_pk_add_f32 v[4:5], v[2:3], v[4:5]
	ds_bpermute_b32 v8, v1, v4
	ds_bpermute_b32 v9, v1, v5
	v_cndmask_b32_e32 v2, v7, v10, vcc
	v_lshlrev_b32_e32 v2, 2, v2
	v_cmp_lt_i32_e32 vcc, v11, v12
	s_waitcnt lgkmcnt(0)
	v_pk_add_f32 v[4:5], v[4:5], v[8:9]
	ds_bpermute_b32 v8, v2, v4
	ds_bpermute_b32 v9, v2, v5
	v_cndmask_b32_e32 v3, v7, v11, vcc
	v_lshlrev_b32_e32 v3, 2, v3
	v_cmp_lt_i32_e32 vcc, v13, v12
	;; [unrolled: 7-line block ×3, first 2 shown]
	s_waitcnt lgkmcnt(0)
	v_pk_add_f32 v[8:9], v[8:9], v[10:11]
	ds_bpermute_b32 v10, v4, v8
	ds_bpermute_b32 v11, v4, v9
	v_cndmask_b32_e32 v5, v7, v15, vcc
	v_lshlrev_b32_e32 v5, 2, v5
	v_or_b32_e32 v7, s5, v14
	v_cmp_gt_u32_e32 vcc, 2, v14
	s_waitcnt lgkmcnt(0)
	v_pk_add_f32 v[8:9], v[8:9], v[10:11]
	ds_bpermute_b32 v10, v5, v8
	ds_bpermute_b32 v11, v5, v9
	v_cmp_gt_u32_e64 s[0:1], s10, v7
	s_and_b64 s[0:1], vcc, s[0:1]
	s_waitcnt lgkmcnt(0)
	v_pk_add_f32 v[8:9], v[8:9], v[10:11]
	scratch_store_dwordx2 off, v[8:9], off
	s_and_saveexec_b64 s[4:5], s[0:1]
	s_cbranch_execz .LBB234_9
; %bb.8:
	scratch_load_dword v7, v6, off
	s_waitcnt vmcnt(0)
	global_store_dword v6, v7, s[2:3]
.LBB234_9:
	s_or_b64 exec, exec, s[4:5]
	scratch_load_dwordx2 v[8:9], off, off offset:8
	ds_read2st64_b32 v[10:11], v6 offset0:2 offset1:3
	s_waitcnt vmcnt(0) lgkmcnt(0)
	v_pk_add_f32 v[8:9], v[10:11], v[8:9]
	ds_bpermute_b32 v10, v0, v8
	ds_bpermute_b32 v11, v0, v9
	s_waitcnt lgkmcnt(0)
	v_pk_add_f32 v[8:9], v[8:9], v[10:11]
	ds_bpermute_b32 v10, v1, v8
	ds_bpermute_b32 v11, v1, v9
	s_waitcnt lgkmcnt(0)
	;; [unrolled: 4-line block ×6, first 2 shown]
	v_pk_add_f32 v[8:9], v[8:9], v[10:11]
	scratch_store_dwordx2 off, v[8:9], off offset:8
	s_and_saveexec_b64 s[4:5], s[0:1]
	s_cbranch_execz .LBB234_11
; %bb.10:
	scratch_load_dword v7, v6, off offset:8
	v_add_u32_e32 v8, s10, v14
	v_mov_b32_e32 v9, 0
	v_lshl_add_u64 v[8:9], v[8:9], 2, s[2:3]
	s_waitcnt vmcnt(0)
	global_store_dword v[8:9], v7, off
.LBB234_11:
	s_or_b64 exec, exec, s[4:5]
	scratch_load_dwordx2 v[8:9], off, off offset:16
	ds_read2st64_b32 v[10:11], v6 offset0:4 offset1:5
	s_waitcnt vmcnt(0) lgkmcnt(0)
	v_pk_add_f32 v[8:9], v[10:11], v[8:9]
	ds_bpermute_b32 v10, v0, v8
	ds_bpermute_b32 v11, v0, v9
	s_waitcnt lgkmcnt(0)
	v_pk_add_f32 v[8:9], v[8:9], v[10:11]
	ds_bpermute_b32 v0, v1, v8
	ds_bpermute_b32 v1, v1, v9
	s_waitcnt lgkmcnt(0)
	;; [unrolled: 4-line block ×6, first 2 shown]
	v_pk_add_f32 v[0:1], v[0:1], v[2:3]
	scratch_store_dwordx2 off, v[0:1], off offset:16
	s_and_b64 exec, exec, s[0:1]
	s_cbranch_execz .LBB234_13
; %bb.12:
	scratch_load_dword v2, v6, off offset:16
	v_lshl_or_b32 v0, s10, 1, v14
	v_mov_b32_e32 v1, 0
	v_lshl_add_u64 v[0:1], v[0:1], 2, s[2:3]
	s_waitcnt vmcnt(0)
	global_store_dword v[0:1], v2, off
.LBB234_13:
	s_endpgm
	.section	.rodata,"a",@progbits
	.p2align	6, 0x0
	.amdhsa_kernel _ZL13mul_mat_vec_qIL9ggml_type20ELi3ELb0ELb0EEvPKvS2_PKi31ggml_cuda_mm_fusion_args_devicePfj15HIP_vector_typeIjLj3EEjjjS8_jjjS8_jjjj
		.amdhsa_group_segment_fixed_size 1536
		.amdhsa_private_segment_fixed_size 32
		.amdhsa_kernarg_size 144
		.amdhsa_user_sgpr_count 2
		.amdhsa_user_sgpr_dispatch_ptr 0
		.amdhsa_user_sgpr_queue_ptr 0
		.amdhsa_user_sgpr_kernarg_segment_ptr 1
		.amdhsa_user_sgpr_dispatch_id 0
		.amdhsa_user_sgpr_kernarg_preload_length 0
		.amdhsa_user_sgpr_kernarg_preload_offset 0
		.amdhsa_user_sgpr_private_segment_size 0
		.amdhsa_uses_dynamic_stack 0
		.amdhsa_enable_private_segment 1
		.amdhsa_system_sgpr_workgroup_id_x 1
		.amdhsa_system_sgpr_workgroup_id_y 1
		.amdhsa_system_sgpr_workgroup_id_z 1
		.amdhsa_system_sgpr_workgroup_info 0
		.amdhsa_system_vgpr_workitem_id 1
		.amdhsa_next_free_vgpr 62
		.amdhsa_next_free_sgpr 28
		.amdhsa_accum_offset 64
		.amdhsa_reserve_vcc 1
		.amdhsa_float_round_mode_32 0
		.amdhsa_float_round_mode_16_64 0
		.amdhsa_float_denorm_mode_32 3
		.amdhsa_float_denorm_mode_16_64 3
		.amdhsa_dx10_clamp 1
		.amdhsa_ieee_mode 1
		.amdhsa_fp16_overflow 0
		.amdhsa_tg_split 0
		.amdhsa_exception_fp_ieee_invalid_op 0
		.amdhsa_exception_fp_denorm_src 0
		.amdhsa_exception_fp_ieee_div_zero 0
		.amdhsa_exception_fp_ieee_overflow 0
		.amdhsa_exception_fp_ieee_underflow 0
		.amdhsa_exception_fp_ieee_inexact 0
		.amdhsa_exception_int_div_zero 0
	.end_amdhsa_kernel
	.section	.text._ZL13mul_mat_vec_qIL9ggml_type20ELi3ELb0ELb0EEvPKvS2_PKi31ggml_cuda_mm_fusion_args_devicePfj15HIP_vector_typeIjLj3EEjjjS8_jjjS8_jjjj,"axG",@progbits,_ZL13mul_mat_vec_qIL9ggml_type20ELi3ELb0ELb0EEvPKvS2_PKi31ggml_cuda_mm_fusion_args_devicePfj15HIP_vector_typeIjLj3EEjjjS8_jjjS8_jjjj,comdat
.Lfunc_end234:
	.size	_ZL13mul_mat_vec_qIL9ggml_type20ELi3ELb0ELb0EEvPKvS2_PKi31ggml_cuda_mm_fusion_args_devicePfj15HIP_vector_typeIjLj3EEjjjS8_jjjS8_jjjj, .Lfunc_end234-_ZL13mul_mat_vec_qIL9ggml_type20ELi3ELb0ELb0EEvPKvS2_PKi31ggml_cuda_mm_fusion_args_devicePfj15HIP_vector_typeIjLj3EEjjjS8_jjjS8_jjjj
                                        ; -- End function
	.section	.AMDGPU.csdata,"",@progbits
; Kernel info:
; codeLenInByte = 2340
; NumSgprs: 34
; NumVgprs: 62
; NumAgprs: 0
; TotalNumVgprs: 62
; ScratchSize: 32
; MemoryBound: 0
; FloatMode: 240
; IeeeMode: 1
; LDSByteSize: 1536 bytes/workgroup (compile time only)
; SGPRBlocks: 4
; VGPRBlocks: 7
; NumSGPRsForWavesPerEU: 34
; NumVGPRsForWavesPerEU: 62
; AccumOffset: 64
; Occupancy: 8
; WaveLimiterHint : 0
; COMPUTE_PGM_RSRC2:SCRATCH_EN: 1
; COMPUTE_PGM_RSRC2:USER_SGPR: 2
; COMPUTE_PGM_RSRC2:TRAP_HANDLER: 0
; COMPUTE_PGM_RSRC2:TGID_X_EN: 1
; COMPUTE_PGM_RSRC2:TGID_Y_EN: 1
; COMPUTE_PGM_RSRC2:TGID_Z_EN: 1
; COMPUTE_PGM_RSRC2:TIDIG_COMP_CNT: 1
; COMPUTE_PGM_RSRC3_GFX90A:ACCUM_OFFSET: 15
; COMPUTE_PGM_RSRC3_GFX90A:TG_SPLIT: 0
	.section	.text._ZL13mul_mat_vec_qIL9ggml_type20ELi4ELb0ELb0EEvPKvS2_PKi31ggml_cuda_mm_fusion_args_devicePfj15HIP_vector_typeIjLj3EEjjjS8_jjjS8_jjjj,"axG",@progbits,_ZL13mul_mat_vec_qIL9ggml_type20ELi4ELb0ELb0EEvPKvS2_PKi31ggml_cuda_mm_fusion_args_devicePfj15HIP_vector_typeIjLj3EEjjjS8_jjjS8_jjjj,comdat
	.globl	_ZL13mul_mat_vec_qIL9ggml_type20ELi4ELb0ELb0EEvPKvS2_PKi31ggml_cuda_mm_fusion_args_devicePfj15HIP_vector_typeIjLj3EEjjjS8_jjjS8_jjjj ; -- Begin function _ZL13mul_mat_vec_qIL9ggml_type20ELi4ELb0ELb0EEvPKvS2_PKi31ggml_cuda_mm_fusion_args_devicePfj15HIP_vector_typeIjLj3EEjjjS8_jjjS8_jjjj
	.p2align	8
	.type	_ZL13mul_mat_vec_qIL9ggml_type20ELi4ELb0ELb0EEvPKvS2_PKi31ggml_cuda_mm_fusion_args_devicePfj15HIP_vector_typeIjLj3EEjjjS8_jjjS8_jjjj,@function
_ZL13mul_mat_vec_qIL9ggml_type20ELi4ELb0ELb0EEvPKvS2_PKi31ggml_cuda_mm_fusion_args_devicePfj15HIP_vector_typeIjLj3EEjjjS8_jjjS8_jjjj: ; @_ZL13mul_mat_vec_qIL9ggml_type20ELi4ELb0ELb0EEvPKvS2_PKi31ggml_cuda_mm_fusion_args_devicePfj15HIP_vector_typeIjLj3EEjjjS8_jjjS8_jjjj
; %bb.0:
	s_mov_b32 s20, 0
	s_mov_b32 s21, s20
	v_bfe_u32 v9, v0, 10, 10
	v_and_b32_e32 v8, 0x3ff, v0
	s_mov_b32 s22, s20
	s_mov_b32 s23, s20
	v_mov_b64_e32 v[0:1], s[20:21]
	v_lshlrev_b32_e32 v12, 6, v9
	v_mov_b64_e32 v[2:3], s[22:23]
	s_load_dword s6, s[0:1], 0x40
	s_load_dwordx4 s[8:11], s[0:1], 0x50
	s_load_dword s25, s[0:1], 0x60
	s_load_dwordx4 s[12:15], s[0:1], 0x68
	;; [unrolled: 2-line block ×3, first 2 shown]
	scratch_store_dwordx4 off, v[0:3], off offset:16
	scratch_store_dwordx4 off, v[0:3], off
	s_lshl_b32 s5, s2, 1
	s_waitcnt lgkmcnt(0)
	s_lshr_b32 s2, s6, 5
	v_add_u16_e32 v0, v12, v8
	v_lshrrev_b16_e32 v18, 1, v0
	v_mov_b32_e32 v3, 0
	v_cmp_gt_u32_e32 vcc, s2, v18
	v_mov_b32_e32 v4, 0
	v_mov_b32_e32 v2, v3
	;; [unrolled: 1-line block ×7, first 2 shown]
	s_and_saveexec_b64 s[6:7], vcc
	s_cbranch_execz .LBB235_4
; %bb.1:
	s_load_dwordx4 s[20:23], s[0:1], 0x0
	s_mul_i32 s17, s4, s17
	s_mul_hi_u32 s19, s17, 36
	s_mul_i32 s17, s17, 36
	s_mul_i32 s13, s3, s13
	s_waitcnt lgkmcnt(0)
	s_add_u32 s17, s22, s17
	s_addc_u32 s19, s23, s19
	s_mul_hi_u32 s23, s13, 36
	s_mul_i32 s13, s13, 36
	s_add_u32 s22, s17, s13
	s_mul_hi_u32 s11, s11, s3
	s_addc_u32 s23, s19, s23
	s_add_i32 s11, s3, s11
	s_lshr_b32 s11, s11, s25
	v_and_b32_e32 v1, 1, v8
	v_xor_b32_e32 v3, v12, v8
	s_mul_i32 s17, s11, s12
	s_mul_hi_u32 s11, s15, s4
	v_lshlrev_b32_e32 v10, 3, v1
	v_and_b32_e32 v1, v12, v8
	v_lshrrev_b16_e32 v3, 1, v3
	s_add_i32 s11, s4, s11
	v_add_u16_e32 v1, v1, v3
	s_lshr_b32 s11, s11, s24
	v_lshlrev_b32_e32 v0, 1, v8
	v_mad_u64_u32 v[12:13], s[12:13], v1, 36, s[22:23]
	s_mul_i32 s16, s11, s16
	v_and_b32_e32 v0, 2, v0
	s_add_i32 s13, s5, 1
	v_mov_b32_e32 v11, 0
	v_lshlrev_b32_e32 v2, 1, v0
	s_mul_i32 s19, s5, s8
	s_add_i32 s12, s16, s17
	s_mul_i32 s8, s8, s13
	s_lshl_b32 s11, s9, 1
	s_mul_i32 s15, s9, 3
	s_add_i32 s8, s12, s8
	s_add_i32 s19, s12, s19
	s_mov_b64 s[12:13], 0
	v_lshlrev_b32_e32 v14, 1, v2
	s_mov_b32 s24, 0xf6eaddcf
	v_mov_b32_e32 v19, 0xbfad9881
	s_mov_b32 s25, 0x71594535
	v_mov_b32_e32 v20, 0x26190d01
	v_lshlrev_b32_e32 v16, 2, v0
	s_mov_b64 s[16:17], 0x900
	v_mov_b32_e32 v15, v11
	v_mov_b32_e32 v17, v11
	;; [unrolled: 1-line block ×10, first 2 shown]
.LBB235_2:                              ; =>This Inner Loop Header: Depth=1
	global_load_dword v48, v[12:13], off
	v_add_u32_e32 v21, s19, v18
	v_lshl_add_u64 v[22:23], v[12:13], 0, v[10:11]
	v_add_u32_e32 v28, s8, v18
	v_add_u32_e32 v30, s9, v18
	v_add_u32_e32 v32, s11, v18
	v_add_u32_e32 v34, s15, v18
	global_load_dwordx2 v[24:25], v[22:23], off offset:4
	global_load_dwordx2 v[26:27], v[22:23], off offset:20
	v_mad_i64_i32 v[22:23], s[26:27], v21, 18, s[20:21]
	v_mad_i64_i32 v[28:29], s[26:27], v28, 18, s[20:21]
	v_mad_u64_u32 v[30:31], s[26:27], v30, 36, s[22:23]
	v_mad_u64_u32 v[32:33], s[26:27], v32, 36, s[22:23]
	v_mad_u64_u32 v[34:35], s[26:27], v34, 36, s[22:23]
	v_lshl_add_u64 v[36:37], v[22:23], 0, v[14:15]
	v_lshl_add_u64 v[38:39], v[28:29], 0, v[14:15]
	;; [unrolled: 1-line block ×5, first 2 shown]
	global_load_dword v21, v[36:37], off offset:2
	global_load_dword v57, v[36:37], off offset:6
	;; [unrolled: 1-line block ×4, first 2 shown]
	global_load_ushort v60, v[28:29], off
	global_load_ushort v61, v[22:23], off
	global_load_dwordx2 v[46:47], v[40:41], off offset:20
	global_load_dword v62, v[32:33], off
	global_load_dword v63, v[30:31], off
                                        ; kill: killed $vgpr38_vgpr39
                                        ; kill: killed $vgpr36_vgpr37
                                        ; kill: killed $vgpr32_vgpr33
                                        ; kill: killed $vgpr22_vgpr23
                                        ; kill: killed $vgpr28_vgpr29
                                        ; kill: killed $vgpr30_vgpr31
	s_nop 0
	global_load_dwordx2 v[22:23], v[40:41], off offset:4
	global_load_dwordx2 v[28:29], v[42:43], off offset:4
	;; [unrolled: 1-line block ×3, first 2 shown]
	global_load_dword v64, v[34:35], off
	global_load_dwordx2 v[32:33], v[42:43], off offset:20
	global_load_dwordx2 v[36:37], v[44:45], off offset:20
	v_mov_b32_e32 v49, 0
	v_mov_b32_e32 v50, 0
	;; [unrolled: 1-line block ×8, first 2 shown]
	v_add_u32_e32 v18, 64, v18
	v_cmp_le_u32_e32 vcc, s2, v18
	v_lshl_add_u64 v[12:13], v[12:13], 0, s[16:17]
	s_or_b64 s[12:13], vcc, s[12:13]
	s_waitcnt vmcnt(17)
	v_cvt_f32_f16_e32 v34, v48
	s_waitcnt vmcnt(14)
	v_ashrrev_i32_e32 v35, 4, v21
	v_and_b32_e32 v38, 0x7070707, v21
	v_lshrrev_b32_e32 v21, 1, v21
	v_and_b32_e32 v21, 0x4040404, v21
	s_waitcnt vmcnt(13)
	v_lshrrev_b32_e32 v41, 1, v57
	v_perm_b32 v43, s24, v19, v38
	v_perm_b32 v38, s25, v20, v38
	v_or_b32_e32 v21, 0x3020100, v21
	v_and_b32_e32 v39, 0x7070707, v57
	v_perm_b32 v21, v38, v43, v21
	s_waitcnt vmcnt(12)
	v_lshrrev_b32_e32 v43, 1, v58
	v_and_b32_e32 v41, 0x4040404, v41
	v_and_b32_e32 v38, 0x7070707, v58
	v_perm_b32 v44, s24, v19, v39
	v_perm_b32 v39, s25, v20, v39
	v_or_b32_e32 v41, 0x3020100, v41
	v_and_b32_e32 v43, 0x4040404, v43
	v_perm_b32 v45, v39, v44, v41
	v_perm_b32 v39, s24, v19, v38
	;; [unrolled: 1-line block ×3, first 2 shown]
	v_or_b32_e32 v43, 0x3020100, v43
	s_waitcnt vmcnt(11)
	v_lshrrev_b32_e32 v44, 1, v59
	v_perm_b32 v48, v38, v39, v43
	v_and_b32_e32 v43, 0x7070707, v59
	v_and_b32_e32 v44, 0x4040404, v44
	v_ashrrev_i32_e32 v40, 4, v57
	v_perm_b32 v57, s24, v19, v43
	v_perm_b32 v43, s25, v20, v43
	v_or_b32_e32 v44, 0x3020100, v44
	v_perm_b32 v57, v43, v57, v44
	v_and_b32_e32 v43, 0x7070707, v35
	v_lshrrev_b32_e32 v35, 1, v35
	v_and_b32_e32 v35, 0x4040404, v35
	v_perm_b32 v44, s24, v19, v43
	v_perm_b32 v43, s25, v20, v43
	v_or_b32_e32 v35, 0x3020100, v35
	v_ashrrev_i32_e32 v42, 4, v58
	v_perm_b32 v58, v43, v44, v35
	v_and_b32_e32 v35, 0x7070707, v40
	v_lshrrev_b32_e32 v40, 1, v40
	v_and_b32_e32 v40, 0x4040404, v40
	v_perm_b32 v43, s24, v19, v35
	v_perm_b32 v35, s25, v20, v35
	v_or_b32_e32 v40, 0x3020100, v40
	v_ashrrev_i32_e32 v41, 4, v59
	v_perm_b32 v59, v35, v43, v40
	v_lshrrev_b32_e32 v40, 1, v42
	v_and_b32_e32 v35, 0x7070707, v42
	v_and_b32_e32 v40, 0x4040404, v40
	v_perm_b32 v42, s24, v19, v35
	v_perm_b32 v35, s25, v20, v35
	v_or_b32_e32 v40, 0x3020100, v40
	s_waitcnt vmcnt(10)
	v_cvt_f32_f16_e32 v39, v60
	v_perm_b32 v60, v35, v42, v40
	v_lshrrev_b32_e32 v40, 1, v41
	v_and_b32_e32 v35, 0x7070707, v41
	v_and_b32_e32 v40, 0x4040404, v40
	v_dot4c_i32_i8_e32 v49, v21, v24
	s_waitcnt vmcnt(5)
	v_dot4c_i32_i8_e32 v51, v21, v22
	s_waitcnt vmcnt(4)
	;; [unrolled: 2-line block ×3, first 2 shown]
	v_dot4c_i32_i8_e32 v55, v21, v30
	v_dot4c_i32_i8_e32 v50, v48, v24
	;; [unrolled: 1-line block ×5, first 2 shown]
	v_perm_b32 v41, s24, v19, v35
	v_perm_b32 v35, s25, v20, v35
	v_or_b32_e32 v40, 0x3020100, v40
	v_dot4c_i32_i8_e32 v49, v58, v26
	v_dot4c_i32_i8_e32 v50, v60, v26
	;; [unrolled: 1-line block ×4, first 2 shown]
	s_waitcnt vmcnt(1)
	v_dot4c_i32_i8_e32 v53, v58, v32
	v_dot4c_i32_i8_e32 v54, v60, v32
	s_waitcnt vmcnt(0)
	v_dot4c_i32_i8_e32 v55, v58, v36
	v_dot4c_i32_i8_e32 v56, v60, v36
	v_cvt_f32_f16_e32 v38, v61
	v_perm_b32 v61, v35, v41, v40
	v_dot4c_i32_i8_e32 v49, v45, v25
	v_dot4c_i32_i8_e32 v50, v57, v25
	v_dot4c_i32_i8_e32 v51, v45, v23
	v_dot4c_i32_i8_e32 v52, v57, v23
	v_dot4c_i32_i8_e32 v53, v45, v29
	v_dot4c_i32_i8_e32 v54, v57, v29
	v_dot4c_i32_i8_e32 v55, v45, v31
	v_dot4c_i32_i8_e32 v56, v57, v31
	v_cvt_f32_f16_e32 v40, v63
	v_cvt_f32_f16_e32 v42, v62
	;; [unrolled: 1-line block ×3, first 2 shown]
	v_dot4c_i32_i8_e32 v49, v59, v27
	v_dot4c_i32_i8_e32 v50, v61, v27
	;; [unrolled: 1-line block ×8, first 2 shown]
	v_cvt_f32_i32_e32 v23, v50
	v_cvt_f32_i32_e32 v22, v49
	;; [unrolled: 1-line block ×8, first 2 shown]
	v_pk_mul_f32 v[34:35], v[34:35], v[38:39] op_sel_hi:[0,1]
	v_pk_mul_f32 v[40:41], v[40:41], v[38:39] op_sel_hi:[0,1]
	;; [unrolled: 1-line block ×4, first 2 shown]
	v_pk_fma_f32 v[4:5], v[34:35], v[22:23], v[4:5]
	v_pk_fma_f32 v[6:7], v[40:41], v[24:25], v[6:7]
	;; [unrolled: 1-line block ×4, first 2 shown]
	s_andn2_b64 exec, exec, s[12:13]
	s_cbranch_execnz .LBB235_2
; %bb.3:
	s_or_b64 exec, exec, s[12:13]
	scratch_store_dwordx4 off, v[4:7], off
	scratch_store_dwordx4 off, v[0:3], off offset:16
.LBB235_4:
	s_or_b64 exec, exec, s[6:7]
	v_cmp_eq_u32_e32 vcc, 0, v9
	v_cmp_ne_u32_e64 s[6:7], 0, v9
	v_lshlrev_b32_e32 v10, 2, v8
	s_and_saveexec_b64 s[8:9], s[6:7]
	s_cbranch_execz .LBB235_6
; %bb.5:
	v_lshlrev_b32_e32 v9, 11, v9
	s_movk_i32 s2, 0xf800
	v_add3_u32 v9, v9, v10, s2
	ds_write2st64_b32 v9, v4, v5 offset1:1
	ds_write2st64_b32 v9, v6, v7 offset0:2 offset1:3
	ds_write2st64_b32 v9, v0, v1 offset0:4 offset1:5
	;; [unrolled: 1-line block ×3, first 2 shown]
.LBB235_6:
	s_or_b64 exec, exec, s[8:9]
	s_waitcnt lgkmcnt(0)
	s_barrier
	s_and_saveexec_b64 s[6:7], vcc
	s_cbranch_execz .LBB235_15
; %bb.7:
	scratch_load_dwordx2 v[2:3], off, off
	v_mbcnt_lo_u32_b32 v0, -1, 0
	ds_read2st64_b32 v[4:5], v10 offset1:1
	v_mbcnt_hi_u32_b32 v9, -1, v0
	v_and_b32_e32 v0, 64, v9
	v_xor_b32_e32 v1, 32, v9
	v_add_u32_e32 v14, 64, v0
	v_cmp_lt_i32_e32 vcc, v1, v14
	v_xor_b32_e32 v6, 16, v9
	v_xor_b32_e32 v11, 8, v9
	v_cndmask_b32_e32 v0, v9, v1, vcc
	v_lshlrev_b32_e32 v0, 2, v0
	v_cmp_lt_i32_e32 vcc, v6, v14
	v_xor_b32_e32 v12, 4, v9
	v_xor_b32_e32 v15, 2, v9
	v_cndmask_b32_e32 v1, v9, v6, vcc
	v_lshlrev_b32_e32 v1, 2, v1
	v_cmp_lt_i32_e32 vcc, v11, v14
	s_load_dwordx2 s[0:1], s[0:1], 0x38
	s_mul_i32 s2, s3, s14
	s_mul_i32 s4, s4, s18
	s_add_i32 s2, s2, s5
	s_mov_b32 s3, 0
	s_add_i32 s2, s2, s4
	s_lshl_b64 s[2:3], s[2:3], 2
	s_waitcnt lgkmcnt(0)
	s_add_u32 s2, s0, s2
	s_addc_u32 s3, s1, s3
	s_waitcnt vmcnt(0)
	v_pk_add_f32 v[2:3], v[4:5], v[2:3]
	ds_bpermute_b32 v4, v0, v2
	ds_bpermute_b32 v5, v0, v3
	s_waitcnt lgkmcnt(0)
	v_pk_add_f32 v[4:5], v[2:3], v[4:5]
	ds_bpermute_b32 v6, v1, v4
	ds_bpermute_b32 v7, v1, v5
	v_cndmask_b32_e32 v2, v9, v11, vcc
	v_lshlrev_b32_e32 v2, 2, v2
	v_cmp_lt_i32_e32 vcc, v12, v14
	v_xor_b32_e32 v11, 1, v9
	s_waitcnt lgkmcnt(0)
	v_pk_add_f32 v[4:5], v[4:5], v[6:7]
	ds_bpermute_b32 v6, v2, v4
	ds_bpermute_b32 v7, v2, v5
	v_cndmask_b32_e32 v3, v9, v12, vcc
	v_lshlrev_b32_e32 v3, 2, v3
	v_cmp_lt_i32_e32 vcc, v15, v14
	s_waitcnt lgkmcnt(0)
	v_pk_add_f32 v[6:7], v[4:5], v[6:7]
	ds_bpermute_b32 v12, v3, v6
	ds_bpermute_b32 v13, v3, v7
	v_cndmask_b32_e32 v4, v9, v15, vcc
	v_lshlrev_b32_e32 v4, 2, v4
	v_cmp_lt_i32_e32 vcc, v11, v14
	s_waitcnt lgkmcnt(0)
	v_pk_add_f32 v[6:7], v[6:7], v[12:13]
	ds_bpermute_b32 v12, v4, v6
	ds_bpermute_b32 v13, v4, v7
	v_cndmask_b32_e32 v5, v9, v11, vcc
	v_lshlrev_b32_e32 v5, 2, v5
	v_or_b32_e32 v9, s5, v8
	v_cmp_gt_u32_e32 vcc, 2, v8
	s_waitcnt lgkmcnt(0)
	v_pk_add_f32 v[6:7], v[6:7], v[12:13]
	ds_bpermute_b32 v12, v5, v6
	ds_bpermute_b32 v13, v5, v7
	v_cmp_gt_u32_e64 s[0:1], s10, v9
	s_and_b64 s[0:1], vcc, s[0:1]
	s_waitcnt lgkmcnt(0)
	v_pk_add_f32 v[6:7], v[6:7], v[12:13]
	scratch_store_dwordx2 off, v[6:7], off
	s_and_saveexec_b64 s[4:5], s[0:1]
	s_cbranch_execz .LBB235_9
; %bb.8:
	scratch_load_dword v6, v10, off
	s_waitcnt vmcnt(0)
	global_store_dword v10, v6, s[2:3]
.LBB235_9:
	s_or_b64 exec, exec, s[4:5]
	scratch_load_dwordx2 v[6:7], off, off offset:8
	ds_read2st64_b32 v[12:13], v10 offset0:2 offset1:3
	s_waitcnt vmcnt(0) lgkmcnt(0)
	v_pk_add_f32 v[6:7], v[12:13], v[6:7]
	ds_bpermute_b32 v12, v0, v6
	ds_bpermute_b32 v13, v0, v7
	s_waitcnt lgkmcnt(0)
	v_pk_add_f32 v[6:7], v[6:7], v[12:13]
	ds_bpermute_b32 v12, v1, v6
	ds_bpermute_b32 v13, v1, v7
	s_waitcnt lgkmcnt(0)
	;; [unrolled: 4-line block ×6, first 2 shown]
	v_pk_add_f32 v[6:7], v[6:7], v[12:13]
	scratch_store_dwordx2 off, v[6:7], off offset:8
	s_and_saveexec_b64 s[4:5], s[0:1]
	s_cbranch_execz .LBB235_11
; %bb.10:
	scratch_load_dword v9, v10, off offset:8
	v_add_u32_e32 v6, s10, v8
	v_mov_b32_e32 v7, 0
	v_lshl_add_u64 v[6:7], v[6:7], 2, s[2:3]
	s_waitcnt vmcnt(0)
	global_store_dword v[6:7], v9, off
.LBB235_11:
	s_or_b64 exec, exec, s[4:5]
	scratch_load_dwordx2 v[6:7], off, off offset:16
	ds_read2st64_b32 v[12:13], v10 offset0:4 offset1:5
	s_waitcnt vmcnt(0) lgkmcnt(0)
	v_pk_add_f32 v[6:7], v[12:13], v[6:7]
	ds_bpermute_b32 v12, v0, v6
	ds_bpermute_b32 v13, v0, v7
	s_waitcnt lgkmcnt(0)
	v_pk_add_f32 v[6:7], v[6:7], v[12:13]
	ds_bpermute_b32 v12, v1, v6
	ds_bpermute_b32 v13, v1, v7
	s_waitcnt lgkmcnt(0)
	v_pk_add_f32 v[6:7], v[6:7], v[12:13]
	ds_bpermute_b32 v12, v2, v6
	ds_bpermute_b32 v13, v2, v7
	s_waitcnt lgkmcnt(0)
	v_pk_add_f32 v[6:7], v[6:7], v[12:13]
	ds_bpermute_b32 v12, v3, v6
	ds_bpermute_b32 v13, v3, v7
	s_waitcnt lgkmcnt(0)
	v_pk_add_f32 v[6:7], v[6:7], v[12:13]
	ds_bpermute_b32 v12, v4, v6
	ds_bpermute_b32 v13, v4, v7
	s_waitcnt lgkmcnt(0)
	v_pk_add_f32 v[6:7], v[6:7], v[12:13]
	ds_bpermute_b32 v12, v5, v6
	ds_bpermute_b32 v13, v5, v7
	s_waitcnt lgkmcnt(0)
	v_pk_add_f32 v[6:7], v[6:7], v[12:13]
	scratch_store_dwordx2 off, v[6:7], off offset:16
	s_and_saveexec_b64 s[4:5], s[0:1]
	s_cbranch_execz .LBB235_13
; %bb.12:
	scratch_load_dword v9, v10, off offset:16
	v_lshl_or_b32 v6, s10, 1, v8
	v_mov_b32_e32 v7, 0
	v_lshl_add_u64 v[6:7], v[6:7], 2, s[2:3]
	s_waitcnt vmcnt(0)
	global_store_dword v[6:7], v9, off
.LBB235_13:
	s_or_b64 exec, exec, s[4:5]
	scratch_load_dwordx2 v[6:7], off, off offset:24
	ds_read2st64_b32 v[12:13], v10 offset0:6 offset1:7
	s_waitcnt vmcnt(0) lgkmcnt(0)
	v_pk_add_f32 v[6:7], v[12:13], v[6:7]
	ds_bpermute_b32 v12, v0, v6
	ds_bpermute_b32 v13, v0, v7
	s_waitcnt lgkmcnt(0)
	v_pk_add_f32 v[6:7], v[6:7], v[12:13]
	ds_bpermute_b32 v0, v1, v6
	ds_bpermute_b32 v1, v1, v7
	s_waitcnt lgkmcnt(0)
	;; [unrolled: 4-line block ×6, first 2 shown]
	v_pk_add_f32 v[0:1], v[0:1], v[2:3]
	scratch_store_dwordx2 off, v[0:1], off offset:24
	s_and_b64 exec, exec, s[0:1]
	s_cbranch_execz .LBB235_15
; %bb.14:
	scratch_load_dword v2, v10, off offset:24
	v_mad_u64_u32 v[0:1], s[0:1], s10, 3, v[8:9]
	v_mov_b32_e32 v1, 0
	v_lshl_add_u64 v[0:1], v[0:1], 2, s[2:3]
	s_waitcnt vmcnt(0)
	global_store_dword v[0:1], v2, off
.LBB235_15:
	s_endpgm
	.section	.rodata,"a",@progbits
	.p2align	6, 0x0
	.amdhsa_kernel _ZL13mul_mat_vec_qIL9ggml_type20ELi4ELb0ELb0EEvPKvS2_PKi31ggml_cuda_mm_fusion_args_devicePfj15HIP_vector_typeIjLj3EEjjjS8_jjjS8_jjjj
		.amdhsa_group_segment_fixed_size 2048
		.amdhsa_private_segment_fixed_size 48
		.amdhsa_kernarg_size 144
		.amdhsa_user_sgpr_count 2
		.amdhsa_user_sgpr_dispatch_ptr 0
		.amdhsa_user_sgpr_queue_ptr 0
		.amdhsa_user_sgpr_kernarg_segment_ptr 1
		.amdhsa_user_sgpr_dispatch_id 0
		.amdhsa_user_sgpr_kernarg_preload_length 0
		.amdhsa_user_sgpr_kernarg_preload_offset 0
		.amdhsa_user_sgpr_private_segment_size 0
		.amdhsa_uses_dynamic_stack 0
		.amdhsa_enable_private_segment 1
		.amdhsa_system_sgpr_workgroup_id_x 1
		.amdhsa_system_sgpr_workgroup_id_y 1
		.amdhsa_system_sgpr_workgroup_id_z 1
		.amdhsa_system_sgpr_workgroup_info 0
		.amdhsa_system_vgpr_workitem_id 1
		.amdhsa_next_free_vgpr 65
		.amdhsa_next_free_sgpr 28
		.amdhsa_accum_offset 68
		.amdhsa_reserve_vcc 1
		.amdhsa_float_round_mode_32 0
		.amdhsa_float_round_mode_16_64 0
		.amdhsa_float_denorm_mode_32 3
		.amdhsa_float_denorm_mode_16_64 3
		.amdhsa_dx10_clamp 1
		.amdhsa_ieee_mode 1
		.amdhsa_fp16_overflow 0
		.amdhsa_tg_split 0
		.amdhsa_exception_fp_ieee_invalid_op 0
		.amdhsa_exception_fp_denorm_src 0
		.amdhsa_exception_fp_ieee_div_zero 0
		.amdhsa_exception_fp_ieee_overflow 0
		.amdhsa_exception_fp_ieee_underflow 0
		.amdhsa_exception_fp_ieee_inexact 0
		.amdhsa_exception_int_div_zero 0
	.end_amdhsa_kernel
	.section	.text._ZL13mul_mat_vec_qIL9ggml_type20ELi4ELb0ELb0EEvPKvS2_PKi31ggml_cuda_mm_fusion_args_devicePfj15HIP_vector_typeIjLj3EEjjjS8_jjjS8_jjjj,"axG",@progbits,_ZL13mul_mat_vec_qIL9ggml_type20ELi4ELb0ELb0EEvPKvS2_PKi31ggml_cuda_mm_fusion_args_devicePfj15HIP_vector_typeIjLj3EEjjjS8_jjjS8_jjjj,comdat
.Lfunc_end235:
	.size	_ZL13mul_mat_vec_qIL9ggml_type20ELi4ELb0ELb0EEvPKvS2_PKi31ggml_cuda_mm_fusion_args_devicePfj15HIP_vector_typeIjLj3EEjjjS8_jjjS8_jjjj, .Lfunc_end235-_ZL13mul_mat_vec_qIL9ggml_type20ELi4ELb0ELb0EEvPKvS2_PKi31ggml_cuda_mm_fusion_args_devicePfj15HIP_vector_typeIjLj3EEjjjS8_jjjS8_jjjj
                                        ; -- End function
	.section	.AMDGPU.csdata,"",@progbits
; Kernel info:
; codeLenInByte = 2768
; NumSgprs: 34
; NumVgprs: 65
; NumAgprs: 0
; TotalNumVgprs: 65
; ScratchSize: 48
; MemoryBound: 0
; FloatMode: 240
; IeeeMode: 1
; LDSByteSize: 2048 bytes/workgroup (compile time only)
; SGPRBlocks: 4
; VGPRBlocks: 8
; NumSGPRsForWavesPerEU: 34
; NumVGPRsForWavesPerEU: 65
; AccumOffset: 68
; Occupancy: 7
; WaveLimiterHint : 0
; COMPUTE_PGM_RSRC2:SCRATCH_EN: 1
; COMPUTE_PGM_RSRC2:USER_SGPR: 2
; COMPUTE_PGM_RSRC2:TRAP_HANDLER: 0
; COMPUTE_PGM_RSRC2:TGID_X_EN: 1
; COMPUTE_PGM_RSRC2:TGID_Y_EN: 1
; COMPUTE_PGM_RSRC2:TGID_Z_EN: 1
; COMPUTE_PGM_RSRC2:TIDIG_COMP_CNT: 1
; COMPUTE_PGM_RSRC3_GFX90A:ACCUM_OFFSET: 16
; COMPUTE_PGM_RSRC3_GFX90A:TG_SPLIT: 0
	.section	.text._ZL13mul_mat_vec_qIL9ggml_type20ELi5ELb0ELb0EEvPKvS2_PKi31ggml_cuda_mm_fusion_args_devicePfj15HIP_vector_typeIjLj3EEjjjS8_jjjS8_jjjj,"axG",@progbits,_ZL13mul_mat_vec_qIL9ggml_type20ELi5ELb0ELb0EEvPKvS2_PKi31ggml_cuda_mm_fusion_args_devicePfj15HIP_vector_typeIjLj3EEjjjS8_jjjS8_jjjj,comdat
	.globl	_ZL13mul_mat_vec_qIL9ggml_type20ELi5ELb0ELb0EEvPKvS2_PKi31ggml_cuda_mm_fusion_args_devicePfj15HIP_vector_typeIjLj3EEjjjS8_jjjS8_jjjj ; -- Begin function _ZL13mul_mat_vec_qIL9ggml_type20ELi5ELb0ELb0EEvPKvS2_PKi31ggml_cuda_mm_fusion_args_devicePfj15HIP_vector_typeIjLj3EEjjjS8_jjjS8_jjjj
	.p2align	8
	.type	_ZL13mul_mat_vec_qIL9ggml_type20ELi5ELb0ELb0EEvPKvS2_PKi31ggml_cuda_mm_fusion_args_devicePfj15HIP_vector_typeIjLj3EEjjjS8_jjjS8_jjjj,@function
_ZL13mul_mat_vec_qIL9ggml_type20ELi5ELb0ELb0EEvPKvS2_PKi31ggml_cuda_mm_fusion_args_devicePfj15HIP_vector_typeIjLj3EEjjjS8_jjjS8_jjjj: ; @_ZL13mul_mat_vec_qIL9ggml_type20ELi5ELb0ELb0EEvPKvS2_PKi31ggml_cuda_mm_fusion_args_devicePfj15HIP_vector_typeIjLj3EEjjjS8_jjjS8_jjjj
; %bb.0:
	v_bfe_u32 v9, v0, 10, 10
	v_lshlrev_b32_e32 v1, 6, v9
	v_and_b32_e32 v8, 0x3ff, v0
	s_mov_b32 s20, 0
	s_load_dword s5, s[0:1], 0x40
	s_load_dwordx4 s[8:11], s[0:1], 0x50
	s_load_dword s25, s[0:1], 0x60
	s_load_dwordx4 s[12:15], s[0:1], 0x68
	;; [unrolled: 2-line block ×3, first 2 shown]
	s_mov_b32 s21, s20
	v_add_u16_e32 v0, v1, v8
	s_waitcnt lgkmcnt(0)
	s_lshr_b32 s5, s5, 5
	v_mov_b32_e32 v11, 0
	s_mov_b32 s22, s20
	s_mov_b32 s23, s20
	v_mov_b64_e32 v[2:3], s[20:21]
	v_lshrrev_b16_e32 v22, 1, v0
	s_lshl_b32 s2, s2, 1
	v_mov_b32_e32 v10, v11
	v_mov_b64_e32 v[4:5], s[22:23]
	v_cmp_gt_u32_e32 vcc, s5, v22
	scratch_store_dwordx2 off, v[10:11], off offset:32
	scratch_store_dwordx4 off, v[2:5], off offset:16
	scratch_store_dwordx4 off, v[2:5], off
	s_and_saveexec_b64 s[6:7], vcc
	s_cbranch_execz .LBB236_4
; %bb.1:
	s_load_dwordx4 s[20:23], s[0:1], 0x0
	s_mul_i32 s17, s4, s17
	s_mul_hi_u32 s19, s17, 36
	s_mul_i32 s17, s17, 36
	s_mul_i32 s13, s3, s13
	s_waitcnt lgkmcnt(0)
	s_add_u32 s17, s22, s17
	s_addc_u32 s19, s23, s19
	s_mul_hi_u32 s23, s13, 36
	s_mul_i32 s13, s13, 36
	s_add_u32 s22, s17, s13
	s_mul_hi_u32 s11, s11, s3
	s_addc_u32 s23, s19, s23
	s_add_i32 s11, s3, s11
	v_and_b32_e32 v3, 1, v8
	s_lshr_b32 s11, s11, s25
	v_lshlrev_b32_e32 v10, 3, v3
	v_and_b32_e32 v3, v1, v8
	v_xor_b32_e32 v1, v1, v8
	s_mul_i32 s17, s11, s12
	s_mul_hi_u32 s11, s15, s4
	v_lshrrev_b16_e32 v1, 1, v1
	s_add_i32 s11, s4, s11
	v_add_u16_e32 v1, v3, v1
	s_lshr_b32 s11, s11, s24
	v_lshlrev_b32_e32 v0, 1, v8
	v_mad_u64_u32 v[12:13], s[12:13], v1, 36, s[22:23]
	s_mul_i32 s16, s11, s16
	v_and_b32_e32 v0, 2, v0
	s_add_i32 s13, s2, 1
	v_lshlrev_b32_e32 v2, 1, v0
	s_mul_i32 s24, s2, s8
	s_add_i32 s12, s16, s17
	s_mul_i32 s8, s8, s13
	s_lshl_b32 s11, s9, 1
	s_mul_i32 s15, s9, 3
	s_lshl_b32 s19, s9, 2
	s_add_i32 s8, s12, s8
	s_add_i32 s24, s12, s24
	s_mov_b64 s[12:13], 0
	v_lshlrev_b32_e32 v14, 1, v2
	s_mov_b32 s25, 0xf6eaddcf
	v_mov_b32_e32 v23, 0xbfad9881
	s_mov_b32 s26, 0x71594535
	v_mov_b32_e32 v24, 0x26190d01
	v_lshlrev_b32_e32 v18, 2, v0
	s_mov_b64 s[16:17], 0x480
	v_mov_b32_e32 v15, v11
	v_mov_b32_e32 v19, v11
	;; [unrolled: 1-line block ×12, first 2 shown]
.LBB236_2:                              ; =>This Inner Loop Header: Depth=1
	global_load_dword v50, v[12:13], off
	v_add_u32_e32 v25, s24, v22
	v_add_u32_e32 v28, s8, v22
	;; [unrolled: 1-line block ×4, first 2 shown]
	v_mad_i64_i32 v[26:27], s[28:29], v25, 18, s[20:21]
	v_add_u32_e32 v32, s11, v22
	v_add_u32_e32 v34, s15, v22
	v_mad_i64_i32 v[28:29], s[28:29], v28, 18, s[20:21]
	v_mad_u64_u32 v[30:31], s[28:29], v30, 36, s[22:23]
	v_mad_u64_u32 v[36:37], s[28:29], v36, 36, s[22:23]
	v_lshl_add_u64 v[38:39], v[26:27], 0, v[14:15]
	v_mad_u64_u32 v[32:33], s[28:29], v32, 36, s[22:23]
	v_mad_u64_u32 v[34:35], s[28:29], v34, 36, s[22:23]
	v_lshl_add_u64 v[40:41], v[28:29], 0, v[14:15]
	v_lshl_add_u64 v[42:43], v[30:31], 0, v[18:19]
	;; [unrolled: 1-line block ×3, first 2 shown]
	global_load_dword v25, v[38:39], off offset:2
	global_load_dword v51, v[38:39], off offset:6
	global_load_dword v57, v[40:41], off offset:2
	global_load_dword v58, v[40:41], off offset:6
	global_load_ushort v59, v[28:29], off
	global_load_ushort v60, v[26:27], off
	global_load_dwordx2 v[46:47], v[42:43], off offset:20
	global_load_dword v61, v[32:33], off
	global_load_dword v62, v[30:31], off
	;; [unrolled: 1-line block ×3, first 2 shown]
	global_load_dwordx2 v[48:49], v[44:45], off offset:20
                                        ; kill: killed $vgpr30_vgpr31
                                        ; kill: killed $vgpr40_vgpr41
                                        ; kill: killed $vgpr38_vgpr39
                                        ; kill: killed $vgpr26_vgpr27
                                        ; kill: killed $vgpr28_vgpr29
	global_load_dword v27, v[36:37], off
	v_lshl_add_u64 v[20:21], v[12:13], 0, v[10:11]
	v_mov_b32_e32 v52, 0
	v_mov_b32_e32 v53, 0
	;; [unrolled: 1-line block ×5, first 2 shown]
	v_add_u32_e32 v22, 32, v22
	v_cmp_le_u32_e32 vcc, s5, v22
	v_lshl_add_u64 v[12:13], v[12:13], 0, s[16:17]
	s_or_b64 s[12:13], vcc, s[12:13]
	s_waitcnt vmcnt(12)
	v_cvt_f32_f16_e32 v26, v50
	s_waitcnt vmcnt(11)
	v_ashrrev_i32_e32 v31, 4, v25
	s_waitcnt vmcnt(10)
	v_lshrrev_b32_e32 v36, 1, v51
	v_and_b32_e32 v30, 0x7070707, v51
	s_waitcnt vmcnt(9)
	v_lshrrev_b32_e32 v40, 1, v57
	v_and_b32_e32 v36, 0x4040404, v36
	v_ashrrev_i32_e32 v38, 4, v57
	v_and_b32_e32 v39, 0x7070707, v57
	v_perm_b32 v57, s25, v23, v30
	v_perm_b32 v30, s26, v24, v30
	v_or_b32_e32 v36, 0x3020100, v36
	v_and_b32_e32 v40, 0x4040404, v40
	v_and_b32_e32 v28, 0x7070707, v25
	v_lshrrev_b32_e32 v25, 1, v25
	v_ashrrev_i32_e32 v37, 4, v51
	s_waitcnt vmcnt(8)
	v_and_b32_e32 v50, 0x7070707, v58
	v_lshrrev_b32_e32 v51, 1, v58
	v_perm_b32 v57, v30, v57, v36
	v_perm_b32 v36, s25, v23, v39
	;; [unrolled: 1-line block ×3, first 2 shown]
	v_or_b32_e32 v40, 0x3020100, v40
	v_ashrrev_i32_e32 v41, 4, v58
	v_and_b32_e32 v25, 0x4040404, v25
	v_perm_b32 v58, v39, v36, v40
	v_perm_b32 v39, s25, v23, v50
	;; [unrolled: 1-line block ×3, first 2 shown]
	v_and_b32_e32 v50, 0x4040404, v51
	v_perm_b32 v29, s25, v23, v28
	v_perm_b32 v28, s26, v24, v28
	v_or_b32_e32 v25, 0x3020100, v25
	v_or_b32_e32 v50, 0x3020100, v50
	v_perm_b32 v25, v28, v29, v25
	s_waitcnt vmcnt(7)
	v_cvt_f32_f16_e32 v29, v59
	v_perm_b32 v59, v40, v39, v50
	v_and_b32_e32 v39, 0x7070707, v31
	v_lshrrev_b32_e32 v31, 1, v31
	v_and_b32_e32 v31, 0x4040404, v31
	v_perm_b32 v40, s25, v23, v39
	v_perm_b32 v39, s26, v24, v39
	v_or_b32_e32 v31, 0x3020100, v31
	s_waitcnt vmcnt(6)
	v_cvt_f32_f16_e32 v28, v60
	v_perm_b32 v60, v39, v40, v31
	v_and_b32_e32 v31, 0x7070707, v37
	v_lshrrev_b32_e32 v37, 1, v37
	v_and_b32_e32 v37, 0x4040404, v37
	v_perm_b32 v39, s25, v23, v31
	v_perm_b32 v31, s26, v24, v31
	v_or_b32_e32 v37, 0x3020100, v37
	s_waitcnt vmcnt(4)
	v_cvt_f32_f16_e32 v36, v61
	v_perm_b32 v61, v31, v39, v37
	v_lshrrev_b32_e32 v37, 1, v38
	v_and_b32_e32 v31, 0x7070707, v38
	v_and_b32_e32 v37, 0x4040404, v37
	v_perm_b32 v38, s25, v23, v31
	v_perm_b32 v31, s26, v24, v31
	v_or_b32_e32 v37, 0x3020100, v37
	s_waitcnt vmcnt(3)
	v_cvt_f32_f16_e32 v30, v62
	v_perm_b32 v62, v31, v38, v37
	v_lshrrev_b32_e32 v37, 1, v41
	v_and_b32_e32 v31, 0x7070707, v41
	v_and_b32_e32 v37, 0x4040404, v37
	v_perm_b32 v38, s25, v23, v31
	v_perm_b32 v31, s26, v24, v31
	v_or_b32_e32 v37, 0x3020100, v37
	v_perm_b32 v64, v31, v38, v37
	s_waitcnt vmcnt(2)
	v_cvt_f32_f16_e32 v38, v63
	s_waitcnt vmcnt(0)
	v_cvt_f32_f16_e32 v40, v27
	v_pk_mul_f32 v[26:27], v[26:27], v[28:29] op_sel_hi:[0,1]
	v_pk_mul_f32 v[30:31], v[30:31], v[28:29] op_sel_hi:[0,1]
	v_pk_mul_f32 v[36:37], v[36:37], v[28:29] op_sel_hi:[0,1]
	v_pk_mul_f32 v[38:39], v[38:39], v[28:29] op_sel_hi:[0,1]
	v_pk_mul_f32 v[28:29], v[40:41], v[28:29] op_sel_hi:[0,1]
	global_load_dwordx2 v[40:41], v[20:21], off offset:4
	global_load_dwordx2 v[50:51], v[20:21], off offset:20
	v_lshl_add_u64 v[20:21], v[32:33], 0, v[18:19]
	v_lshl_add_u64 v[32:33], v[34:35], 0, v[18:19]
	global_load_dwordx2 v[34:35], v[42:43], off offset:4
	v_mov_b32_e32 v63, 0
	v_mov_b32_e32 v42, 0
	;; [unrolled: 1-line block ×3, first 2 shown]
	s_waitcnt vmcnt(2)
	v_dot4c_i32_i8_e32 v52, v25, v40
	v_dot4c_i32_i8_e32 v53, v58, v40
	s_waitcnt vmcnt(1)
	v_dot4c_i32_i8_e32 v52, v60, v50
	v_dot4c_i32_i8_e32 v53, v62, v50
	;; [unrolled: 3-line block ×3, first 2 shown]
	v_dot4c_i32_i8_e32 v54, v60, v46
	v_dot4c_i32_i8_e32 v55, v62, v46
	;; [unrolled: 1-line block ×6, first 2 shown]
	global_load_dwordx2 v[34:35], v[20:21], off offset:4
	global_load_dwordx2 v[40:41], v[20:21], off offset:20
	v_mov_b32_e32 v50, 0
	v_dot4c_i32_i8_e32 v52, v61, v51
	v_dot4c_i32_i8_e32 v53, v64, v51
	;; [unrolled: 1-line block ×4, first 2 shown]
	s_waitcnt vmcnt(1)
	v_dot4c_i32_i8_e32 v56, v25, v34
	v_dot4c_i32_i8_e32 v50, v58, v34
	s_waitcnt vmcnt(0)
	v_dot4c_i32_i8_e32 v56, v60, v40
	v_dot4c_i32_i8_e32 v50, v62, v40
	;; [unrolled: 1-line block ×4, first 2 shown]
	global_load_dwordx2 v[20:21], v[32:33], off offset:4
	global_load_dwordx2 v[34:35], v[44:45], off offset:4
	v_dot4c_i32_i8_e32 v56, v61, v41
	global_load_dwordx2 v[32:33], v[32:33], off offset:20
	v_dot4c_i32_i8_e32 v50, v64, v41
	s_waitcnt vmcnt(2)
	v_dot4c_i32_i8_e32 v63, v25, v20
	s_waitcnt vmcnt(1)
	v_dot4c_i32_i8_e32 v42, v25, v34
	v_mov_b32_e32 v25, 0
	v_dot4c_i32_i8_e32 v25, v58, v20
	v_dot4c_i32_i8_e32 v43, v58, v34
	s_waitcnt vmcnt(0)
	v_dot4c_i32_i8_e32 v63, v60, v32
	v_dot4c_i32_i8_e32 v42, v60, v48
	;; [unrolled: 1-line block ×12, first 2 shown]
	v_cvt_f32_i32_e32 v21, v53
	v_cvt_f32_i32_e32 v20, v52
	;; [unrolled: 1-line block ×10, first 2 shown]
	v_pk_fma_f32 v[4:5], v[26:27], v[20:21], v[4:5]
	v_pk_fma_f32 v[6:7], v[30:31], v[32:33], v[6:7]
	v_pk_fma_f32 v[0:1], v[36:37], v[34:35], v[0:1]
	v_pk_fma_f32 v[2:3], v[38:39], v[40:41], v[2:3]
	v_pk_fma_f32 v[16:17], v[28:29], v[42:43], v[16:17]
	s_andn2_b64 exec, exec, s[12:13]
	s_cbranch_execnz .LBB236_2
; %bb.3:
	s_or_b64 exec, exec, s[12:13]
	scratch_store_dwordx4 off, v[4:7], off
	scratch_store_dwordx4 off, v[0:3], off offset:16
	scratch_store_dwordx2 off, v[16:17], off offset:32
.LBB236_4:
	s_or_b64 exec, exec, s[6:7]
	s_mov_b32 s5, 0
	v_cmp_eq_u32_e32 vcc, 0, v9
	s_waitcnt lgkmcnt(0)
	; wave barrier
	s_and_saveexec_b64 s[6:7], vcc
	s_cbranch_execz .LBB236_15
; %bb.5:
	scratch_load_dwordx2 v[2:3], off, off
	v_mbcnt_lo_u32_b32 v0, -1, 0
	v_mbcnt_hi_u32_b32 v9, -1, v0
	s_load_dwordx2 s[6:7], s[0:1], 0x38
	s_mul_i32 s0, s3, s14
	v_or_b32_e32 v1, s2, v8
	v_and_b32_e32 v0, 64, v9
	s_mul_i32 s4, s4, s18
	s_add_i32 s2, s0, s2
	v_cmp_gt_u32_e64 s[0:1], s10, v1
	v_xor_b32_e32 v1, 32, v9
	v_add_u32_e32 v14, 64, v0
	s_add_i32 s4, s2, s4
	v_cmp_lt_i32_e64 s[2:3], v1, v14
	v_cmp_gt_u32_e32 vcc, 2, v8
	s_nop 0
	v_cndmask_b32_e64 v0, v9, v1, s[2:3]
	v_lshlrev_b32_e32 v0, 2, v0
	v_xor_b32_e32 v1, 16, v9
	v_cmp_lt_i32_e64 s[2:3], v1, v14
	s_waitcnt vmcnt(0)
	ds_bpermute_b32 v4, v0, v2
	ds_bpermute_b32 v5, v0, v3
	v_cndmask_b32_e64 v1, v9, v1, s[2:3]
	v_lshlrev_b32_e32 v1, 2, v1
	s_waitcnt lgkmcnt(0)
	v_pk_add_f32 v[4:5], v[2:3], v[4:5]
	ds_bpermute_b32 v6, v1, v4
	ds_bpermute_b32 v7, v1, v5
	v_xor_b32_e32 v2, 8, v9
	v_cmp_lt_i32_e64 s[2:3], v2, v14
	v_xor_b32_e32 v3, 4, v9
	s_waitcnt lgkmcnt(0)
	v_pk_add_f32 v[4:5], v[4:5], v[6:7]
	v_cndmask_b32_e64 v2, v9, v2, s[2:3]
	v_lshlrev_b32_e32 v2, 2, v2
	ds_bpermute_b32 v6, v2, v4
	ds_bpermute_b32 v7, v2, v5
	v_cmp_lt_i32_e64 s[2:3], v3, v14
	s_waitcnt lgkmcnt(0)
	v_pk_add_f32 v[6:7], v[4:5], v[6:7]
	v_cndmask_b32_e64 v3, v9, v3, s[2:3]
	v_lshlrev_b32_e32 v3, 2, v3
	ds_bpermute_b32 v10, v3, v6
	ds_bpermute_b32 v11, v3, v7
	v_xor_b32_e32 v4, 2, v9
	v_cmp_lt_i32_e64 s[2:3], v4, v14
	v_xor_b32_e32 v5, 1, v9
	s_waitcnt lgkmcnt(0)
	v_pk_add_f32 v[10:11], v[6:7], v[10:11]
	v_cndmask_b32_e64 v4, v9, v4, s[2:3]
	v_lshlrev_b32_e32 v4, 2, v4
	ds_bpermute_b32 v12, v4, v10
	ds_bpermute_b32 v13, v4, v11
	v_cmp_lt_i32_e64 s[2:3], v5, v14
	s_waitcnt lgkmcnt(0)
	v_pk_add_f32 v[10:11], v[10:11], v[12:13]
	v_cndmask_b32_e64 v5, v9, v5, s[2:3]
	v_lshlrev_b32_e32 v6, 2, v5
	ds_bpermute_b32 v12, v6, v10
	ds_bpermute_b32 v13, v6, v11
	s_lshl_b64 s[2:3], s[4:5], 2
	s_add_u32 s2, s6, s2
	s_addc_u32 s3, s7, s3
	s_and_b64 s[0:1], vcc, s[0:1]
	s_waitcnt lgkmcnt(0)
	v_pk_add_f32 v[10:11], v[10:11], v[12:13]
	v_lshlrev_b32_e32 v5, 2, v8
	scratch_store_dwordx2 off, v[10:11], off
	s_and_saveexec_b64 s[4:5], s[0:1]
	s_cbranch_execz .LBB236_7
; %bb.6:
	scratch_load_dword v7, v5, off
	s_waitcnt vmcnt(0)
	global_store_dword v5, v7, s[2:3]
.LBB236_7:
	s_or_b64 exec, exec, s[4:5]
	scratch_load_dwordx2 v[10:11], off, off offset:8
	s_waitcnt vmcnt(0)
	ds_bpermute_b32 v12, v0, v10
	ds_bpermute_b32 v13, v0, v11
	s_waitcnt lgkmcnt(0)
	v_pk_add_f32 v[10:11], v[10:11], v[12:13]
	ds_bpermute_b32 v12, v1, v10
	ds_bpermute_b32 v13, v1, v11
	s_waitcnt lgkmcnt(0)
	v_pk_add_f32 v[10:11], v[10:11], v[12:13]
	;; [unrolled: 4-line block ×6, first 2 shown]
	scratch_store_dwordx2 off, v[10:11], off offset:8
	s_and_saveexec_b64 s[4:5], s[0:1]
	s_cbranch_execz .LBB236_9
; %bb.8:
	scratch_load_dword v7, v5, off offset:8
	v_add_u32_e32 v10, s10, v8
	v_mov_b32_e32 v11, 0
	v_lshl_add_u64 v[10:11], v[10:11], 2, s[2:3]
	s_waitcnt vmcnt(0)
	global_store_dword v[10:11], v7, off
.LBB236_9:
	s_or_b64 exec, exec, s[4:5]
	scratch_load_dwordx2 v[10:11], off, off offset:16
	s_waitcnt vmcnt(0)
	ds_bpermute_b32 v12, v0, v10
	ds_bpermute_b32 v13, v0, v11
	s_waitcnt lgkmcnt(0)
	v_pk_add_f32 v[10:11], v[10:11], v[12:13]
	ds_bpermute_b32 v12, v1, v10
	ds_bpermute_b32 v13, v1, v11
	s_waitcnt lgkmcnt(0)
	v_pk_add_f32 v[10:11], v[10:11], v[12:13]
	;; [unrolled: 4-line block ×6, first 2 shown]
	scratch_store_dwordx2 off, v[10:11], off offset:16
	s_and_saveexec_b64 s[4:5], s[0:1]
	s_cbranch_execz .LBB236_11
; %bb.10:
	scratch_load_dword v7, v5, off offset:16
	v_lshl_or_b32 v10, s10, 1, v8
	v_mov_b32_e32 v11, 0
	v_lshl_add_u64 v[10:11], v[10:11], 2, s[2:3]
	s_waitcnt vmcnt(0)
	global_store_dword v[10:11], v7, off
.LBB236_11:
	s_or_b64 exec, exec, s[4:5]
	scratch_load_dwordx2 v[10:11], off, off offset:24
	s_waitcnt vmcnt(0)
	ds_bpermute_b32 v12, v0, v10
	ds_bpermute_b32 v13, v0, v11
	s_waitcnt lgkmcnt(0)
	v_pk_add_f32 v[10:11], v[10:11], v[12:13]
	ds_bpermute_b32 v12, v1, v10
	ds_bpermute_b32 v13, v1, v11
	s_waitcnt lgkmcnt(0)
	v_pk_add_f32 v[10:11], v[10:11], v[12:13]
	;; [unrolled: 4-line block ×6, first 2 shown]
	scratch_store_dwordx2 off, v[10:11], off offset:24
	s_and_saveexec_b64 s[4:5], s[0:1]
	s_cbranch_execz .LBB236_13
; %bb.12:
	scratch_load_dword v7, v5, off offset:24
	v_mad_u64_u32 v[10:11], s[6:7], s10, 3, v[8:9]
	v_mov_b32_e32 v11, 0
	v_lshl_add_u64 v[10:11], v[10:11], 2, s[2:3]
	s_waitcnt vmcnt(0)
	global_store_dword v[10:11], v7, off
.LBB236_13:
	s_or_b64 exec, exec, s[4:5]
	scratch_load_dwordx2 v[10:11], off, off offset:32
	s_waitcnt vmcnt(0)
	ds_bpermute_b32 v12, v0, v10
	ds_bpermute_b32 v13, v0, v11
	s_waitcnt lgkmcnt(0)
	v_pk_add_f32 v[10:11], v[10:11], v[12:13]
	ds_bpermute_b32 v0, v1, v10
	ds_bpermute_b32 v1, v1, v11
	s_waitcnt lgkmcnt(0)
	v_pk_add_f32 v[0:1], v[10:11], v[0:1]
	;; [unrolled: 4-line block ×6, first 2 shown]
	scratch_store_dwordx2 off, v[0:1], off offset:32
	s_and_b64 exec, exec, s[0:1]
	s_cbranch_execz .LBB236_15
; %bb.14:
	scratch_load_dword v2, v5, off offset:32
	v_lshl_or_b32 v0, s10, 2, v8
	v_mov_b32_e32 v1, 0
	v_lshl_add_u64 v[0:1], v[0:1], 2, s[2:3]
	s_waitcnt vmcnt(0)
	global_store_dword v[0:1], v2, off
.LBB236_15:
	s_endpgm
	.section	.rodata,"a",@progbits
	.p2align	6, 0x0
	.amdhsa_kernel _ZL13mul_mat_vec_qIL9ggml_type20ELi5ELb0ELb0EEvPKvS2_PKi31ggml_cuda_mm_fusion_args_devicePfj15HIP_vector_typeIjLj3EEjjjS8_jjjS8_jjjj
		.amdhsa_group_segment_fixed_size 0
		.amdhsa_private_segment_fixed_size 48
		.amdhsa_kernarg_size 144
		.amdhsa_user_sgpr_count 2
		.amdhsa_user_sgpr_dispatch_ptr 0
		.amdhsa_user_sgpr_queue_ptr 0
		.amdhsa_user_sgpr_kernarg_segment_ptr 1
		.amdhsa_user_sgpr_dispatch_id 0
		.amdhsa_user_sgpr_kernarg_preload_length 0
		.amdhsa_user_sgpr_kernarg_preload_offset 0
		.amdhsa_user_sgpr_private_segment_size 0
		.amdhsa_uses_dynamic_stack 0
		.amdhsa_enable_private_segment 1
		.amdhsa_system_sgpr_workgroup_id_x 1
		.amdhsa_system_sgpr_workgroup_id_y 1
		.amdhsa_system_sgpr_workgroup_id_z 1
		.amdhsa_system_sgpr_workgroup_info 0
		.amdhsa_system_vgpr_workitem_id 1
		.amdhsa_next_free_vgpr 65
		.amdhsa_next_free_sgpr 30
		.amdhsa_accum_offset 68
		.amdhsa_reserve_vcc 1
		.amdhsa_float_round_mode_32 0
		.amdhsa_float_round_mode_16_64 0
		.amdhsa_float_denorm_mode_32 3
		.amdhsa_float_denorm_mode_16_64 3
		.amdhsa_dx10_clamp 1
		.amdhsa_ieee_mode 1
		.amdhsa_fp16_overflow 0
		.amdhsa_tg_split 0
		.amdhsa_exception_fp_ieee_invalid_op 0
		.amdhsa_exception_fp_denorm_src 0
		.amdhsa_exception_fp_ieee_div_zero 0
		.amdhsa_exception_fp_ieee_overflow 0
		.amdhsa_exception_fp_ieee_underflow 0
		.amdhsa_exception_fp_ieee_inexact 0
		.amdhsa_exception_int_div_zero 0
	.end_amdhsa_kernel
	.section	.text._ZL13mul_mat_vec_qIL9ggml_type20ELi5ELb0ELb0EEvPKvS2_PKi31ggml_cuda_mm_fusion_args_devicePfj15HIP_vector_typeIjLj3EEjjjS8_jjjS8_jjjj,"axG",@progbits,_ZL13mul_mat_vec_qIL9ggml_type20ELi5ELb0ELb0EEvPKvS2_PKi31ggml_cuda_mm_fusion_args_devicePfj15HIP_vector_typeIjLj3EEjjjS8_jjjS8_jjjj,comdat
.Lfunc_end236:
	.size	_ZL13mul_mat_vec_qIL9ggml_type20ELi5ELb0ELb0EEvPKvS2_PKi31ggml_cuda_mm_fusion_args_devicePfj15HIP_vector_typeIjLj3EEjjjS8_jjjS8_jjjj, .Lfunc_end236-_ZL13mul_mat_vec_qIL9ggml_type20ELi5ELb0ELb0EEvPKvS2_PKi31ggml_cuda_mm_fusion_args_devicePfj15HIP_vector_typeIjLj3EEjjjS8_jjjS8_jjjj
                                        ; -- End function
	.section	.AMDGPU.csdata,"",@progbits
; Kernel info:
; codeLenInByte = 3060
; NumSgprs: 36
; NumVgprs: 65
; NumAgprs: 0
; TotalNumVgprs: 65
; ScratchSize: 48
; MemoryBound: 0
; FloatMode: 240
; IeeeMode: 1
; LDSByteSize: 0 bytes/workgroup (compile time only)
; SGPRBlocks: 4
; VGPRBlocks: 8
; NumSGPRsForWavesPerEU: 36
; NumVGPRsForWavesPerEU: 65
; AccumOffset: 68
; Occupancy: 7
; WaveLimiterHint : 0
; COMPUTE_PGM_RSRC2:SCRATCH_EN: 1
; COMPUTE_PGM_RSRC2:USER_SGPR: 2
; COMPUTE_PGM_RSRC2:TRAP_HANDLER: 0
; COMPUTE_PGM_RSRC2:TGID_X_EN: 1
; COMPUTE_PGM_RSRC2:TGID_Y_EN: 1
; COMPUTE_PGM_RSRC2:TGID_Z_EN: 1
; COMPUTE_PGM_RSRC2:TIDIG_COMP_CNT: 1
; COMPUTE_PGM_RSRC3_GFX90A:ACCUM_OFFSET: 16
; COMPUTE_PGM_RSRC3_GFX90A:TG_SPLIT: 0
	.section	.text._ZL13mul_mat_vec_qIL9ggml_type20ELi6ELb0ELb0EEvPKvS2_PKi31ggml_cuda_mm_fusion_args_devicePfj15HIP_vector_typeIjLj3EEjjjS8_jjjS8_jjjj,"axG",@progbits,_ZL13mul_mat_vec_qIL9ggml_type20ELi6ELb0ELb0EEvPKvS2_PKi31ggml_cuda_mm_fusion_args_devicePfj15HIP_vector_typeIjLj3EEjjjS8_jjjS8_jjjj,comdat
	.globl	_ZL13mul_mat_vec_qIL9ggml_type20ELi6ELb0ELb0EEvPKvS2_PKi31ggml_cuda_mm_fusion_args_devicePfj15HIP_vector_typeIjLj3EEjjjS8_jjjS8_jjjj ; -- Begin function _ZL13mul_mat_vec_qIL9ggml_type20ELi6ELb0ELb0EEvPKvS2_PKi31ggml_cuda_mm_fusion_args_devicePfj15HIP_vector_typeIjLj3EEjjjS8_jjjS8_jjjj
	.p2align	8
	.type	_ZL13mul_mat_vec_qIL9ggml_type20ELi6ELb0ELb0EEvPKvS2_PKi31ggml_cuda_mm_fusion_args_devicePfj15HIP_vector_typeIjLj3EEjjjS8_jjjS8_jjjj,@function
_ZL13mul_mat_vec_qIL9ggml_type20ELi6ELb0ELb0EEvPKvS2_PKi31ggml_cuda_mm_fusion_args_devicePfj15HIP_vector_typeIjLj3EEjjjS8_jjjS8_jjjj: ; @_ZL13mul_mat_vec_qIL9ggml_type20ELi6ELb0ELb0EEvPKvS2_PKi31ggml_cuda_mm_fusion_args_devicePfj15HIP_vector_typeIjLj3EEjjjS8_jjjS8_jjjj
; %bb.0:
	v_bfe_u32 v13, v0, 10, 10
	v_lshlrev_b32_e32 v1, 6, v13
	v_and_b32_e32 v12, 0x3ff, v0
	s_mov_b32 s20, 0
	s_load_dword s5, s[0:1], 0x40
	s_load_dwordx4 s[8:11], s[0:1], 0x50
	s_load_dword s25, s[0:1], 0x60
	s_load_dwordx4 s[12:15], s[0:1], 0x68
	;; [unrolled: 2-line block ×3, first 2 shown]
	s_mov_b32 s21, s20
	v_add_u16_e32 v0, v1, v12
	s_waitcnt lgkmcnt(0)
	s_lshr_b32 s5, s5, 5
	s_mov_b32 s22, s20
	s_mov_b32 s23, s20
	v_mov_b64_e32 v[2:3], s[20:21]
	v_lshrrev_b16_e32 v22, 1, v0
	s_lshl_b32 s2, s2, 1
	v_mov_b64_e32 v[4:5], s[22:23]
	v_cmp_gt_u32_e32 vcc, s5, v22
	scratch_store_dwordx4 off, v[2:5], off offset:32
	scratch_store_dwordx4 off, v[2:5], off offset:16
	scratch_store_dwordx4 off, v[2:5], off
	s_and_saveexec_b64 s[6:7], vcc
	s_cbranch_execz .LBB237_4
; %bb.1:
	s_load_dwordx4 s[20:23], s[0:1], 0x0
	s_mul_i32 s17, s4, s17
	s_mul_hi_u32 s19, s17, 36
	s_mul_i32 s17, s17, 36
	s_mul_i32 s13, s3, s13
	s_waitcnt lgkmcnt(0)
	s_add_u32 s17, s22, s17
	s_addc_u32 s19, s23, s19
	s_mul_hi_u32 s23, s13, 36
	s_mul_i32 s13, s13, 36
	s_add_u32 s22, s17, s13
	s_mul_hi_u32 s11, s11, s3
	s_addc_u32 s23, s19, s23
	s_add_i32 s11, s3, s11
	v_and_b32_e32 v3, 1, v12
	s_lshr_b32 s11, s11, s25
	v_lshlrev_b32_e32 v14, 3, v3
	v_and_b32_e32 v3, v1, v12
	v_xor_b32_e32 v1, v1, v12
	s_mul_i32 s17, s11, s12
	s_mul_hi_u32 s11, s15, s4
	v_lshrrev_b16_e32 v1, 1, v1
	s_add_i32 s11, s4, s11
	v_add_u16_e32 v1, v3, v1
	s_lshr_b32 s11, s11, s24
	v_lshlrev_b32_e32 v0, 1, v12
	v_mad_u64_u32 v[16:17], s[12:13], v1, 36, s[22:23]
	s_mul_i32 s16, s11, s16
	v_and_b32_e32 v0, 2, v0
	s_add_i32 s13, s2, 1
	v_mov_b32_e32 v15, 0
	v_lshlrev_b32_e32 v2, 1, v0
	s_mul_i32 s25, s2, s8
	s_add_i32 s12, s16, s17
	s_mul_i32 s8, s8, s13
	s_lshl_b32 s11, s9, 1
	s_mul_i32 s15, s9, 3
	s_lshl_b32 s19, s9, 2
	s_mul_i32 s24, s9, 5
	s_add_i32 s8, s12, s8
	s_add_i32 s25, s12, s25
	s_mov_b64 s[12:13], 0
	v_lshlrev_b32_e32 v18, 1, v2
	s_mov_b32 s26, 0xf6eaddcf
	v_mov_b32_e32 v23, 0xbfad9881
	s_mov_b32 s27, 0x71594535
	v_mov_b32_e32 v24, 0x26190d01
	v_lshlrev_b32_e32 v20, 2, v0
	s_mov_b64 s[16:17], 0x480
	v_mov_b32_e32 v19, v15
	v_mov_b32_e32 v21, v15
	;; [unrolled: 1-line block ×14, first 2 shown]
.LBB237_2:                              ; =>This Inner Loop Header: Depth=1
	v_add_u32_e32 v25, s25, v22
	v_lshl_add_u64 v[26:27], v[16:17], 0, v[14:15]
	v_add_u32_e32 v32, s8, v22
	v_add_u32_e32 v34, s9, v22
	global_load_dwordx2 v[28:29], v[26:27], off offset:4
	global_load_dwordx2 v[30:31], v[26:27], off offset:20
	v_mad_i64_i32 v[26:27], s[28:29], v25, 18, s[20:21]
	v_mad_i64_i32 v[32:33], s[28:29], v32, 18, s[20:21]
	v_add_u32_e32 v36, s11, v22
	v_mad_u64_u32 v[34:35], s[28:29], v34, 36, s[22:23]
	v_lshl_add_u64 v[42:43], v[26:27], 0, v[18:19]
	v_lshl_add_u64 v[44:45], v[32:33], 0, v[18:19]
	v_mad_u64_u32 v[36:37], s[28:29], v36, 36, s[22:23]
	v_lshl_add_u64 v[46:47], v[34:35], 0, v[20:21]
	global_load_dword v25, v[42:43], off offset:2
	global_load_dword v59, v[42:43], off offset:6
	;; [unrolled: 1-line block ×4, first 2 shown]
	global_load_ushort v62, v[32:33], off
	global_load_ushort v63, v[26:27], off
                                        ; kill: killed $vgpr44_vgpr45
                                        ; kill: killed $vgpr42_vgpr43
                                        ; kill: killed $vgpr26_vgpr27
                                        ; kill: killed $vgpr32_vgpr33
	s_nop 0
	global_load_dwordx2 v[26:27], v[46:47], off offset:20
	global_load_dword v44, v[36:37], off
	global_load_dword v45, v[34:35], off
	v_lshl_add_u64 v[48:49], v[36:37], 0, v[20:21]
	v_mov_b32_e32 v50, 0
	v_mov_b32_e32 v51, 0
	v_add_u32_e32 v40, s19, v22
	v_mad_u64_u32 v[40:41], s[28:29], v40, 36, s[22:23]
	v_add_u32_e32 v38, s15, v22
	v_mad_u64_u32 v[38:39], s[28:29], v38, 36, s[22:23]
	v_mov_b32_e32 v52, 0
	v_mov_b32_e32 v53, 0
	;; [unrolled: 1-line block ×8, first 2 shown]
	s_waitcnt vmcnt(8)
	v_ashrrev_i32_e32 v32, 4, v25
	v_and_b32_e32 v33, 0x7070707, v25
	v_lshrrev_b32_e32 v25, 1, v25
	v_and_b32_e32 v25, 0x4040404, v25
	s_waitcnt vmcnt(7)
	v_lshrrev_b32_e32 v35, 1, v59
	v_perm_b32 v37, s26, v23, v33
	v_perm_b32 v33, s27, v24, v33
	v_or_b32_e32 v25, 0x3020100, v25
	v_and_b32_e32 v34, 0x7070707, v59
	v_perm_b32 v25, v33, v37, v25
	s_waitcnt vmcnt(6)
	v_lshrrev_b32_e32 v37, 1, v60
	v_and_b32_e32 v35, 0x4040404, v35
	v_and_b32_e32 v33, 0x7070707, v60
	v_perm_b32 v42, s26, v23, v34
	v_perm_b32 v34, s27, v24, v34
	v_or_b32_e32 v35, 0x3020100, v35
	v_and_b32_e32 v37, 0x4040404, v37
	v_ashrrev_i32_e32 v36, 4, v60
	v_perm_b32 v60, v34, v42, v35
	v_perm_b32 v35, s26, v23, v33
	;; [unrolled: 1-line block ×3, first 2 shown]
	v_or_b32_e32 v37, 0x3020100, v37
	v_perm_b32 v64, v33, v35, v37
	s_waitcnt vmcnt(5)
	v_lshrrev_b32_e32 v33, 1, v61
	v_and_b32_e32 v34, 0x7070707, v61
	v_and_b32_e32 v33, 0x4040404, v33
	v_perm_b32 v35, s26, v23, v34
	v_perm_b32 v34, s27, v24, v34
	v_or_b32_e32 v33, 0x3020100, v33
	v_perm_b32 v65, v34, v35, v33
	v_and_b32_e32 v33, 0x7070707, v32
	v_lshrrev_b32_e32 v32, 1, v32
	v_and_b32_e32 v32, 0x4040404, v32
	v_perm_b32 v34, s26, v23, v33
	v_perm_b32 v33, s27, v24, v33
	v_or_b32_e32 v32, 0x3020100, v32
	v_perm_b32 v66, v33, v34, v32
	v_lshrrev_b32_e32 v33, 1, v36
	v_and_b32_e32 v32, 0x7070707, v36
	v_and_b32_e32 v33, 0x4040404, v33
	v_perm_b32 v34, s26, v23, v32
	v_perm_b32 v32, s27, v24, v32
	v_or_b32_e32 v33, 0x3020100, v33
	v_perm_b32 v67, v32, v34, v33
	v_dot4c_i32_i8_e32 v50, v25, v28
	v_dot4c_i32_i8_e32 v51, v64, v28
	v_lshl_add_u64 v[32:33], v[40:41], 0, v[20:21]
	v_dot4c_i32_i8_e32 v50, v66, v30
	v_dot4c_i32_i8_e32 v51, v67, v30
	;; [unrolled: 1-line block ×4, first 2 shown]
	global_load_dwordx2 v[28:29], v[32:33], off offset:20
	global_load_dword v68, v[40:41], off
	global_load_dword v69, v[38:39], off
	global_load_dwordx2 v[36:37], v[46:47], off offset:4
	v_lshl_add_u64 v[34:35], v[38:39], 0, v[20:21]
	v_ashrrev_i32_e32 v30, 4, v61
	s_waitcnt vmcnt(0)
	v_dot4c_i32_i8_e32 v52, v25, v36
	v_dot4c_i32_i8_e32 v53, v64, v36
	;; [unrolled: 1-line block ×6, first 2 shown]
	global_load_dwordx2 v[36:37], v[48:49], off offset:4
	global_load_dwordx2 v[38:39], v[48:49], off offset:20
	v_add_u32_e32 v26, s24, v22
	v_add_u32_e32 v22, 32, v22
	v_cmp_le_u32_e32 vcc, s5, v22
	s_or_b64 s[12:13], vcc, s[12:13]
	s_waitcnt vmcnt(1)
	v_dot4c_i32_i8_e32 v54, v25, v36
	v_dot4c_i32_i8_e32 v55, v64, v36
	s_waitcnt vmcnt(0)
	v_dot4c_i32_i8_e32 v54, v66, v38
	v_dot4c_i32_i8_e32 v55, v67, v38
	;; [unrolled: 1-line block ×4, first 2 shown]
	global_load_dwordx2 v[36:37], v[34:35], off offset:4
	global_load_dwordx2 v[40:41], v[34:35], off offset:20
	v_mov_b32_e32 v38, 0
	global_load_dwordx2 v[32:33], v[32:33], off offset:4
	s_waitcnt vmcnt(2)
	v_dot4c_i32_i8_e32 v56, v25, v36
	v_dot4c_i32_i8_e32 v57, v64, v36
	s_waitcnt vmcnt(1)
	v_dot4c_i32_i8_e32 v56, v66, v40
	s_waitcnt vmcnt(0)
	v_dot4c_i32_i8_e32 v58, v25, v32
	v_dot4c_i32_i8_e32 v38, v64, v32
	;; [unrolled: 1-line block ×6, first 2 shown]
	v_mad_u64_u32 v[32:33], s[28:29], v26, 36, s[22:23]
	v_dot4c_i32_i8_e32 v57, v67, v40
	v_lshl_add_u64 v[34:35], v[32:33], 0, v[20:21]
	v_dot4c_i32_i8_e32 v56, v60, v37
	v_dot4c_i32_i8_e32 v57, v65, v37
	global_load_dwordx2 v[36:37], v[34:35], off offset:20
	global_load_dword v40, v[32:33], off
	global_load_dwordx2 v[42:43], v[34:35], off offset:4
	global_load_dword v26, v[16:17], off
	v_ashrrev_i32_e32 v28, 4, v59
	v_and_b32_e32 v34, 0x7070707, v28
	v_lshrrev_b32_e32 v28, 1, v28
	v_and_b32_e32 v28, 0x4040404, v28
	v_cvt_f32_f16_e32 v33, v62
	v_cvt_f32_f16_e32 v32, v63
	v_perm_b32 v35, s26, v23, v34
	v_perm_b32 v34, s27, v24, v34
	v_or_b32_e32 v28, 0x3020100, v28
	v_lshl_add_u64 v[16:17], v[16:17], 0, s[16:17]
	s_waitcnt vmcnt(1)
	v_dot4c_i32_i8_e32 v70, v25, v42
	v_mov_b32_e32 v25, 0
	v_dot4c_i32_i8_e32 v25, v64, v42
	s_waitcnt vmcnt(0)
	v_cvt_f32_f16_e32 v26, v26
	v_dot4c_i32_i8_e32 v70, v66, v36
	v_dot4c_i32_i8_e32 v25, v67, v36
	v_perm_b32 v36, v34, v35, v28
	v_and_b32_e32 v28, 0x7070707, v30
	v_lshrrev_b32_e32 v30, 1, v30
	v_and_b32_e32 v30, 0x4040404, v30
	v_perm_b32 v34, s26, v23, v28
	v_perm_b32 v28, s27, v24, v28
	v_or_b32_e32 v30, 0x3020100, v30
	v_perm_b32 v59, v28, v34, v30
	v_pk_mul_f32 v[34:35], v[26:27], v[32:33] op_sel_hi:[0,1]
	v_cvt_f32_f16_e32 v26, v69
	v_cvt_f32_f16_e32 v28, v45
	;; [unrolled: 1-line block ×3, first 2 shown]
	v_dot4c_i32_i8_e32 v70, v60, v43
	v_pk_mul_f32 v[46:47], v[26:27], v[32:33] op_sel_hi:[0,1]
	v_cvt_f32_f16_e32 v26, v68
	v_dot4c_i32_i8_e32 v25, v65, v43
	v_dot4c_i32_i8_e32 v50, v36, v31
	;; [unrolled: 1-line block ×3, first 2 shown]
	v_pk_mul_f32 v[48:49], v[26:27], v[32:33] op_sel_hi:[0,1]
	v_cvt_f32_f16_e32 v26, v40
	v_dot4c_i32_i8_e32 v52, v36, v27
	v_dot4c_i32_i8_e32 v53, v59, v27
	;; [unrolled: 1-line block ×10, first 2 shown]
	v_pk_mul_f32 v[42:43], v[28:29], v[32:33] op_sel_hi:[0,1]
	v_pk_mul_f32 v[44:45], v[30:31], v[32:33] op_sel_hi:[0,1]
	;; [unrolled: 1-line block ×3, first 2 shown]
	v_cvt_f32_i32_e32 v27, v51
	v_cvt_f32_i32_e32 v26, v50
	;; [unrolled: 1-line block ×12, first 2 shown]
	v_pk_fma_f32 v[8:9], v[34:35], v[26:27], v[8:9]
	v_pk_fma_f32 v[10:11], v[42:43], v[28:29], v[10:11]
	;; [unrolled: 1-line block ×6, first 2 shown]
	s_andn2_b64 exec, exec, s[12:13]
	s_cbranch_execnz .LBB237_2
; %bb.3:
	s_or_b64 exec, exec, s[12:13]
	scratch_store_dwordx4 off, v[8:11], off
	scratch_store_dwordx4 off, v[4:7], off offset:16
	scratch_store_dwordx4 off, v[0:3], off offset:32
.LBB237_4:
	s_or_b64 exec, exec, s[6:7]
	s_mov_b32 s5, 0
	v_cmp_eq_u32_e32 vcc, 0, v13
	s_waitcnt lgkmcnt(0)
	; wave barrier
	s_and_saveexec_b64 s[6:7], vcc
	s_cbranch_execz .LBB237_17
; %bb.5:
	scratch_load_dwordx2 v[2:3], off, off
	v_mbcnt_lo_u32_b32 v0, -1, 0
	v_mbcnt_hi_u32_b32 v13, -1, v0
	s_load_dwordx2 s[6:7], s[0:1], 0x38
	s_mul_i32 s0, s3, s14
	v_or_b32_e32 v1, s2, v12
	v_and_b32_e32 v0, 64, v13
	s_mul_i32 s4, s4, s18
	s_add_i32 s2, s0, s2
	v_cmp_gt_u32_e64 s[0:1], s10, v1
	v_xor_b32_e32 v1, 32, v13
	v_add_u32_e32 v14, 64, v0
	s_add_i32 s4, s2, s4
	v_cmp_lt_i32_e64 s[2:3], v1, v14
	v_cmp_gt_u32_e32 vcc, 2, v12
	s_nop 0
	v_cndmask_b32_e64 v0, v13, v1, s[2:3]
	v_lshlrev_b32_e32 v0, 2, v0
	v_xor_b32_e32 v1, 16, v13
	v_cmp_lt_i32_e64 s[2:3], v1, v14
	s_waitcnt vmcnt(0)
	ds_bpermute_b32 v4, v0, v2
	ds_bpermute_b32 v5, v0, v3
	v_cndmask_b32_e64 v1, v13, v1, s[2:3]
	v_lshlrev_b32_e32 v1, 2, v1
	s_waitcnt lgkmcnt(0)
	v_pk_add_f32 v[4:5], v[2:3], v[4:5]
	ds_bpermute_b32 v6, v1, v4
	ds_bpermute_b32 v7, v1, v5
	v_xor_b32_e32 v2, 8, v13
	v_cmp_lt_i32_e64 s[2:3], v2, v14
	v_xor_b32_e32 v3, 4, v13
	s_waitcnt lgkmcnt(0)
	v_pk_add_f32 v[4:5], v[4:5], v[6:7]
	v_cndmask_b32_e64 v2, v13, v2, s[2:3]
	v_lshlrev_b32_e32 v2, 2, v2
	ds_bpermute_b32 v6, v2, v4
	ds_bpermute_b32 v7, v2, v5
	v_cmp_lt_i32_e64 s[2:3], v3, v14
	s_waitcnt lgkmcnt(0)
	v_pk_add_f32 v[6:7], v[4:5], v[6:7]
	v_cndmask_b32_e64 v3, v13, v3, s[2:3]
	v_lshlrev_b32_e32 v3, 2, v3
	ds_bpermute_b32 v8, v3, v6
	ds_bpermute_b32 v9, v3, v7
	v_xor_b32_e32 v4, 2, v13
	v_cmp_lt_i32_e64 s[2:3], v4, v14
	v_xor_b32_e32 v5, 1, v13
	s_waitcnt lgkmcnt(0)
	v_pk_add_f32 v[8:9], v[6:7], v[8:9]
	v_cndmask_b32_e64 v4, v13, v4, s[2:3]
	v_lshlrev_b32_e32 v4, 2, v4
	ds_bpermute_b32 v10, v4, v8
	ds_bpermute_b32 v11, v4, v9
	v_cmp_lt_i32_e64 s[2:3], v5, v14
	s_waitcnt lgkmcnt(0)
	v_pk_add_f32 v[8:9], v[8:9], v[10:11]
	v_cndmask_b32_e64 v5, v13, v5, s[2:3]
	v_lshlrev_b32_e32 v6, 2, v5
	ds_bpermute_b32 v10, v6, v8
	ds_bpermute_b32 v11, v6, v9
	s_lshl_b64 s[2:3], s[4:5], 2
	s_add_u32 s2, s6, s2
	s_addc_u32 s3, s7, s3
	s_and_b64 s[0:1], vcc, s[0:1]
	s_waitcnt lgkmcnt(0)
	v_pk_add_f32 v[8:9], v[8:9], v[10:11]
	v_lshlrev_b32_e32 v5, 2, v12
	scratch_store_dwordx2 off, v[8:9], off
	s_and_saveexec_b64 s[4:5], s[0:1]
	s_cbranch_execz .LBB237_7
; %bb.6:
	scratch_load_dword v7, v5, off
	s_waitcnt vmcnt(0)
	global_store_dword v5, v7, s[2:3]
.LBB237_7:
	s_or_b64 exec, exec, s[4:5]
	scratch_load_dwordx2 v[8:9], off, off offset:8
	s_waitcnt vmcnt(0)
	ds_bpermute_b32 v10, v0, v8
	ds_bpermute_b32 v11, v0, v9
	s_waitcnt lgkmcnt(0)
	v_pk_add_f32 v[8:9], v[8:9], v[10:11]
	ds_bpermute_b32 v10, v1, v8
	ds_bpermute_b32 v11, v1, v9
	s_waitcnt lgkmcnt(0)
	v_pk_add_f32 v[8:9], v[8:9], v[10:11]
	;; [unrolled: 4-line block ×6, first 2 shown]
	scratch_store_dwordx2 off, v[8:9], off offset:8
	s_and_saveexec_b64 s[4:5], s[0:1]
	s_cbranch_execz .LBB237_9
; %bb.8:
	scratch_load_dword v7, v5, off offset:8
	v_add_u32_e32 v8, s10, v12
	v_mov_b32_e32 v9, 0
	v_lshl_add_u64 v[8:9], v[8:9], 2, s[2:3]
	s_waitcnt vmcnt(0)
	global_store_dword v[8:9], v7, off
.LBB237_9:
	s_or_b64 exec, exec, s[4:5]
	scratch_load_dwordx2 v[8:9], off, off offset:16
	s_waitcnt vmcnt(0)
	ds_bpermute_b32 v10, v0, v8
	ds_bpermute_b32 v11, v0, v9
	s_waitcnt lgkmcnt(0)
	v_pk_add_f32 v[8:9], v[8:9], v[10:11]
	ds_bpermute_b32 v10, v1, v8
	ds_bpermute_b32 v11, v1, v9
	s_waitcnt lgkmcnt(0)
	v_pk_add_f32 v[8:9], v[8:9], v[10:11]
	;; [unrolled: 4-line block ×6, first 2 shown]
	scratch_store_dwordx2 off, v[8:9], off offset:16
	s_and_saveexec_b64 s[4:5], s[0:1]
	s_cbranch_execz .LBB237_11
; %bb.10:
	scratch_load_dword v7, v5, off offset:16
	v_lshl_or_b32 v8, s10, 1, v12
	v_mov_b32_e32 v9, 0
	v_lshl_add_u64 v[8:9], v[8:9], 2, s[2:3]
	s_waitcnt vmcnt(0)
	global_store_dword v[8:9], v7, off
.LBB237_11:
	s_or_b64 exec, exec, s[4:5]
	scratch_load_dwordx2 v[8:9], off, off offset:24
	s_waitcnt vmcnt(0)
	ds_bpermute_b32 v10, v0, v8
	ds_bpermute_b32 v11, v0, v9
	s_waitcnt lgkmcnt(0)
	v_pk_add_f32 v[8:9], v[8:9], v[10:11]
	ds_bpermute_b32 v10, v1, v8
	ds_bpermute_b32 v11, v1, v9
	s_waitcnt lgkmcnt(0)
	v_pk_add_f32 v[8:9], v[8:9], v[10:11]
	ds_bpermute_b32 v10, v2, v8
	ds_bpermute_b32 v11, v2, v9
	s_waitcnt lgkmcnt(0)
	v_pk_add_f32 v[8:9], v[8:9], v[10:11]
	ds_bpermute_b32 v10, v3, v8
	ds_bpermute_b32 v11, v3, v9
	s_waitcnt lgkmcnt(0)
	v_pk_add_f32 v[8:9], v[8:9], v[10:11]
	ds_bpermute_b32 v10, v4, v8
	ds_bpermute_b32 v11, v4, v9
	s_waitcnt lgkmcnt(0)
	v_pk_add_f32 v[8:9], v[8:9], v[10:11]
	ds_bpermute_b32 v10, v6, v8
	ds_bpermute_b32 v11, v6, v9
	s_waitcnt lgkmcnt(0)
	v_pk_add_f32 v[8:9], v[8:9], v[10:11]
	scratch_store_dwordx2 off, v[8:9], off offset:24
	s_and_saveexec_b64 s[4:5], s[0:1]
	s_cbranch_execz .LBB237_13
; %bb.12:
	scratch_load_dword v7, v5, off offset:24
	v_mad_u64_u32 v[8:9], s[6:7], s10, 3, v[12:13]
	v_mov_b32_e32 v9, 0
	v_lshl_add_u64 v[8:9], v[8:9], 2, s[2:3]
	s_waitcnt vmcnt(0)
	global_store_dword v[8:9], v7, off
.LBB237_13:
	s_or_b64 exec, exec, s[4:5]
	scratch_load_dwordx2 v[8:9], off, off offset:32
	s_waitcnt vmcnt(0)
	ds_bpermute_b32 v10, v0, v8
	ds_bpermute_b32 v11, v0, v9
	s_waitcnt lgkmcnt(0)
	v_pk_add_f32 v[8:9], v[8:9], v[10:11]
	ds_bpermute_b32 v10, v1, v8
	ds_bpermute_b32 v11, v1, v9
	s_waitcnt lgkmcnt(0)
	v_pk_add_f32 v[8:9], v[8:9], v[10:11]
	;; [unrolled: 4-line block ×6, first 2 shown]
	scratch_store_dwordx2 off, v[8:9], off offset:32
	s_and_saveexec_b64 s[4:5], s[0:1]
	s_cbranch_execz .LBB237_15
; %bb.14:
	scratch_load_dword v7, v5, off offset:32
	v_lshl_or_b32 v8, s10, 2, v12
	v_mov_b32_e32 v9, 0
	v_lshl_add_u64 v[8:9], v[8:9], 2, s[2:3]
	s_waitcnt vmcnt(0)
	global_store_dword v[8:9], v7, off
.LBB237_15:
	s_or_b64 exec, exec, s[4:5]
	scratch_load_dwordx2 v[8:9], off, off offset:40
	s_waitcnt vmcnt(0)
	ds_bpermute_b32 v10, v0, v8
	ds_bpermute_b32 v11, v0, v9
	s_waitcnt lgkmcnt(0)
	v_pk_add_f32 v[8:9], v[8:9], v[10:11]
	ds_bpermute_b32 v0, v1, v8
	ds_bpermute_b32 v1, v1, v9
	s_waitcnt lgkmcnt(0)
	v_pk_add_f32 v[0:1], v[8:9], v[0:1]
	ds_bpermute_b32 v8, v2, v0
	ds_bpermute_b32 v9, v2, v1
	s_waitcnt lgkmcnt(0)
	v_pk_add_f32 v[0:1], v[0:1], v[8:9]
	ds_bpermute_b32 v2, v3, v0
	ds_bpermute_b32 v3, v3, v1
	s_waitcnt lgkmcnt(0)
	v_pk_add_f32 v[0:1], v[0:1], v[2:3]
	ds_bpermute_b32 v2, v4, v0
	ds_bpermute_b32 v3, v4, v1
	s_waitcnt lgkmcnt(0)
	v_pk_add_f32 v[0:1], v[0:1], v[2:3]
	ds_bpermute_b32 v2, v6, v0
	ds_bpermute_b32 v3, v6, v1
	s_waitcnt lgkmcnt(0)
	v_pk_add_f32 v[0:1], v[0:1], v[2:3]
	scratch_store_dwordx2 off, v[0:1], off offset:40
	s_and_b64 exec, exec, s[0:1]
	s_cbranch_execz .LBB237_17
; %bb.16:
	scratch_load_dword v2, v5, off offset:40
	v_mad_u64_u32 v[0:1], s[0:1], s10, 5, v[12:13]
	v_mov_b32_e32 v1, 0
	v_lshl_add_u64 v[0:1], v[0:1], 2, s[2:3]
	s_waitcnt vmcnt(0)
	global_store_dword v[0:1], v2, off
.LBB237_17:
	s_endpgm
	.section	.rodata,"a",@progbits
	.p2align	6, 0x0
	.amdhsa_kernel _ZL13mul_mat_vec_qIL9ggml_type20ELi6ELb0ELb0EEvPKvS2_PKi31ggml_cuda_mm_fusion_args_devicePfj15HIP_vector_typeIjLj3EEjjjS8_jjjS8_jjjj
		.amdhsa_group_segment_fixed_size 0
		.amdhsa_private_segment_fixed_size 64
		.amdhsa_kernarg_size 144
		.amdhsa_user_sgpr_count 2
		.amdhsa_user_sgpr_dispatch_ptr 0
		.amdhsa_user_sgpr_queue_ptr 0
		.amdhsa_user_sgpr_kernarg_segment_ptr 1
		.amdhsa_user_sgpr_dispatch_id 0
		.amdhsa_user_sgpr_kernarg_preload_length 0
		.amdhsa_user_sgpr_kernarg_preload_offset 0
		.amdhsa_user_sgpr_private_segment_size 0
		.amdhsa_uses_dynamic_stack 0
		.amdhsa_enable_private_segment 1
		.amdhsa_system_sgpr_workgroup_id_x 1
		.amdhsa_system_sgpr_workgroup_id_y 1
		.amdhsa_system_sgpr_workgroup_id_z 1
		.amdhsa_system_sgpr_workgroup_info 0
		.amdhsa_system_vgpr_workitem_id 1
		.amdhsa_next_free_vgpr 71
		.amdhsa_next_free_sgpr 30
		.amdhsa_accum_offset 72
		.amdhsa_reserve_vcc 1
		.amdhsa_float_round_mode_32 0
		.amdhsa_float_round_mode_16_64 0
		.amdhsa_float_denorm_mode_32 3
		.amdhsa_float_denorm_mode_16_64 3
		.amdhsa_dx10_clamp 1
		.amdhsa_ieee_mode 1
		.amdhsa_fp16_overflow 0
		.amdhsa_tg_split 0
		.amdhsa_exception_fp_ieee_invalid_op 0
		.amdhsa_exception_fp_denorm_src 0
		.amdhsa_exception_fp_ieee_div_zero 0
		.amdhsa_exception_fp_ieee_overflow 0
		.amdhsa_exception_fp_ieee_underflow 0
		.amdhsa_exception_fp_ieee_inexact 0
		.amdhsa_exception_int_div_zero 0
	.end_amdhsa_kernel
	.section	.text._ZL13mul_mat_vec_qIL9ggml_type20ELi6ELb0ELb0EEvPKvS2_PKi31ggml_cuda_mm_fusion_args_devicePfj15HIP_vector_typeIjLj3EEjjjS8_jjjS8_jjjj,"axG",@progbits,_ZL13mul_mat_vec_qIL9ggml_type20ELi6ELb0ELb0EEvPKvS2_PKi31ggml_cuda_mm_fusion_args_devicePfj15HIP_vector_typeIjLj3EEjjjS8_jjjS8_jjjj,comdat
.Lfunc_end237:
	.size	_ZL13mul_mat_vec_qIL9ggml_type20ELi6ELb0ELb0EEvPKvS2_PKi31ggml_cuda_mm_fusion_args_devicePfj15HIP_vector_typeIjLj3EEjjjS8_jjjS8_jjjj, .Lfunc_end237-_ZL13mul_mat_vec_qIL9ggml_type20ELi6ELb0ELb0EEvPKvS2_PKi31ggml_cuda_mm_fusion_args_devicePfj15HIP_vector_typeIjLj3EEjjjS8_jjjS8_jjjj
                                        ; -- End function
	.section	.AMDGPU.csdata,"",@progbits
; Kernel info:
; codeLenInByte = 3396
; NumSgprs: 36
; NumVgprs: 71
; NumAgprs: 0
; TotalNumVgprs: 71
; ScratchSize: 64
; MemoryBound: 0
; FloatMode: 240
; IeeeMode: 1
; LDSByteSize: 0 bytes/workgroup (compile time only)
; SGPRBlocks: 4
; VGPRBlocks: 8
; NumSGPRsForWavesPerEU: 36
; NumVGPRsForWavesPerEU: 71
; AccumOffset: 72
; Occupancy: 7
; WaveLimiterHint : 0
; COMPUTE_PGM_RSRC2:SCRATCH_EN: 1
; COMPUTE_PGM_RSRC2:USER_SGPR: 2
; COMPUTE_PGM_RSRC2:TRAP_HANDLER: 0
; COMPUTE_PGM_RSRC2:TGID_X_EN: 1
; COMPUTE_PGM_RSRC2:TGID_Y_EN: 1
; COMPUTE_PGM_RSRC2:TGID_Z_EN: 1
; COMPUTE_PGM_RSRC2:TIDIG_COMP_CNT: 1
; COMPUTE_PGM_RSRC3_GFX90A:ACCUM_OFFSET: 17
; COMPUTE_PGM_RSRC3_GFX90A:TG_SPLIT: 0
	.section	.text._ZL13mul_mat_vec_qIL9ggml_type20ELi7ELb0ELb0EEvPKvS2_PKi31ggml_cuda_mm_fusion_args_devicePfj15HIP_vector_typeIjLj3EEjjjS8_jjjS8_jjjj,"axG",@progbits,_ZL13mul_mat_vec_qIL9ggml_type20ELi7ELb0ELb0EEvPKvS2_PKi31ggml_cuda_mm_fusion_args_devicePfj15HIP_vector_typeIjLj3EEjjjS8_jjjS8_jjjj,comdat
	.globl	_ZL13mul_mat_vec_qIL9ggml_type20ELi7ELb0ELb0EEvPKvS2_PKi31ggml_cuda_mm_fusion_args_devicePfj15HIP_vector_typeIjLj3EEjjjS8_jjjS8_jjjj ; -- Begin function _ZL13mul_mat_vec_qIL9ggml_type20ELi7ELb0ELb0EEvPKvS2_PKi31ggml_cuda_mm_fusion_args_devicePfj15HIP_vector_typeIjLj3EEjjjS8_jjjS8_jjjj
	.p2align	8
	.type	_ZL13mul_mat_vec_qIL9ggml_type20ELi7ELb0ELb0EEvPKvS2_PKi31ggml_cuda_mm_fusion_args_devicePfj15HIP_vector_typeIjLj3EEjjjS8_jjjS8_jjjj,@function
_ZL13mul_mat_vec_qIL9ggml_type20ELi7ELb0ELb0EEvPKvS2_PKi31ggml_cuda_mm_fusion_args_devicePfj15HIP_vector_typeIjLj3EEjjjS8_jjjS8_jjjj: ; @_ZL13mul_mat_vec_qIL9ggml_type20ELi7ELb0ELb0EEvPKvS2_PKi31ggml_cuda_mm_fusion_args_devicePfj15HIP_vector_typeIjLj3EEjjjS8_jjjS8_jjjj
; %bb.0:
	v_bfe_u32 v13, v0, 10, 10
	v_lshlrev_b32_e32 v1, 6, v13
	v_and_b32_e32 v12, 0x3ff, v0
	s_mov_b32 s20, 0
	s_load_dword s5, s[0:1], 0x40
	s_load_dwordx4 s[8:11], s[0:1], 0x50
	s_load_dword s25, s[0:1], 0x60
	s_load_dwordx4 s[12:15], s[0:1], 0x68
	;; [unrolled: 2-line block ×3, first 2 shown]
	s_mov_b32 s21, s20
	v_add_u16_e32 v0, v1, v12
	s_waitcnt lgkmcnt(0)
	s_lshr_b32 s5, s5, 5
	v_mov_b32_e32 v15, 0
	s_mov_b32 s22, s20
	s_mov_b32 s23, s20
	v_mov_b64_e32 v[2:3], s[20:21]
	v_lshrrev_b16_e32 v26, 1, v0
	s_lshl_b32 s2, s2, 1
	v_mov_b32_e32 v14, v15
	v_mov_b64_e32 v[4:5], s[22:23]
	v_cmp_gt_u32_e32 vcc, s5, v26
	scratch_store_dwordx2 off, v[14:15], off offset:48
	scratch_store_dwordx4 off, v[2:5], off offset:32
	scratch_store_dwordx4 off, v[2:5], off offset:16
	scratch_store_dwordx4 off, v[2:5], off
	s_and_saveexec_b64 s[6:7], vcc
	s_cbranch_execz .LBB238_4
; %bb.1:
	s_load_dwordx4 s[20:23], s[0:1], 0x0
	s_mul_i32 s17, s4, s17
	s_mul_hi_u32 s19, s17, 36
	s_mul_i32 s17, s17, 36
	s_mul_i32 s13, s3, s13
	s_waitcnt lgkmcnt(0)
	s_add_u32 s17, s22, s17
	s_addc_u32 s19, s23, s19
	s_mul_hi_u32 s23, s13, 36
	s_mul_i32 s13, s13, 36
	s_add_u32 s22, s17, s13
	s_mul_hi_u32 s11, s11, s3
	s_addc_u32 s23, s19, s23
	s_add_i32 s11, s3, s11
	v_and_b32_e32 v3, 1, v12
	s_lshr_b32 s11, s11, s25
	v_lshlrev_b32_e32 v14, 3, v3
	v_and_b32_e32 v3, v1, v12
	v_xor_b32_e32 v1, v1, v12
	s_mul_i32 s17, s11, s12
	s_mul_hi_u32 s11, s15, s4
	v_lshrrev_b16_e32 v1, 1, v1
	s_add_i32 s11, s4, s11
	v_add_u16_e32 v1, v3, v1
	s_lshr_b32 s11, s11, s24
	v_lshlrev_b32_e32 v0, 1, v12
	v_mad_u64_u32 v[16:17], s[12:13], v1, 36, s[22:23]
	s_mul_i32 s16, s11, s16
	v_and_b32_e32 v0, 2, v0
	s_add_i32 s13, s2, 1
	v_lshlrev_b32_e32 v2, 1, v0
	s_mul_i32 s26, s2, s8
	s_add_i32 s12, s16, s17
	s_mul_i32 s8, s8, s13
	s_lshl_b32 s11, s9, 1
	s_mul_i32 s15, s9, 3
	s_lshl_b32 s19, s9, 2
	s_mul_i32 s24, s9, 5
	s_mul_i32 s25, s9, 6
	s_add_i32 s8, s12, s8
	s_add_i32 s26, s12, s26
	s_mov_b64 s[12:13], 0
	v_lshlrev_b32_e32 v20, 1, v2
	s_mov_b32 s27, 0xf6eaddcf
	v_mov_b32_e32 v27, 0xbfad9881
	s_mov_b32 s28, 0x71594535
	v_mov_b32_e32 v28, 0x26190d01
	v_lshlrev_b32_e32 v22, 2, v0
	s_mov_b64 s[16:17], 0x480
	v_mov_b32_e32 v21, v15
	v_mov_b32_e32 v23, v15
	;; [unrolled: 1-line block ×16, first 2 shown]
.LBB238_2:                              ; =>This Inner Loop Header: Depth=1
	v_add_u32_e32 v29, s26, v26
	v_lshl_add_u64 v[24:25], v[16:17], 0, v[14:15]
	global_load_dwordx2 v[32:33], v[24:25], off offset:4
	global_load_dwordx2 v[34:35], v[24:25], off offset:20
	global_load_dword v30, v[16:17], off
	v_mad_i64_i32 v[24:25], s[30:31], v29, 18, s[20:21]
	v_lshl_add_u64 v[38:39], v[24:25], 0, v[20:21]
	global_load_dword v29, v[38:39], off offset:2
	v_lshl_add_u64 v[16:17], v[16:17], 0, s[16:17]
	s_waitcnt vmcnt(1)
	v_cvt_f32_f16_e32 v36, v30
	s_waitcnt vmcnt(0)
	v_ashrrev_i32_e32 v30, 4, v29
	v_and_b32_e32 v31, 0x7070707, v29
	v_lshrrev_b32_e32 v29, 1, v29
	v_and_b32_e32 v29, 0x4040404, v29
	v_perm_b32 v37, s27, v27, v31
	v_perm_b32 v31, s28, v28, v31
	v_or_b32_e32 v29, 0x3020100, v29
	v_perm_b32 v29, v31, v37, v29
	global_load_dword v37, v[38:39], off offset:6
	v_and_b32_e32 v40, 0x7070707, v30
	v_lshrrev_b32_e32 v30, 1, v30
	v_and_b32_e32 v30, 0x4040404, v30
	v_perm_b32 v41, s27, v27, v40
	v_perm_b32 v40, s28, v28, v40
	v_or_b32_e32 v30, 0x3020100, v30
	v_perm_b32 v30, v40, v41, v30
	v_mov_b32_e32 v31, 0
	v_dot4c_i32_i8_e32 v31, v29, v32
	v_dot4c_i32_i8_e32 v31, v30, v34
	s_waitcnt vmcnt(0)
	v_ashrrev_i32_e32 v38, 4, v37
	v_and_b32_e32 v39, 0x7070707, v37
	v_lshrrev_b32_e32 v37, 1, v37
	v_and_b32_e32 v37, 0x4040404, v37
	v_perm_b32 v40, s27, v27, v39
	v_perm_b32 v39, s28, v28, v39
	v_or_b32_e32 v37, 0x3020100, v37
	v_perm_b32 v40, v39, v40, v37
	v_lshrrev_b32_e32 v37, 1, v38
	v_and_b32_e32 v41, 0x7070707, v38
	v_and_b32_e32 v37, 0x4040404, v37
	v_perm_b32 v42, s27, v27, v41
	v_perm_b32 v41, s28, v28, v41
	v_or_b32_e32 v37, 0x3020100, v37
	v_perm_b32 v41, v41, v42, v37
	global_load_ushort v37, v[24:25], off
	v_add_u32_e32 v24, s8, v26
	v_mad_i64_i32 v[24:25], s[30:31], v24, 18, s[20:21]
	v_lshl_add_u64 v[38:39], v[24:25], 0, v[20:21]
	global_load_dword v42, v[38:39], off offset:2
	v_dot4c_i32_i8_e32 v31, v40, v33
	global_load_ushort v24, v[24:25], off
	v_dot4c_i32_i8_e32 v31, v41, v35
	s_waitcnt vmcnt(1)
	v_ashrrev_i32_e32 v43, 4, v42
	v_and_b32_e32 v44, 0x7070707, v42
	v_lshrrev_b32_e32 v42, 1, v42
	v_and_b32_e32 v42, 0x4040404, v42
	v_perm_b32 v45, s27, v27, v44
	v_perm_b32 v44, s28, v28, v44
	v_or_b32_e32 v42, 0x3020100, v42
	v_perm_b32 v42, v44, v45, v42
	v_mov_b32_e32 v44, 0
	v_dot4c_i32_i8_e32 v44, v42, v32
	global_load_dword v32, v[38:39], off offset:6
	v_and_b32_e32 v46, 0x7070707, v43
	v_lshrrev_b32_e32 v43, 1, v43
	v_and_b32_e32 v43, 0x4040404, v43
	v_perm_b32 v47, s27, v27, v46
	v_perm_b32 v46, s28, v28, v46
	v_or_b32_e32 v43, 0x3020100, v43
	v_perm_b32 v43, v46, v47, v43
	v_dot4c_i32_i8_e32 v44, v43, v34
	s_waitcnt vmcnt(1)
	v_cvt_f32_f16_e32 v25, v24
	v_cvt_f32_f16_e32 v24, v37
	s_waitcnt vmcnt(0)
	v_ashrrev_i32_e32 v34, 4, v32
	v_and_b32_e32 v38, 0x7070707, v32
	v_lshrrev_b32_e32 v32, 1, v32
	v_and_b32_e32 v32, 0x4040404, v32
	v_perm_b32 v39, s27, v27, v38
	v_perm_b32 v38, s28, v28, v38
	v_or_b32_e32 v32, 0x3020100, v32
	v_perm_b32 v47, v38, v39, v32
	v_lshrrev_b32_e32 v32, 1, v34
	v_and_b32_e32 v45, 0x7070707, v34
	v_and_b32_e32 v32, 0x4040404, v32
	v_perm_b32 v46, s27, v27, v45
	v_perm_b32 v45, s28, v28, v45
	v_or_b32_e32 v32, 0x3020100, v32
	v_perm_b32 v45, v45, v46, v32
	v_dot4c_i32_i8_e32 v44, v47, v33
	v_dot4c_i32_i8_e32 v44, v45, v35
	v_cvt_f32_i32_e32 v34, v31
	v_pk_mul_f32 v[32:33], v[36:37], v[24:25] op_sel_hi:[0,1]
	v_add_u32_e32 v31, s9, v26
	v_cvt_f32_i32_e32 v35, v44
	v_pk_fma_f32 v[8:9], v[32:33], v[34:35], v[8:9]
	v_mad_u64_u32 v[32:33], s[30:31], v31, 36, s[22:23]
	v_lshl_add_u64 v[34:35], v[32:33], 0, v[22:23]
	global_load_dwordx2 v[36:37], v[34:35], off offset:4
	global_load_dwordx2 v[38:39], v[34:35], off offset:20
	global_load_dword v31, v[32:33], off
	v_mov_b32_e32 v34, 0
	s_waitcnt vmcnt(2)
	v_dot4c_i32_i8_e32 v34, v42, v36
	s_waitcnt vmcnt(1)
	v_dot4c_i32_i8_e32 v34, v43, v38
	s_waitcnt vmcnt(0)
	v_cvt_f32_f16_e32 v32, v31
	v_mov_b32_e32 v31, 0
	v_dot4c_i32_i8_e32 v31, v29, v36
	v_dot4c_i32_i8_e32 v31, v30, v38
	v_dot4c_i32_i8_e32 v31, v40, v37
	v_dot4c_i32_i8_e32 v34, v47, v37
	v_dot4c_i32_i8_e32 v31, v41, v39
	v_dot4c_i32_i8_e32 v34, v45, v39
	v_pk_mul_f32 v[32:33], v[32:33], v[24:25] op_sel_hi:[0,1]
	s_nop 1
	v_cvt_f32_i32_e32 v35, v34
	v_cvt_f32_i32_e32 v34, v31
	v_add_u32_e32 v31, s11, v26
	v_pk_fma_f32 v[10:11], v[32:33], v[34:35], v[10:11]
	v_mad_u64_u32 v[32:33], s[30:31], v31, 36, s[22:23]
	v_lshl_add_u64 v[34:35], v[32:33], 0, v[22:23]
	global_load_dwordx2 v[36:37], v[34:35], off offset:4
	global_load_dwordx2 v[38:39], v[34:35], off offset:20
	global_load_dword v31, v[32:33], off
	v_mov_b32_e32 v34, 0
	s_waitcnt vmcnt(2)
	v_dot4c_i32_i8_e32 v34, v42, v36
	s_waitcnt vmcnt(1)
	v_dot4c_i32_i8_e32 v34, v43, v38
	s_waitcnt vmcnt(0)
	v_cvt_f32_f16_e32 v32, v31
	v_mov_b32_e32 v31, 0
	v_dot4c_i32_i8_e32 v31, v29, v36
	v_dot4c_i32_i8_e32 v31, v30, v38
	v_dot4c_i32_i8_e32 v31, v40, v37
	v_dot4c_i32_i8_e32 v34, v47, v37
	v_dot4c_i32_i8_e32 v31, v41, v39
	v_dot4c_i32_i8_e32 v34, v45, v39
	v_pk_mul_f32 v[32:33], v[32:33], v[24:25] op_sel_hi:[0,1]
	s_nop 1
	v_cvt_f32_i32_e32 v35, v34
	v_cvt_f32_i32_e32 v34, v31
	v_add_u32_e32 v31, s15, v26
	;; [unrolled: 25-line block ×5, first 2 shown]
	v_add_u32_e32 v26, 32, v26
	v_cmp_le_u32_e32 vcc, s5, v26
	v_pk_fma_f32 v[2:3], v[32:33], v[34:35], v[2:3]
	v_mad_u64_u32 v[32:33], s[30:31], v31, 36, s[22:23]
	v_lshl_add_u64 v[34:35], v[32:33], 0, v[22:23]
	global_load_dwordx2 v[36:37], v[34:35], off offset:4
	global_load_dwordx2 v[38:39], v[34:35], off offset:20
	global_load_dword v31, v[32:33], off
	v_mov_b32_e32 v33, 0
	s_or_b64 s[12:13], vcc, s[12:13]
	s_waitcnt vmcnt(2)
	v_dot4c_i32_i8_e32 v33, v29, v36
	v_mov_b32_e32 v29, 0
	v_dot4c_i32_i8_e32 v29, v42, v36
	s_waitcnt vmcnt(1)
	v_dot4c_i32_i8_e32 v33, v30, v38
	v_dot4c_i32_i8_e32 v29, v43, v38
	;; [unrolled: 1-line block ×4, first 2 shown]
	s_waitcnt vmcnt(0)
	v_cvt_f32_f16_e32 v32, v31
	v_dot4c_i32_i8_e32 v33, v41, v39
	v_dot4c_i32_i8_e32 v29, v45, v39
	s_nop 1
	v_cvt_f32_i32_e32 v30, v33
	v_cvt_f32_i32_e32 v31, v29
	v_pk_mul_f32 v[24:25], v[32:33], v[24:25] op_sel_hi:[0,1]
	v_pk_fma_f32 v[18:19], v[24:25], v[30:31], v[18:19]
	s_andn2_b64 exec, exec, s[12:13]
	s_cbranch_execnz .LBB238_2
; %bb.3:
	s_or_b64 exec, exec, s[12:13]
	scratch_store_dwordx4 off, v[8:11], off
	scratch_store_dwordx4 off, v[4:7], off offset:16
	scratch_store_dwordx4 off, v[0:3], off offset:32
	scratch_store_dwordx2 off, v[18:19], off offset:48
.LBB238_4:
	s_or_b64 exec, exec, s[6:7]
	s_mov_b32 s5, 0
	v_cmp_eq_u32_e32 vcc, 0, v13
	s_waitcnt lgkmcnt(0)
	; wave barrier
	s_and_saveexec_b64 s[6:7], vcc
	s_cbranch_execz .LBB238_19
; %bb.5:
	scratch_load_dwordx2 v[2:3], off, off
	v_mbcnt_lo_u32_b32 v0, -1, 0
	v_mbcnt_hi_u32_b32 v13, -1, v0
	s_load_dwordx2 s[6:7], s[0:1], 0x38
	s_mul_i32 s0, s3, s14
	v_or_b32_e32 v1, s2, v12
	v_and_b32_e32 v0, 64, v13
	s_mul_i32 s4, s4, s18
	s_add_i32 s2, s0, s2
	v_cmp_gt_u32_e64 s[0:1], s10, v1
	v_xor_b32_e32 v1, 32, v13
	v_add_u32_e32 v14, 64, v0
	s_add_i32 s4, s2, s4
	v_cmp_lt_i32_e64 s[2:3], v1, v14
	v_cmp_gt_u32_e32 vcc, 2, v12
	s_nop 0
	v_cndmask_b32_e64 v0, v13, v1, s[2:3]
	v_lshlrev_b32_e32 v0, 2, v0
	v_xor_b32_e32 v1, 16, v13
	v_cmp_lt_i32_e64 s[2:3], v1, v14
	s_waitcnt vmcnt(0)
	ds_bpermute_b32 v4, v0, v2
	ds_bpermute_b32 v5, v0, v3
	v_cndmask_b32_e64 v1, v13, v1, s[2:3]
	v_lshlrev_b32_e32 v1, 2, v1
	s_waitcnt lgkmcnt(0)
	v_pk_add_f32 v[4:5], v[2:3], v[4:5]
	ds_bpermute_b32 v6, v1, v4
	ds_bpermute_b32 v7, v1, v5
	v_xor_b32_e32 v2, 8, v13
	v_cmp_lt_i32_e64 s[2:3], v2, v14
	v_xor_b32_e32 v3, 4, v13
	s_waitcnt lgkmcnt(0)
	v_pk_add_f32 v[4:5], v[4:5], v[6:7]
	v_cndmask_b32_e64 v2, v13, v2, s[2:3]
	v_lshlrev_b32_e32 v2, 2, v2
	ds_bpermute_b32 v6, v2, v4
	ds_bpermute_b32 v7, v2, v5
	v_cmp_lt_i32_e64 s[2:3], v3, v14
	s_waitcnt lgkmcnt(0)
	v_pk_add_f32 v[6:7], v[4:5], v[6:7]
	v_cndmask_b32_e64 v3, v13, v3, s[2:3]
	v_lshlrev_b32_e32 v3, 2, v3
	ds_bpermute_b32 v8, v3, v6
	ds_bpermute_b32 v9, v3, v7
	v_xor_b32_e32 v4, 2, v13
	v_cmp_lt_i32_e64 s[2:3], v4, v14
	v_xor_b32_e32 v5, 1, v13
	s_waitcnt lgkmcnt(0)
	v_pk_add_f32 v[8:9], v[6:7], v[8:9]
	v_cndmask_b32_e64 v4, v13, v4, s[2:3]
	v_lshlrev_b32_e32 v4, 2, v4
	ds_bpermute_b32 v10, v4, v8
	ds_bpermute_b32 v11, v4, v9
	v_cmp_lt_i32_e64 s[2:3], v5, v14
	s_waitcnt lgkmcnt(0)
	v_pk_add_f32 v[8:9], v[8:9], v[10:11]
	v_cndmask_b32_e64 v5, v13, v5, s[2:3]
	v_lshlrev_b32_e32 v6, 2, v5
	ds_bpermute_b32 v10, v6, v8
	ds_bpermute_b32 v11, v6, v9
	s_lshl_b64 s[2:3], s[4:5], 2
	s_add_u32 s2, s6, s2
	s_addc_u32 s3, s7, s3
	s_and_b64 s[0:1], vcc, s[0:1]
	s_waitcnt lgkmcnt(0)
	v_pk_add_f32 v[8:9], v[8:9], v[10:11]
	v_lshlrev_b32_e32 v5, 2, v12
	scratch_store_dwordx2 off, v[8:9], off
	s_and_saveexec_b64 s[4:5], s[0:1]
	s_cbranch_execz .LBB238_7
; %bb.6:
	scratch_load_dword v7, v5, off
	s_waitcnt vmcnt(0)
	global_store_dword v5, v7, s[2:3]
.LBB238_7:
	s_or_b64 exec, exec, s[4:5]
	scratch_load_dwordx2 v[8:9], off, off offset:8
	s_waitcnt vmcnt(0)
	ds_bpermute_b32 v10, v0, v8
	ds_bpermute_b32 v11, v0, v9
	s_waitcnt lgkmcnt(0)
	v_pk_add_f32 v[8:9], v[8:9], v[10:11]
	ds_bpermute_b32 v10, v1, v8
	ds_bpermute_b32 v11, v1, v9
	s_waitcnt lgkmcnt(0)
	v_pk_add_f32 v[8:9], v[8:9], v[10:11]
	ds_bpermute_b32 v10, v2, v8
	ds_bpermute_b32 v11, v2, v9
	s_waitcnt lgkmcnt(0)
	v_pk_add_f32 v[8:9], v[8:9], v[10:11]
	ds_bpermute_b32 v10, v3, v8
	ds_bpermute_b32 v11, v3, v9
	s_waitcnt lgkmcnt(0)
	v_pk_add_f32 v[8:9], v[8:9], v[10:11]
	ds_bpermute_b32 v10, v4, v8
	ds_bpermute_b32 v11, v4, v9
	s_waitcnt lgkmcnt(0)
	v_pk_add_f32 v[8:9], v[8:9], v[10:11]
	ds_bpermute_b32 v10, v6, v8
	ds_bpermute_b32 v11, v6, v9
	s_waitcnt lgkmcnt(0)
	v_pk_add_f32 v[8:9], v[8:9], v[10:11]
	scratch_store_dwordx2 off, v[8:9], off offset:8
	s_and_saveexec_b64 s[4:5], s[0:1]
	s_cbranch_execz .LBB238_9
; %bb.8:
	scratch_load_dword v7, v5, off offset:8
	v_add_u32_e32 v8, s10, v12
	v_mov_b32_e32 v9, 0
	v_lshl_add_u64 v[8:9], v[8:9], 2, s[2:3]
	s_waitcnt vmcnt(0)
	global_store_dword v[8:9], v7, off
.LBB238_9:
	s_or_b64 exec, exec, s[4:5]
	scratch_load_dwordx2 v[8:9], off, off offset:16
	s_waitcnt vmcnt(0)
	ds_bpermute_b32 v10, v0, v8
	ds_bpermute_b32 v11, v0, v9
	s_waitcnt lgkmcnt(0)
	v_pk_add_f32 v[8:9], v[8:9], v[10:11]
	ds_bpermute_b32 v10, v1, v8
	ds_bpermute_b32 v11, v1, v9
	s_waitcnt lgkmcnt(0)
	v_pk_add_f32 v[8:9], v[8:9], v[10:11]
	;; [unrolled: 4-line block ×6, first 2 shown]
	scratch_store_dwordx2 off, v[8:9], off offset:16
	s_and_saveexec_b64 s[4:5], s[0:1]
	s_cbranch_execz .LBB238_11
; %bb.10:
	scratch_load_dword v7, v5, off offset:16
	v_lshl_or_b32 v8, s10, 1, v12
	v_mov_b32_e32 v9, 0
	v_lshl_add_u64 v[8:9], v[8:9], 2, s[2:3]
	s_waitcnt vmcnt(0)
	global_store_dword v[8:9], v7, off
.LBB238_11:
	s_or_b64 exec, exec, s[4:5]
	scratch_load_dwordx2 v[8:9], off, off offset:24
	s_waitcnt vmcnt(0)
	ds_bpermute_b32 v10, v0, v8
	ds_bpermute_b32 v11, v0, v9
	s_waitcnt lgkmcnt(0)
	v_pk_add_f32 v[8:9], v[8:9], v[10:11]
	ds_bpermute_b32 v10, v1, v8
	ds_bpermute_b32 v11, v1, v9
	s_waitcnt lgkmcnt(0)
	v_pk_add_f32 v[8:9], v[8:9], v[10:11]
	;; [unrolled: 4-line block ×6, first 2 shown]
	scratch_store_dwordx2 off, v[8:9], off offset:24
	s_and_saveexec_b64 s[4:5], s[0:1]
	s_cbranch_execz .LBB238_13
; %bb.12:
	scratch_load_dword v7, v5, off offset:24
	v_mad_u64_u32 v[8:9], s[6:7], s10, 3, v[12:13]
	v_mov_b32_e32 v9, 0
	v_lshl_add_u64 v[8:9], v[8:9], 2, s[2:3]
	s_waitcnt vmcnt(0)
	global_store_dword v[8:9], v7, off
.LBB238_13:
	s_or_b64 exec, exec, s[4:5]
	scratch_load_dwordx2 v[8:9], off, off offset:32
	s_waitcnt vmcnt(0)
	ds_bpermute_b32 v10, v0, v8
	ds_bpermute_b32 v11, v0, v9
	s_waitcnt lgkmcnt(0)
	v_pk_add_f32 v[8:9], v[8:9], v[10:11]
	ds_bpermute_b32 v10, v1, v8
	ds_bpermute_b32 v11, v1, v9
	s_waitcnt lgkmcnt(0)
	v_pk_add_f32 v[8:9], v[8:9], v[10:11]
	;; [unrolled: 4-line block ×6, first 2 shown]
	scratch_store_dwordx2 off, v[8:9], off offset:32
	s_and_saveexec_b64 s[4:5], s[0:1]
	s_cbranch_execz .LBB238_15
; %bb.14:
	scratch_load_dword v7, v5, off offset:32
	v_lshl_or_b32 v8, s10, 2, v12
	v_mov_b32_e32 v9, 0
	v_lshl_add_u64 v[8:9], v[8:9], 2, s[2:3]
	s_waitcnt vmcnt(0)
	global_store_dword v[8:9], v7, off
.LBB238_15:
	s_or_b64 exec, exec, s[4:5]
	scratch_load_dwordx2 v[8:9], off, off offset:40
	s_waitcnt vmcnt(0)
	ds_bpermute_b32 v10, v0, v8
	ds_bpermute_b32 v11, v0, v9
	s_waitcnt lgkmcnt(0)
	v_pk_add_f32 v[8:9], v[8:9], v[10:11]
	ds_bpermute_b32 v10, v1, v8
	ds_bpermute_b32 v11, v1, v9
	s_waitcnt lgkmcnt(0)
	v_pk_add_f32 v[8:9], v[8:9], v[10:11]
	;; [unrolled: 4-line block ×6, first 2 shown]
	scratch_store_dwordx2 off, v[8:9], off offset:40
	s_and_saveexec_b64 s[4:5], s[0:1]
	s_cbranch_execz .LBB238_17
; %bb.16:
	scratch_load_dword v7, v5, off offset:40
	v_mad_u64_u32 v[8:9], s[6:7], s10, 5, v[12:13]
	v_mov_b32_e32 v9, 0
	v_lshl_add_u64 v[8:9], v[8:9], 2, s[2:3]
	s_waitcnt vmcnt(0)
	global_store_dword v[8:9], v7, off
.LBB238_17:
	s_or_b64 exec, exec, s[4:5]
	scratch_load_dwordx2 v[8:9], off, off offset:48
	s_waitcnt vmcnt(0)
	ds_bpermute_b32 v10, v0, v8
	ds_bpermute_b32 v11, v0, v9
	s_waitcnt lgkmcnt(0)
	v_pk_add_f32 v[8:9], v[8:9], v[10:11]
	ds_bpermute_b32 v0, v1, v8
	ds_bpermute_b32 v1, v1, v9
	s_waitcnt lgkmcnt(0)
	v_pk_add_f32 v[0:1], v[8:9], v[0:1]
	;; [unrolled: 4-line block ×6, first 2 shown]
	scratch_store_dwordx2 off, v[0:1], off offset:48
	s_and_b64 exec, exec, s[0:1]
	s_cbranch_execz .LBB238_19
; %bb.18:
	scratch_load_dword v2, v5, off offset:48
	s_mul_i32 s0, s10, 6
	v_or_b32_e32 v0, s0, v12
	v_mov_b32_e32 v1, 0
	v_lshl_add_u64 v[0:1], v[0:1], 2, s[2:3]
	s_waitcnt vmcnt(0)
	global_store_dword v[0:1], v2, off
.LBB238_19:
	s_endpgm
	.section	.rodata,"a",@progbits
	.p2align	6, 0x0
	.amdhsa_kernel _ZL13mul_mat_vec_qIL9ggml_type20ELi7ELb0ELb0EEvPKvS2_PKi31ggml_cuda_mm_fusion_args_devicePfj15HIP_vector_typeIjLj3EEjjjS8_jjjS8_jjjj
		.amdhsa_group_segment_fixed_size 0
		.amdhsa_private_segment_fixed_size 64
		.amdhsa_kernarg_size 144
		.amdhsa_user_sgpr_count 2
		.amdhsa_user_sgpr_dispatch_ptr 0
		.amdhsa_user_sgpr_queue_ptr 0
		.amdhsa_user_sgpr_kernarg_segment_ptr 1
		.amdhsa_user_sgpr_dispatch_id 0
		.amdhsa_user_sgpr_kernarg_preload_length 0
		.amdhsa_user_sgpr_kernarg_preload_offset 0
		.amdhsa_user_sgpr_private_segment_size 0
		.amdhsa_uses_dynamic_stack 0
		.amdhsa_enable_private_segment 1
		.amdhsa_system_sgpr_workgroup_id_x 1
		.amdhsa_system_sgpr_workgroup_id_y 1
		.amdhsa_system_sgpr_workgroup_id_z 1
		.amdhsa_system_sgpr_workgroup_info 0
		.amdhsa_system_vgpr_workitem_id 1
		.amdhsa_next_free_vgpr 48
		.amdhsa_next_free_sgpr 32
		.amdhsa_accum_offset 48
		.amdhsa_reserve_vcc 1
		.amdhsa_float_round_mode_32 0
		.amdhsa_float_round_mode_16_64 0
		.amdhsa_float_denorm_mode_32 3
		.amdhsa_float_denorm_mode_16_64 3
		.amdhsa_dx10_clamp 1
		.amdhsa_ieee_mode 1
		.amdhsa_fp16_overflow 0
		.amdhsa_tg_split 0
		.amdhsa_exception_fp_ieee_invalid_op 0
		.amdhsa_exception_fp_denorm_src 0
		.amdhsa_exception_fp_ieee_div_zero 0
		.amdhsa_exception_fp_ieee_overflow 0
		.amdhsa_exception_fp_ieee_underflow 0
		.amdhsa_exception_fp_ieee_inexact 0
		.amdhsa_exception_int_div_zero 0
	.end_amdhsa_kernel
	.section	.text._ZL13mul_mat_vec_qIL9ggml_type20ELi7ELb0ELb0EEvPKvS2_PKi31ggml_cuda_mm_fusion_args_devicePfj15HIP_vector_typeIjLj3EEjjjS8_jjjS8_jjjj,"axG",@progbits,_ZL13mul_mat_vec_qIL9ggml_type20ELi7ELb0ELb0EEvPKvS2_PKi31ggml_cuda_mm_fusion_args_devicePfj15HIP_vector_typeIjLj3EEjjjS8_jjjS8_jjjj,comdat
.Lfunc_end238:
	.size	_ZL13mul_mat_vec_qIL9ggml_type20ELi7ELb0ELb0EEvPKvS2_PKi31ggml_cuda_mm_fusion_args_devicePfj15HIP_vector_typeIjLj3EEjjjS8_jjjS8_jjjj, .Lfunc_end238-_ZL13mul_mat_vec_qIL9ggml_type20ELi7ELb0ELb0EEvPKvS2_PKi31ggml_cuda_mm_fusion_args_devicePfj15HIP_vector_typeIjLj3EEjjjS8_jjjS8_jjjj
                                        ; -- End function
	.section	.AMDGPU.csdata,"",@progbits
; Kernel info:
; codeLenInByte = 3848
; NumSgprs: 38
; NumVgprs: 48
; NumAgprs: 0
; TotalNumVgprs: 48
; ScratchSize: 64
; MemoryBound: 0
; FloatMode: 240
; IeeeMode: 1
; LDSByteSize: 0 bytes/workgroup (compile time only)
; SGPRBlocks: 4
; VGPRBlocks: 5
; NumSGPRsForWavesPerEU: 38
; NumVGPRsForWavesPerEU: 48
; AccumOffset: 48
; Occupancy: 8
; WaveLimiterHint : 0
; COMPUTE_PGM_RSRC2:SCRATCH_EN: 1
; COMPUTE_PGM_RSRC2:USER_SGPR: 2
; COMPUTE_PGM_RSRC2:TRAP_HANDLER: 0
; COMPUTE_PGM_RSRC2:TGID_X_EN: 1
; COMPUTE_PGM_RSRC2:TGID_Y_EN: 1
; COMPUTE_PGM_RSRC2:TGID_Z_EN: 1
; COMPUTE_PGM_RSRC2:TIDIG_COMP_CNT: 1
; COMPUTE_PGM_RSRC3_GFX90A:ACCUM_OFFSET: 11
; COMPUTE_PGM_RSRC3_GFX90A:TG_SPLIT: 0
	.section	.text._ZL13mul_mat_vec_qIL9ggml_type20ELi8ELb0ELb0EEvPKvS2_PKi31ggml_cuda_mm_fusion_args_devicePfj15HIP_vector_typeIjLj3EEjjjS8_jjjS8_jjjj,"axG",@progbits,_ZL13mul_mat_vec_qIL9ggml_type20ELi8ELb0ELb0EEvPKvS2_PKi31ggml_cuda_mm_fusion_args_devicePfj15HIP_vector_typeIjLj3EEjjjS8_jjjS8_jjjj,comdat
	.globl	_ZL13mul_mat_vec_qIL9ggml_type20ELi8ELb0ELb0EEvPKvS2_PKi31ggml_cuda_mm_fusion_args_devicePfj15HIP_vector_typeIjLj3EEjjjS8_jjjS8_jjjj ; -- Begin function _ZL13mul_mat_vec_qIL9ggml_type20ELi8ELb0ELb0EEvPKvS2_PKi31ggml_cuda_mm_fusion_args_devicePfj15HIP_vector_typeIjLj3EEjjjS8_jjjS8_jjjj
	.p2align	8
	.type	_ZL13mul_mat_vec_qIL9ggml_type20ELi8ELb0ELb0EEvPKvS2_PKi31ggml_cuda_mm_fusion_args_devicePfj15HIP_vector_typeIjLj3EEjjjS8_jjjS8_jjjj,@function
_ZL13mul_mat_vec_qIL9ggml_type20ELi8ELb0ELb0EEvPKvS2_PKi31ggml_cuda_mm_fusion_args_devicePfj15HIP_vector_typeIjLj3EEjjjS8_jjjS8_jjjj: ; @_ZL13mul_mat_vec_qIL9ggml_type20ELi8ELb0ELb0EEvPKvS2_PKi31ggml_cuda_mm_fusion_args_devicePfj15HIP_vector_typeIjLj3EEjjjS8_jjjS8_jjjj
; %bb.0:
	v_bfe_u32 v17, v0, 10, 10
	v_lshlrev_b32_e32 v1, 6, v17
	v_and_b32_e32 v16, 0x3ff, v0
	s_mov_b32 s20, 0
	s_load_dword s5, s[0:1], 0x40
	s_load_dwordx4 s[8:11], s[0:1], 0x50
	s_load_dword s25, s[0:1], 0x60
	s_load_dwordx4 s[12:15], s[0:1], 0x68
	;; [unrolled: 2-line block ×3, first 2 shown]
	s_mov_b32 s21, s20
	v_add_u16_e32 v0, v1, v16
	s_waitcnt lgkmcnt(0)
	s_lshr_b32 s5, s5, 5
	s_mov_b32 s22, s20
	s_mov_b32 s23, s20
	v_mov_b64_e32 v[2:3], s[20:21]
	v_lshrrev_b16_e32 v28, 1, v0
	s_lshl_b32 s2, s2, 1
	v_mov_b64_e32 v[4:5], s[22:23]
	v_cmp_gt_u32_e32 vcc, s5, v28
	scratch_store_dwordx4 off, v[2:5], off offset:48
	scratch_store_dwordx4 off, v[2:5], off offset:32
	scratch_store_dwordx4 off, v[2:5], off offset:16
	scratch_store_dwordx4 off, v[2:5], off
	s_and_saveexec_b64 s[6:7], vcc
	s_cbranch_execz .LBB239_4
; %bb.1:
	s_load_dwordx4 s[20:23], s[0:1], 0x0
	s_mul_i32 s17, s4, s17
	s_mul_hi_u32 s19, s17, 36
	s_mul_i32 s17, s17, 36
	s_mul_i32 s13, s3, s13
	s_waitcnt lgkmcnt(0)
	s_add_u32 s17, s22, s17
	s_addc_u32 s19, s23, s19
	s_mul_hi_u32 s23, s13, 36
	s_mul_i32 s13, s13, 36
	s_add_u32 s22, s17, s13
	s_mul_hi_u32 s11, s11, s3
	s_addc_u32 s23, s19, s23
	s_add_i32 s11, s3, s11
	v_and_b32_e32 v3, 1, v16
	s_lshr_b32 s11, s11, s25
	v_lshlrev_b32_e32 v18, 3, v3
	v_and_b32_e32 v3, v1, v16
	v_xor_b32_e32 v1, v1, v16
	s_mul_i32 s17, s11, s12
	s_mul_hi_u32 s11, s15, s4
	v_lshrrev_b16_e32 v1, 1, v1
	s_add_i32 s11, s4, s11
	v_add_u16_e32 v1, v3, v1
	s_lshr_b32 s11, s11, s24
	v_lshlrev_b32_e32 v0, 1, v16
	v_mad_u64_u32 v[20:21], s[12:13], v1, 36, s[22:23]
	s_mul_i32 s16, s11, s16
	v_and_b32_e32 v0, 2, v0
	s_add_i32 s13, s2, 1
	v_mov_b32_e32 v19, 0
	v_lshlrev_b32_e32 v2, 1, v0
	s_mul_i32 s27, s2, s8
	s_add_i32 s12, s16, s17
	s_mul_i32 s8, s8, s13
	s_lshl_b32 s11, s9, 1
	s_mul_i32 s15, s9, 3
	s_lshl_b32 s19, s9, 2
	s_mul_i32 s24, s9, 5
	s_mul_i32 s25, s9, 6
	;; [unrolled: 1-line block ×3, first 2 shown]
	s_add_i32 s8, s12, s8
	s_add_i32 s27, s12, s27
	s_mov_b64 s[12:13], 0
	v_lshlrev_b32_e32 v22, 1, v2
	s_mov_b32 s28, 0xf6eaddcf
	v_mov_b32_e32 v29, 0xbfad9881
	s_mov_b32 s29, 0x71594535
	v_mov_b32_e32 v30, 0x26190d01
	v_lshlrev_b32_e32 v24, 2, v0
	s_mov_b64 s[16:17], 0x480
	v_mov_b32_e32 v23, v19
	v_mov_b32_e32 v25, v19
	;; [unrolled: 1-line block ×18, first 2 shown]
.LBB239_2:                              ; =>This Inner Loop Header: Depth=1
	v_add_u32_e32 v31, s27, v28
	v_lshl_add_u64 v[26:27], v[20:21], 0, v[18:19]
	global_load_dwordx2 v[38:39], v[26:27], off offset:4
	global_load_dwordx2 v[40:41], v[26:27], off offset:20
	global_load_dword v32, v[20:21], off
	v_mad_i64_i32 v[26:27], s[30:31], v31, 18, s[20:21]
	v_lshl_add_u64 v[34:35], v[26:27], 0, v[22:23]
	global_load_dword v31, v[34:35], off offset:2
	global_load_ushort v46, v[26:27], off
	v_add_u32_e32 v26, s8, v28
	v_mad_i64_i32 v[26:27], s[30:31], v26, 18, s[20:21]
	v_lshl_add_u64 v[20:21], v[20:21], 0, s[16:17]
	s_waitcnt vmcnt(2)
	v_cvt_f32_f16_e32 v42, v32
	s_waitcnt vmcnt(1)
	v_ashrrev_i32_e32 v32, 4, v31
	v_and_b32_e32 v33, 0x7070707, v31
	v_lshrrev_b32_e32 v31, 1, v31
	v_and_b32_e32 v31, 0x4040404, v31
	v_perm_b32 v36, s28, v29, v33
	v_perm_b32 v33, s29, v30, v33
	v_or_b32_e32 v31, 0x3020100, v31
	v_perm_b32 v31, v33, v36, v31
	global_load_dword v33, v[34:35], off offset:6
	v_and_b32_e32 v37, 0x7070707, v32
	v_lshrrev_b32_e32 v32, 1, v32
	v_and_b32_e32 v32, 0x4040404, v32
	v_perm_b32 v43, s28, v29, v37
	v_perm_b32 v37, s29, v30, v37
	v_or_b32_e32 v32, 0x3020100, v32
	v_perm_b32 v32, v37, v43, v32
	v_mov_b32_e32 v43, 0
	v_dot4c_i32_i8_e32 v43, v31, v38
	v_dot4c_i32_i8_e32 v43, v32, v40
	s_waitcnt vmcnt(0)
	v_ashrrev_i32_e32 v34, 4, v33
	v_and_b32_e32 v37, 0x7070707, v34
	v_lshrrev_b32_e32 v34, 1, v34
	v_and_b32_e32 v35, 0x7070707, v33
	v_lshrrev_b32_e32 v33, 1, v33
	v_and_b32_e32 v34, 0x4040404, v34
	v_perm_b32 v44, s28, v29, v37
	v_perm_b32 v37, s29, v30, v37
	v_and_b32_e32 v33, 0x4040404, v33
	v_or_b32_e32 v34, 0x3020100, v34
	v_perm_b32 v36, s28, v29, v35
	v_perm_b32 v35, s29, v30, v35
	v_or_b32_e32 v33, 0x3020100, v33
	v_perm_b32 v34, v37, v44, v34
	v_lshl_add_u64 v[44:45], v[26:27], 0, v[22:23]
	v_perm_b32 v33, v35, v36, v33
	global_load_dword v35, v[44:45], off offset:2
	v_dot4c_i32_i8_e32 v43, v33, v39
	global_load_ushort v26, v[26:27], off
	v_dot4c_i32_i8_e32 v43, v34, v41
	s_waitcnt vmcnt(1)
	v_ashrrev_i32_e32 v37, 4, v35
	v_and_b32_e32 v36, 0x7070707, v35
	v_lshrrev_b32_e32 v35, 1, v35
	v_and_b32_e32 v35, 0x4040404, v35
	v_perm_b32 v47, s28, v29, v36
	v_perm_b32 v36, s29, v30, v36
	v_or_b32_e32 v35, 0x3020100, v35
	v_perm_b32 v36, v36, v47, v35
	v_lshrrev_b32_e32 v35, 1, v37
	v_and_b32_e32 v48, 0x7070707, v37
	v_and_b32_e32 v35, 0x4040404, v35
	v_perm_b32 v49, s28, v29, v48
	v_perm_b32 v48, s29, v30, v48
	v_or_b32_e32 v35, 0x3020100, v35
	v_perm_b32 v37, v48, v49, v35
	global_load_dword v35, v[44:45], off offset:6
	v_mov_b32_e32 v47, 0
	v_dot4c_i32_i8_e32 v47, v36, v38
	v_dot4c_i32_i8_e32 v47, v37, v40
	s_waitcnt vmcnt(1)
	v_cvt_f32_f16_e32 v27, v26
	v_cvt_f32_f16_e32 v26, v46
	s_waitcnt vmcnt(0)
	v_ashrrev_i32_e32 v38, 4, v35
	v_and_b32_e32 v40, 0x7070707, v35
	v_lshrrev_b32_e32 v35, 1, v35
	v_and_b32_e32 v35, 0x4040404, v35
	v_perm_b32 v44, s28, v29, v40
	v_perm_b32 v40, s29, v30, v40
	v_or_b32_e32 v35, 0x3020100, v35
	v_perm_b32 v49, v40, v44, v35
	v_lshrrev_b32_e32 v35, 1, v38
	v_and_b32_e32 v45, 0x7070707, v38
	v_and_b32_e32 v35, 0x4040404, v35
	v_perm_b32 v48, s28, v29, v45
	v_perm_b32 v45, s29, v30, v45
	v_or_b32_e32 v35, 0x3020100, v35
	v_perm_b32 v35, v45, v48, v35
	v_dot4c_i32_i8_e32 v47, v49, v39
	v_dot4c_i32_i8_e32 v47, v35, v41
	v_cvt_f32_i32_e32 v40, v43
	v_pk_mul_f32 v[38:39], v[42:43], v[26:27] op_sel_hi:[0,1]
	s_nop 0
	v_cvt_f32_i32_e32 v41, v47
	v_pk_fma_f32 v[12:13], v[38:39], v[40:41], v[12:13]
	v_add_u32_e32 v38, s9, v28
	v_mad_u64_u32 v[38:39], s[30:31], v38, 36, s[22:23]
	v_lshl_add_u64 v[40:41], v[38:39], 0, v[24:25]
	global_load_dwordx2 v[42:43], v[40:41], off offset:4
	global_load_dwordx2 v[44:45], v[40:41], off offset:20
	global_load_dword v46, v[38:39], off
	v_mov_b32_e32 v40, 0
	v_mov_b32_e32 v41, 0
	s_waitcnt vmcnt(2)
	v_dot4c_i32_i8_e32 v40, v31, v42
	v_dot4c_i32_i8_e32 v41, v36, v42
	s_waitcnt vmcnt(1)
	v_dot4c_i32_i8_e32 v40, v32, v44
	v_dot4c_i32_i8_e32 v41, v37, v44
	v_dot4c_i32_i8_e32 v40, v33, v43
	v_dot4c_i32_i8_e32 v41, v49, v43
	s_waitcnt vmcnt(0)
	v_cvt_f32_f16_e32 v38, v46
	v_dot4c_i32_i8_e32 v40, v34, v45
	v_dot4c_i32_i8_e32 v41, v35, v45
	v_pk_mul_f32 v[38:39], v[38:39], v[26:27] op_sel_hi:[0,1]
	s_nop 0
	v_cvt_f32_i32_e32 v40, v40
	v_cvt_f32_i32_e32 v41, v41
	v_pk_fma_f32 v[14:15], v[38:39], v[40:41], v[14:15]
	v_add_u32_e32 v38, s11, v28
	v_mad_u64_u32 v[38:39], s[30:31], v38, 36, s[22:23]
	v_lshl_add_u64 v[40:41], v[38:39], 0, v[24:25]
	global_load_dwordx2 v[42:43], v[40:41], off offset:4
	global_load_dwordx2 v[44:45], v[40:41], off offset:20
	global_load_dword v46, v[38:39], off
	v_mov_b32_e32 v40, 0
	v_mov_b32_e32 v41, 0
	s_waitcnt vmcnt(2)
	v_dot4c_i32_i8_e32 v40, v31, v42
	v_dot4c_i32_i8_e32 v41, v36, v42
	s_waitcnt vmcnt(1)
	v_dot4c_i32_i8_e32 v40, v32, v44
	v_dot4c_i32_i8_e32 v41, v37, v44
	v_dot4c_i32_i8_e32 v40, v33, v43
	v_dot4c_i32_i8_e32 v41, v49, v43
	s_waitcnt vmcnt(0)
	v_cvt_f32_f16_e32 v38, v46
	v_dot4c_i32_i8_e32 v40, v34, v45
	v_dot4c_i32_i8_e32 v41, v35, v45
	v_pk_mul_f32 v[38:39], v[38:39], v[26:27] op_sel_hi:[0,1]
	s_nop 0
	v_cvt_f32_i32_e32 v40, v40
	v_cvt_f32_i32_e32 v41, v41
	v_pk_fma_f32 v[8:9], v[38:39], v[40:41], v[8:9]
	v_add_u32_e32 v38, s15, v28
	v_mad_u64_u32 v[38:39], s[30:31], v38, 36, s[22:23]
	v_lshl_add_u64 v[40:41], v[38:39], 0, v[24:25]
	global_load_dwordx2 v[42:43], v[40:41], off offset:4
	global_load_dwordx2 v[44:45], v[40:41], off offset:20
	global_load_dword v46, v[38:39], off
	v_mov_b32_e32 v40, 0
	v_mov_b32_e32 v41, 0
	s_waitcnt vmcnt(2)
	v_dot4c_i32_i8_e32 v40, v31, v42
	v_dot4c_i32_i8_e32 v41, v36, v42
	s_waitcnt vmcnt(1)
	v_dot4c_i32_i8_e32 v40, v32, v44
	v_dot4c_i32_i8_e32 v41, v37, v44
	v_dot4c_i32_i8_e32 v40, v33, v43
	v_dot4c_i32_i8_e32 v41, v49, v43
	s_waitcnt vmcnt(0)
	v_cvt_f32_f16_e32 v38, v46
	v_dot4c_i32_i8_e32 v40, v34, v45
	v_dot4c_i32_i8_e32 v41, v35, v45
	v_pk_mul_f32 v[38:39], v[38:39], v[26:27] op_sel_hi:[0,1]
	s_nop 0
	v_cvt_f32_i32_e32 v40, v40
	v_cvt_f32_i32_e32 v41, v41
	v_pk_fma_f32 v[10:11], v[38:39], v[40:41], v[10:11]
	v_add_u32_e32 v38, s19, v28
	v_mad_u64_u32 v[38:39], s[30:31], v38, 36, s[22:23]
	v_lshl_add_u64 v[40:41], v[38:39], 0, v[24:25]
	global_load_dwordx2 v[42:43], v[40:41], off offset:4
	global_load_dwordx2 v[44:45], v[40:41], off offset:20
	global_load_dword v46, v[38:39], off
	v_mov_b32_e32 v40, 0
	v_mov_b32_e32 v41, 0
	s_waitcnt vmcnt(2)
	v_dot4c_i32_i8_e32 v40, v31, v42
	v_dot4c_i32_i8_e32 v41, v36, v42
	s_waitcnt vmcnt(1)
	v_dot4c_i32_i8_e32 v40, v32, v44
	v_dot4c_i32_i8_e32 v41, v37, v44
	v_dot4c_i32_i8_e32 v40, v33, v43
	v_dot4c_i32_i8_e32 v41, v49, v43
	s_waitcnt vmcnt(0)
	v_cvt_f32_f16_e32 v38, v46
	v_dot4c_i32_i8_e32 v40, v34, v45
	v_dot4c_i32_i8_e32 v41, v35, v45
	v_pk_mul_f32 v[38:39], v[38:39], v[26:27] op_sel_hi:[0,1]
	s_nop 0
	v_cvt_f32_i32_e32 v40, v40
	v_cvt_f32_i32_e32 v41, v41
	v_pk_fma_f32 v[4:5], v[38:39], v[40:41], v[4:5]
	v_add_u32_e32 v38, s24, v28
	v_mad_u64_u32 v[38:39], s[30:31], v38, 36, s[22:23]
	v_lshl_add_u64 v[40:41], v[38:39], 0, v[24:25]
	global_load_dwordx2 v[42:43], v[40:41], off offset:4
	global_load_dwordx2 v[44:45], v[40:41], off offset:20
	global_load_dword v46, v[38:39], off
	v_mov_b32_e32 v40, 0
	v_mov_b32_e32 v41, 0
	s_waitcnt vmcnt(2)
	v_dot4c_i32_i8_e32 v40, v31, v42
	v_dot4c_i32_i8_e32 v41, v36, v42
	s_waitcnt vmcnt(1)
	v_dot4c_i32_i8_e32 v40, v32, v44
	v_dot4c_i32_i8_e32 v41, v37, v44
	v_dot4c_i32_i8_e32 v40, v33, v43
	v_dot4c_i32_i8_e32 v41, v49, v43
	s_waitcnt vmcnt(0)
	v_cvt_f32_f16_e32 v38, v46
	v_dot4c_i32_i8_e32 v40, v34, v45
	v_dot4c_i32_i8_e32 v41, v35, v45
	v_pk_mul_f32 v[38:39], v[38:39], v[26:27] op_sel_hi:[0,1]
	s_nop 0
	v_cvt_f32_i32_e32 v40, v40
	v_cvt_f32_i32_e32 v41, v41
	v_pk_fma_f32 v[6:7], v[38:39], v[40:41], v[6:7]
	v_add_u32_e32 v38, s25, v28
	v_mad_u64_u32 v[38:39], s[30:31], v38, 36, s[22:23]
	v_lshl_add_u64 v[40:41], v[38:39], 0, v[24:25]
	global_load_dwordx2 v[42:43], v[40:41], off offset:4
	global_load_dwordx2 v[44:45], v[40:41], off offset:20
	global_load_dword v46, v[38:39], off
	v_mov_b32_e32 v40, 0
	v_mov_b32_e32 v41, 0
	s_waitcnt vmcnt(2)
	v_dot4c_i32_i8_e32 v40, v31, v42
	v_dot4c_i32_i8_e32 v41, v36, v42
	s_waitcnt vmcnt(1)
	v_dot4c_i32_i8_e32 v40, v32, v44
	v_dot4c_i32_i8_e32 v41, v37, v44
	v_dot4c_i32_i8_e32 v40, v33, v43
	v_dot4c_i32_i8_e32 v41, v49, v43
	s_waitcnt vmcnt(0)
	v_cvt_f32_f16_e32 v38, v46
	v_dot4c_i32_i8_e32 v40, v34, v45
	v_dot4c_i32_i8_e32 v41, v35, v45
	v_pk_mul_f32 v[38:39], v[38:39], v[26:27] op_sel_hi:[0,1]
	s_nop 0
	v_cvt_f32_i32_e32 v40, v40
	v_cvt_f32_i32_e32 v41, v41
	v_pk_fma_f32 v[0:1], v[38:39], v[40:41], v[0:1]
	v_add_u32_e32 v38, s26, v28
	v_mad_u64_u32 v[38:39], s[30:31], v38, 36, s[22:23]
	v_lshl_add_u64 v[40:41], v[38:39], 0, v[24:25]
	global_load_dwordx2 v[42:43], v[40:41], off offset:4
	global_load_dwordx2 v[44:45], v[40:41], off offset:20
	global_load_dword v46, v[38:39], off
	v_mov_b32_e32 v39, 0
	v_add_u32_e32 v28, 32, v28
	v_cmp_le_u32_e32 vcc, s5, v28
	s_or_b64 s[12:13], vcc, s[12:13]
	s_waitcnt vmcnt(2)
	v_dot4c_i32_i8_e32 v39, v31, v42
	v_mov_b32_e32 v31, 0
	v_dot4c_i32_i8_e32 v31, v36, v42
	s_waitcnt vmcnt(1)
	v_dot4c_i32_i8_e32 v39, v32, v44
	v_dot4c_i32_i8_e32 v31, v37, v44
	;; [unrolled: 1-line block ×4, first 2 shown]
	s_waitcnt vmcnt(0)
	v_cvt_f32_f16_e32 v38, v46
	v_dot4c_i32_i8_e32 v39, v34, v45
	v_dot4c_i32_i8_e32 v31, v35, v45
	s_nop 1
	v_cvt_f32_i32_e32 v32, v39
	v_cvt_f32_i32_e32 v33, v31
	v_pk_mul_f32 v[26:27], v[38:39], v[26:27] op_sel_hi:[0,1]
	v_pk_fma_f32 v[2:3], v[26:27], v[32:33], v[2:3]
	s_andn2_b64 exec, exec, s[12:13]
	s_cbranch_execnz .LBB239_2
; %bb.3:
	s_or_b64 exec, exec, s[12:13]
	scratch_store_dwordx4 off, v[12:15], off
	scratch_store_dwordx4 off, v[8:11], off offset:16
	scratch_store_dwordx4 off, v[4:7], off offset:32
	;; [unrolled: 1-line block ×3, first 2 shown]
.LBB239_4:
	s_or_b64 exec, exec, s[6:7]
	s_mov_b32 s5, 0
	v_cmp_eq_u32_e32 vcc, 0, v17
	s_waitcnt lgkmcnt(0)
	; wave barrier
	s_and_saveexec_b64 s[6:7], vcc
	s_cbranch_execz .LBB239_21
; %bb.5:
	scratch_load_dwordx2 v[2:3], off, off
	v_mbcnt_lo_u32_b32 v0, -1, 0
	v_mbcnt_hi_u32_b32 v12, -1, v0
	s_load_dwordx2 s[6:7], s[0:1], 0x38
	s_mul_i32 s0, s3, s14
	v_or_b32_e32 v1, s2, v16
	v_and_b32_e32 v0, 64, v12
	s_mul_i32 s4, s4, s18
	s_add_i32 s2, s0, s2
	v_cmp_gt_u32_e64 s[0:1], s10, v1
	v_xor_b32_e32 v1, 32, v12
	v_add_u32_e32 v13, 64, v0
	s_add_i32 s4, s2, s4
	v_cmp_lt_i32_e64 s[2:3], v1, v13
	v_cmp_gt_u32_e32 vcc, 2, v16
	s_nop 0
	v_cndmask_b32_e64 v0, v12, v1, s[2:3]
	v_lshlrev_b32_e32 v0, 2, v0
	v_xor_b32_e32 v1, 16, v12
	v_cmp_lt_i32_e64 s[2:3], v1, v13
	s_waitcnt vmcnt(0)
	ds_bpermute_b32 v4, v0, v2
	ds_bpermute_b32 v5, v0, v3
	v_cndmask_b32_e64 v1, v12, v1, s[2:3]
	v_lshlrev_b32_e32 v1, 2, v1
	s_waitcnt lgkmcnt(0)
	v_pk_add_f32 v[4:5], v[2:3], v[4:5]
	ds_bpermute_b32 v6, v1, v4
	ds_bpermute_b32 v7, v1, v5
	v_xor_b32_e32 v2, 8, v12
	v_cmp_lt_i32_e64 s[2:3], v2, v13
	v_xor_b32_e32 v3, 4, v12
	s_waitcnt lgkmcnt(0)
	v_pk_add_f32 v[4:5], v[4:5], v[6:7]
	v_cndmask_b32_e64 v2, v12, v2, s[2:3]
	v_lshlrev_b32_e32 v2, 2, v2
	ds_bpermute_b32 v6, v2, v4
	ds_bpermute_b32 v7, v2, v5
	v_cmp_lt_i32_e64 s[2:3], v3, v13
	s_waitcnt lgkmcnt(0)
	v_pk_add_f32 v[6:7], v[4:5], v[6:7]
	v_cndmask_b32_e64 v3, v12, v3, s[2:3]
	v_lshlrev_b32_e32 v3, 2, v3
	ds_bpermute_b32 v8, v3, v6
	ds_bpermute_b32 v9, v3, v7
	v_xor_b32_e32 v4, 2, v12
	v_cmp_lt_i32_e64 s[2:3], v4, v13
	v_xor_b32_e32 v5, 1, v12
	s_waitcnt lgkmcnt(0)
	v_pk_add_f32 v[8:9], v[6:7], v[8:9]
	v_cndmask_b32_e64 v4, v12, v4, s[2:3]
	v_lshlrev_b32_e32 v4, 2, v4
	ds_bpermute_b32 v10, v4, v8
	ds_bpermute_b32 v11, v4, v9
	v_cmp_lt_i32_e64 s[2:3], v5, v13
	s_waitcnt lgkmcnt(0)
	v_pk_add_f32 v[8:9], v[8:9], v[10:11]
	v_cndmask_b32_e64 v5, v12, v5, s[2:3]
	v_lshlrev_b32_e32 v6, 2, v5
	ds_bpermute_b32 v10, v6, v8
	ds_bpermute_b32 v11, v6, v9
	s_lshl_b64 s[2:3], s[4:5], 2
	s_add_u32 s2, s6, s2
	s_addc_u32 s3, s7, s3
	s_and_b64 s[0:1], vcc, s[0:1]
	s_waitcnt lgkmcnt(0)
	v_pk_add_f32 v[8:9], v[8:9], v[10:11]
	v_lshlrev_b32_e32 v5, 2, v16
	scratch_store_dwordx2 off, v[8:9], off
	s_and_saveexec_b64 s[4:5], s[0:1]
	s_cbranch_execz .LBB239_7
; %bb.6:
	scratch_load_dword v7, v5, off
	s_waitcnt vmcnt(0)
	global_store_dword v5, v7, s[2:3]
.LBB239_7:
	s_or_b64 exec, exec, s[4:5]
	scratch_load_dwordx2 v[8:9], off, off offset:8
	s_waitcnt vmcnt(0)
	ds_bpermute_b32 v10, v0, v8
	ds_bpermute_b32 v11, v0, v9
	s_waitcnt lgkmcnt(0)
	v_pk_add_f32 v[8:9], v[8:9], v[10:11]
	ds_bpermute_b32 v10, v1, v8
	ds_bpermute_b32 v11, v1, v9
	s_waitcnt lgkmcnt(0)
	v_pk_add_f32 v[8:9], v[8:9], v[10:11]
	;; [unrolled: 4-line block ×6, first 2 shown]
	scratch_store_dwordx2 off, v[8:9], off offset:8
	s_and_saveexec_b64 s[4:5], s[0:1]
	s_cbranch_execz .LBB239_9
; %bb.8:
	scratch_load_dword v7, v5, off offset:8
	v_add_u32_e32 v8, s10, v16
	v_mov_b32_e32 v9, 0
	v_lshl_add_u64 v[8:9], v[8:9], 2, s[2:3]
	s_waitcnt vmcnt(0)
	global_store_dword v[8:9], v7, off
.LBB239_9:
	s_or_b64 exec, exec, s[4:5]
	scratch_load_dwordx2 v[8:9], off, off offset:16
	s_waitcnt vmcnt(0)
	ds_bpermute_b32 v10, v0, v8
	ds_bpermute_b32 v11, v0, v9
	s_waitcnt lgkmcnt(0)
	v_pk_add_f32 v[8:9], v[8:9], v[10:11]
	ds_bpermute_b32 v10, v1, v8
	ds_bpermute_b32 v11, v1, v9
	s_waitcnt lgkmcnt(0)
	v_pk_add_f32 v[8:9], v[8:9], v[10:11]
	;; [unrolled: 4-line block ×6, first 2 shown]
	scratch_store_dwordx2 off, v[8:9], off offset:16
	s_and_saveexec_b64 s[4:5], s[0:1]
	s_cbranch_execz .LBB239_11
; %bb.10:
	scratch_load_dword v7, v5, off offset:16
	v_lshl_or_b32 v8, s10, 1, v16
	v_mov_b32_e32 v9, 0
	v_lshl_add_u64 v[8:9], v[8:9], 2, s[2:3]
	s_waitcnt vmcnt(0)
	global_store_dword v[8:9], v7, off
.LBB239_11:
	s_or_b64 exec, exec, s[4:5]
	scratch_load_dwordx2 v[8:9], off, off offset:24
	s_waitcnt vmcnt(0)
	ds_bpermute_b32 v10, v0, v8
	ds_bpermute_b32 v11, v0, v9
	s_waitcnt lgkmcnt(0)
	v_pk_add_f32 v[8:9], v[8:9], v[10:11]
	ds_bpermute_b32 v10, v1, v8
	ds_bpermute_b32 v11, v1, v9
	s_waitcnt lgkmcnt(0)
	v_pk_add_f32 v[8:9], v[8:9], v[10:11]
	;; [unrolled: 4-line block ×6, first 2 shown]
	scratch_store_dwordx2 off, v[8:9], off offset:24
	s_and_saveexec_b64 s[4:5], s[0:1]
	s_cbranch_execz .LBB239_13
; %bb.12:
	scratch_load_dword v7, v5, off offset:24
	v_mad_u64_u32 v[8:9], s[6:7], s10, 3, v[16:17]
	v_mov_b32_e32 v9, 0
	v_lshl_add_u64 v[8:9], v[8:9], 2, s[2:3]
	s_waitcnt vmcnt(0)
	global_store_dword v[8:9], v7, off
.LBB239_13:
	s_or_b64 exec, exec, s[4:5]
	scratch_load_dwordx2 v[8:9], off, off offset:32
	s_waitcnt vmcnt(0)
	ds_bpermute_b32 v10, v0, v8
	ds_bpermute_b32 v11, v0, v9
	s_waitcnt lgkmcnt(0)
	v_pk_add_f32 v[8:9], v[8:9], v[10:11]
	ds_bpermute_b32 v10, v1, v8
	ds_bpermute_b32 v11, v1, v9
	s_waitcnt lgkmcnt(0)
	v_pk_add_f32 v[8:9], v[8:9], v[10:11]
	;; [unrolled: 4-line block ×6, first 2 shown]
	scratch_store_dwordx2 off, v[8:9], off offset:32
	s_and_saveexec_b64 s[4:5], s[0:1]
	s_cbranch_execz .LBB239_15
; %bb.14:
	scratch_load_dword v7, v5, off offset:32
	v_lshl_or_b32 v8, s10, 2, v16
	v_mov_b32_e32 v9, 0
	v_lshl_add_u64 v[8:9], v[8:9], 2, s[2:3]
	s_waitcnt vmcnt(0)
	global_store_dword v[8:9], v7, off
.LBB239_15:
	s_or_b64 exec, exec, s[4:5]
	scratch_load_dwordx2 v[8:9], off, off offset:40
	s_waitcnt vmcnt(0)
	ds_bpermute_b32 v10, v0, v8
	ds_bpermute_b32 v11, v0, v9
	s_waitcnt lgkmcnt(0)
	v_pk_add_f32 v[8:9], v[8:9], v[10:11]
	ds_bpermute_b32 v10, v1, v8
	ds_bpermute_b32 v11, v1, v9
	s_waitcnt lgkmcnt(0)
	v_pk_add_f32 v[8:9], v[8:9], v[10:11]
	ds_bpermute_b32 v10, v2, v8
	ds_bpermute_b32 v11, v2, v9
	s_waitcnt lgkmcnt(0)
	v_pk_add_f32 v[8:9], v[8:9], v[10:11]
	ds_bpermute_b32 v10, v3, v8
	ds_bpermute_b32 v11, v3, v9
	s_waitcnt lgkmcnt(0)
	v_pk_add_f32 v[8:9], v[8:9], v[10:11]
	ds_bpermute_b32 v10, v4, v8
	ds_bpermute_b32 v11, v4, v9
	s_waitcnt lgkmcnt(0)
	v_pk_add_f32 v[8:9], v[8:9], v[10:11]
	ds_bpermute_b32 v10, v6, v8
	ds_bpermute_b32 v11, v6, v9
	s_waitcnt lgkmcnt(0)
	v_pk_add_f32 v[8:9], v[8:9], v[10:11]
	scratch_store_dwordx2 off, v[8:9], off offset:40
	s_and_saveexec_b64 s[4:5], s[0:1]
	s_cbranch_execz .LBB239_17
; %bb.16:
	scratch_load_dword v7, v5, off offset:40
	v_mad_u64_u32 v[8:9], s[6:7], s10, 5, v[16:17]
	v_mov_b32_e32 v9, 0
	v_lshl_add_u64 v[8:9], v[8:9], 2, s[2:3]
	s_waitcnt vmcnt(0)
	global_store_dword v[8:9], v7, off
.LBB239_17:
	s_or_b64 exec, exec, s[4:5]
	scratch_load_dwordx2 v[8:9], off, off offset:48
	s_waitcnt vmcnt(0)
	ds_bpermute_b32 v10, v0, v8
	ds_bpermute_b32 v11, v0, v9
	s_waitcnt lgkmcnt(0)
	v_pk_add_f32 v[8:9], v[8:9], v[10:11]
	ds_bpermute_b32 v10, v1, v8
	ds_bpermute_b32 v11, v1, v9
	s_waitcnt lgkmcnt(0)
	v_pk_add_f32 v[8:9], v[8:9], v[10:11]
	;; [unrolled: 4-line block ×6, first 2 shown]
	scratch_store_dwordx2 off, v[8:9], off offset:48
	s_and_saveexec_b64 s[4:5], s[0:1]
	s_cbranch_execz .LBB239_19
; %bb.18:
	scratch_load_dword v7, v5, off offset:48
	s_mul_i32 s6, s10, 6
	v_or_b32_e32 v8, s6, v16
	v_mov_b32_e32 v9, 0
	v_lshl_add_u64 v[8:9], v[8:9], 2, s[2:3]
	s_waitcnt vmcnt(0)
	global_store_dword v[8:9], v7, off
.LBB239_19:
	s_or_b64 exec, exec, s[4:5]
	scratch_load_dwordx2 v[8:9], off, off offset:56
	s_waitcnt vmcnt(0)
	ds_bpermute_b32 v10, v0, v8
	ds_bpermute_b32 v11, v0, v9
	s_waitcnt lgkmcnt(0)
	v_pk_add_f32 v[8:9], v[8:9], v[10:11]
	ds_bpermute_b32 v0, v1, v8
	ds_bpermute_b32 v1, v1, v9
	s_waitcnt lgkmcnt(0)
	v_pk_add_f32 v[0:1], v[8:9], v[0:1]
	;; [unrolled: 4-line block ×6, first 2 shown]
	scratch_store_dwordx2 off, v[0:1], off offset:56
	s_and_b64 exec, exec, s[0:1]
	s_cbranch_execz .LBB239_21
; %bb.20:
	scratch_load_dword v2, v5, off offset:56
	v_mad_u64_u32 v[0:1], s[0:1], s10, 7, v[16:17]
	v_mov_b32_e32 v1, 0
	v_lshl_add_u64 v[0:1], v[0:1], 2, s[2:3]
	s_waitcnt vmcnt(0)
	global_store_dword v[0:1], v2, off
.LBB239_21:
	s_endpgm
	.section	.rodata,"a",@progbits
	.p2align	6, 0x0
	.amdhsa_kernel _ZL13mul_mat_vec_qIL9ggml_type20ELi8ELb0ELb0EEvPKvS2_PKi31ggml_cuda_mm_fusion_args_devicePfj15HIP_vector_typeIjLj3EEjjjS8_jjjS8_jjjj
		.amdhsa_group_segment_fixed_size 0
		.amdhsa_private_segment_fixed_size 80
		.amdhsa_kernarg_size 144
		.amdhsa_user_sgpr_count 2
		.amdhsa_user_sgpr_dispatch_ptr 0
		.amdhsa_user_sgpr_queue_ptr 0
		.amdhsa_user_sgpr_kernarg_segment_ptr 1
		.amdhsa_user_sgpr_dispatch_id 0
		.amdhsa_user_sgpr_kernarg_preload_length 0
		.amdhsa_user_sgpr_kernarg_preload_offset 0
		.amdhsa_user_sgpr_private_segment_size 0
		.amdhsa_uses_dynamic_stack 0
		.amdhsa_enable_private_segment 1
		.amdhsa_system_sgpr_workgroup_id_x 1
		.amdhsa_system_sgpr_workgroup_id_y 1
		.amdhsa_system_sgpr_workgroup_id_z 1
		.amdhsa_system_sgpr_workgroup_info 0
		.amdhsa_system_vgpr_workitem_id 1
		.amdhsa_next_free_vgpr 50
		.amdhsa_next_free_sgpr 32
		.amdhsa_accum_offset 52
		.amdhsa_reserve_vcc 1
		.amdhsa_float_round_mode_32 0
		.amdhsa_float_round_mode_16_64 0
		.amdhsa_float_denorm_mode_32 3
		.amdhsa_float_denorm_mode_16_64 3
		.amdhsa_dx10_clamp 1
		.amdhsa_ieee_mode 1
		.amdhsa_fp16_overflow 0
		.amdhsa_tg_split 0
		.amdhsa_exception_fp_ieee_invalid_op 0
		.amdhsa_exception_fp_denorm_src 0
		.amdhsa_exception_fp_ieee_div_zero 0
		.amdhsa_exception_fp_ieee_overflow 0
		.amdhsa_exception_fp_ieee_underflow 0
		.amdhsa_exception_fp_ieee_inexact 0
		.amdhsa_exception_int_div_zero 0
	.end_amdhsa_kernel
	.section	.text._ZL13mul_mat_vec_qIL9ggml_type20ELi8ELb0ELb0EEvPKvS2_PKi31ggml_cuda_mm_fusion_args_devicePfj15HIP_vector_typeIjLj3EEjjjS8_jjjS8_jjjj,"axG",@progbits,_ZL13mul_mat_vec_qIL9ggml_type20ELi8ELb0ELb0EEvPKvS2_PKi31ggml_cuda_mm_fusion_args_devicePfj15HIP_vector_typeIjLj3EEjjjS8_jjjS8_jjjj,comdat
.Lfunc_end239:
	.size	_ZL13mul_mat_vec_qIL9ggml_type20ELi8ELb0ELb0EEvPKvS2_PKi31ggml_cuda_mm_fusion_args_devicePfj15HIP_vector_typeIjLj3EEjjjS8_jjjS8_jjjj, .Lfunc_end239-_ZL13mul_mat_vec_qIL9ggml_type20ELi8ELb0ELb0EEvPKvS2_PKi31ggml_cuda_mm_fusion_args_devicePfj15HIP_vector_typeIjLj3EEjjjS8_jjjS8_jjjj
                                        ; -- End function
	.section	.AMDGPU.csdata,"",@progbits
; Kernel info:
; codeLenInByte = 4228
; NumSgprs: 38
; NumVgprs: 50
; NumAgprs: 0
; TotalNumVgprs: 50
; ScratchSize: 80
; MemoryBound: 0
; FloatMode: 240
; IeeeMode: 1
; LDSByteSize: 0 bytes/workgroup (compile time only)
; SGPRBlocks: 4
; VGPRBlocks: 6
; NumSGPRsForWavesPerEU: 38
; NumVGPRsForWavesPerEU: 50
; AccumOffset: 52
; Occupancy: 8
; WaveLimiterHint : 0
; COMPUTE_PGM_RSRC2:SCRATCH_EN: 1
; COMPUTE_PGM_RSRC2:USER_SGPR: 2
; COMPUTE_PGM_RSRC2:TRAP_HANDLER: 0
; COMPUTE_PGM_RSRC2:TGID_X_EN: 1
; COMPUTE_PGM_RSRC2:TGID_Y_EN: 1
; COMPUTE_PGM_RSRC2:TGID_Z_EN: 1
; COMPUTE_PGM_RSRC2:TIDIG_COMP_CNT: 1
; COMPUTE_PGM_RSRC3_GFX90A:ACCUM_OFFSET: 12
; COMPUTE_PGM_RSRC3_GFX90A:TG_SPLIT: 0
	.section	.text._ZL17mul_mat_vec_q_moeIL9ggml_type23ELi2EEvPKvS2_PKiPfj15HIP_vector_typeIjLj3EEjjjjjjjjj,"axG",@progbits,_ZL17mul_mat_vec_q_moeIL9ggml_type23ELi2EEvPKvS2_PKiPfj15HIP_vector_typeIjLj3EEjjjjjjjjj,comdat
	.globl	_ZL17mul_mat_vec_q_moeIL9ggml_type23ELi2EEvPKvS2_PKiPfj15HIP_vector_typeIjLj3EEjjjjjjjjj ; -- Begin function _ZL17mul_mat_vec_q_moeIL9ggml_type23ELi2EEvPKvS2_PKiPfj15HIP_vector_typeIjLj3EEjjjjjjjjj
	.p2align	8
	.type	_ZL17mul_mat_vec_q_moeIL9ggml_type23ELi2EEvPKvS2_PKiPfj15HIP_vector_typeIjLj3EEjjjjjjjjj,@function
_ZL17mul_mat_vec_q_moeIL9ggml_type23ELi2EEvPKvS2_PKiPfj15HIP_vector_typeIjLj3EEjjjjjjjjj: ; @_ZL17mul_mat_vec_q_moeIL9ggml_type23ELi2EEvPKvS2_PKiPfj15HIP_vector_typeIjLj3EEjjjjjjjjj
; %bb.0:
	s_load_dwordx8 s[4:11], s[0:1], 0x30
	v_bfe_u32 v18, v0, 10, 10
	s_waitcnt lgkmcnt(0)
	v_cmp_gt_u32_e32 vcc, s11, v18
	s_and_saveexec_b64 s[12:13], vcc
	s_cbranch_execz .LBB240_7
; %bb.1:
	s_load_dword s11, s[0:1], 0x20
	s_load_dword s20, s[0:1], 0x50
	s_load_dwordx8 s[12:19], s[0:1], 0x0
	v_and_b32_e32 v19, 0x3ff, v0
	v_lshrrev_b32_e32 v20, 3, v19
	s_waitcnt lgkmcnt(0)
	s_lshr_b32 s11, s11, 8
	s_lshl_b32 s2, s2, 1
	v_cmp_gt_u32_e32 vcc, s11, v20
	v_mov_b32_e32 v11, 0
	v_mov_b32_e32 v10, 0
	s_and_saveexec_b64 s[24:25], vcc
	s_cbranch_execz .LBB240_5
; %bb.2:
	v_mul_lo_u32 v2, v18, s20
	v_mov_b32_e32 v0, s16
	v_mov_b32_e32 v1, s17
	v_add_u32_e32 v8, s3, v2
	v_mov_b32_e32 v9, 0
	v_lshl_add_u64 v[0:1], v[8:9], 2, v[0:1]
	global_load_dword v4, v[0:1], off
	s_load_dwordx4 s[20:23], s[0:1], 0x24
	v_mul_lo_u32 v1, v18, s6
	s_add_i32 s26, s2, 1
	v_lshlrev_b32_e32 v5, 2, v19
	s_waitcnt lgkmcnt(0)
	s_mul_i32 s23, s2, s5
	s_mul_hi_u32 s20, s20, s3
	s_add_i32 s20, s3, s20
	s_lshr_b32 s20, s20, s21
	s_mul_i32 s20, s20, s22
	v_lshrrev_b32_e32 v7, 3, v19
	s_movk_i32 s28, 0x120
	s_mul_i32 s5, s5, s26
	v_mad_u64_u32 v[2:3], s[26:27], v1, 36, 0
	s_sub_i32 s20, s3, s20
	v_and_b32_e32 v0, 28, v5
	v_mad_u64_u32 v[2:3], s[26:27], v7, s28, v[2:3]
	s_mul_i32 s20, s20, s9
	v_and_b32_e32 v6, 7, v19
	v_lshrrev_b32_e32 v24, 1, v0
	v_lshlrev_b32_e32 v14, 2, v0
	v_mad_u64_u32 v[0:1], s[20:21], s20, 36, v[2:3]
	v_mad_u64_u32 v[0:1], s[20:21], v6, 36, v[0:1]
	v_lshl_add_u64 v[0:1], v[0:1], 0, s[14:15]
	v_lshl_add_u64 v[16:17], v[0:1], 0, 16
	s_mov_b64 s[0:1], 0
	s_movk_i32 s6, 0x88
	v_mov_b64_e32 v[12:13], s[12:13]
	s_mov_b32 s16, 0xf6eaddcf
	v_mov_b32_e32 v21, 0xbfad9881
	s_mov_b32 s17, 0x71594535
	v_mov_b32_e32 v22, 0x26190d01
	s_mov_b64 s[12:13], 0x900
	v_and_b32_e32 v23, 4, v5
	v_mov_b32_e32 v15, v9
	v_mov_b32_e32 v10, v9
	v_bfe_u32 v8, v5, 3, 2
	v_mov_b32_e32 v11, v9
	s_waitcnt vmcnt(0)
	v_mul_lo_u32 v0, v4, s8
	v_add_u32_e32 v25, s23, v0
	v_add_u32_e32 v26, s5, v0
.LBB240_3:                              ; =>This Inner Loop Header: Depth=1
	v_add_u32_e32 v28, v25, v20
	v_add_u32_e32 v29, v26, v20
	v_mad_i64_i32 v[36:37], s[8:9], v28, s6, v[12:13]
	v_mad_i64_i32 v[38:39], s[8:9], v29, s6, v[12:13]
	v_lshl_add_u64 v[40:41], v[36:37], 0, v[14:15]
	global_load_dword v27, v[16:17], off offset:16
	global_load_dwordx4 v[0:3], v[16:17], off
	global_load_dwordx4 v[4:7], v[16:17], off offset:-16
	v_lshl_add_u64 v[42:43], v[36:37], 0, v[8:9]
	v_lshl_add_u64 v[44:45], v[38:39], 0, v[14:15]
	;; [unrolled: 1-line block ×3, first 2 shown]
	global_load_dwordx4 v[28:31], v[40:41], off offset:8
	global_load_ubyte v50, v[42:43], off offset:4
	global_load_dwordx4 v[32:35], v[44:45], off offset:8
	global_load_dword v51, v[38:39], off
	global_load_dword v52, v[36:37], off
	global_load_ubyte v53, v[46:47], off offset:4
	v_mov_b32_e32 v48, 0
	v_mov_b32_e32 v49, 0
	v_add_u32_e32 v20, 8, v20
	v_cmp_le_u32_e32 vcc, s11, v20
	v_lshl_add_u64 v[16:17], v[16:17], 0, s[12:13]
	s_or_b64 s[0:1], vcc, s[0:1]
	s_waitcnt vmcnt(5)
	v_ashrrev_i32_e32 v36, 4, v28
	v_and_b32_e32 v37, 0x7070707, v28
	v_lshrrev_b32_e32 v28, 1, v28
	v_ashrrev_i32_e32 v38, 4, v29
	v_and_b32_e32 v39, 0x7070707, v29
	v_lshrrev_b32_e32 v29, 1, v29
	v_and_b32_e32 v28, 0x4040404, v28
	v_ashrrev_i32_e32 v40, 4, v30
	v_and_b32_e32 v41, 0x7070707, v30
	v_lshrrev_b32_e32 v30, 1, v30
	v_perm_b32 v60, s16, v21, v37
	v_perm_b32 v37, s17, v22, v37
	v_or_b32_e32 v28, 0x3020100, v28
	v_and_b32_e32 v29, 0x4040404, v29
	v_ashrrev_i32_e32 v42, 4, v31
	v_and_b32_e32 v43, 0x7070707, v31
	v_lshrrev_b32_e32 v31, 1, v31
	v_perm_b32 v28, v37, v60, v28
	v_perm_b32 v60, s16, v21, v39
	;; [unrolled: 1-line block ×3, first 2 shown]
	v_or_b32_e32 v29, 0x3020100, v29
	v_and_b32_e32 v30, 0x4040404, v30
	s_waitcnt vmcnt(3)
	v_ashrrev_i32_e32 v45, 4, v32
	v_and_b32_e32 v46, 0x7070707, v32
	v_lshrrev_b32_e32 v32, 1, v32
	v_perm_b32 v29, v39, v60, v29
	v_perm_b32 v60, s16, v21, v41
	v_perm_b32 v41, s17, v22, v41
	v_or_b32_e32 v30, 0x3020100, v30
	v_and_b32_e32 v31, 0x4040404, v31
	v_bfe_u32 v44, v50, v23, 4
	v_ashrrev_i32_e32 v47, 4, v33
	v_and_b32_e32 v50, 0x7070707, v33
	v_lshrrev_b32_e32 v33, 1, v33
	v_perm_b32 v30, v41, v60, v30
	v_perm_b32 v60, s16, v21, v43
	v_perm_b32 v43, s17, v22, v43
	v_or_b32_e32 v31, 0x3020100, v31
	v_and_b32_e32 v32, 0x4040404, v32
	v_ashrrev_i32_e32 v54, 4, v34
	v_and_b32_e32 v55, 0x7070707, v34
	v_lshrrev_b32_e32 v34, 1, v34
	v_perm_b32 v31, v43, v60, v31
	v_perm_b32 v60, s16, v21, v46
	v_perm_b32 v46, s17, v22, v46
	v_or_b32_e32 v32, 0x3020100, v32
	v_and_b32_e32 v33, 0x4040404, v33
	;; [unrolled: 8-line block ×3, first 2 shown]
	v_and_b32_e32 v37, 0x7070707, v36
	v_lshrrev_b32_e32 v36, 1, v36
	v_perm_b32 v33, v50, v60, v33
	v_perm_b32 v60, s16, v21, v55
	v_perm_b32 v55, s17, v22, v55
	v_or_b32_e32 v34, 0x3020100, v34
	v_and_b32_e32 v35, 0x4040404, v35
	v_and_b32_e32 v39, 0x7070707, v38
	v_lshrrev_b32_e32 v38, 1, v38
	v_perm_b32 v34, v55, v60, v34
	v_perm_b32 v60, s16, v21, v57
	v_perm_b32 v57, s17, v22, v57
	v_or_b32_e32 v35, 0x3020100, v35
	v_and_b32_e32 v36, 0x4040404, v36
	;; [unrolled: 7-line block ×3, first 2 shown]
	v_perm_b32 v36, v37, v60, v36
	v_perm_b32 v37, s16, v21, v39
	;; [unrolled: 1-line block ×3, first 2 shown]
	v_or_b32_e32 v38, 0x3020100, v38
	v_and_b32_e32 v45, 0x4040404, v45
	v_and_b32_e32 v50, 0x7070707, v47
	v_lshrrev_b32_e32 v47, 1, v47
	v_perm_b32 v37, v39, v37, v38
	v_perm_b32 v38, s16, v21, v46
	;; [unrolled: 1-line block ×3, first 2 shown]
	v_or_b32_e32 v45, 0x3020100, v45
	v_and_b32_e32 v47, 0x4040404, v47
	v_dot4c_i32_i8_e32 v48, v28, v5
	v_perm_b32 v38, v39, v38, v45
	v_dot4c_i32_i8_e32 v49, v32, v5
	s_waitcnt vmcnt(2)
	v_lshrrev_b32_sdwa v59, v24, v51 dst_sel:DWORD dst_unused:UNUSED_PAD src0_sel:DWORD src1_sel:WORD_1
	v_and_b32_e32 v41, 0x7070707, v40
	v_lshrrev_b32_e32 v40, 1, v40
	v_and_b32_e32 v55, 0x7070707, v54
	v_lshrrev_b32_e32 v54, 1, v54
	v_perm_b32 v46, s16, v21, v50
	v_perm_b32 v50, s17, v22, v50
	v_or_b32_e32 v47, 0x3020100, v47
	v_dot4c_i32_i8_e32 v48, v36, v1
	v_dot4c_i32_i8_e32 v49, v38, v1
	s_waitcnt vmcnt(0)
	v_bfe_u32 v53, v53, v23, 4
	v_lshlrev_b32_e32 v59, 4, v59
	v_and_b32_e32 v40, 0x4040404, v40
	v_and_b32_e32 v54, 0x4040404, v54
	v_perm_b32 v5, v50, v46, v47
	v_dot4c_i32_i8_e32 v48, v29, v6
	v_dot4c_i32_i8_e32 v49, v33, v6
	v_lshrrev_b32_sdwa v58, v24, v52 dst_sel:DWORD dst_unused:UNUSED_PAD src0_sel:DWORD src1_sel:WORD_1
	v_and_b32_e32 v43, 0x7070707, v42
	v_lshrrev_b32_e32 v42, 1, v42
	v_and_b32_e32 v57, 0x7070707, v56
	v_lshrrev_b32_e32 v56, 1, v56
	v_perm_b32 v60, s16, v21, v41
	v_perm_b32 v41, s17, v22, v41
	v_and_or_b32 v53, v59, 48, v53
	v_perm_b32 v59, s16, v21, v55
	v_perm_b32 v55, s17, v22, v55
	v_or_b32_e32 v40, 0x3020100, v40
	v_or_b32_e32 v54, 0x3020100, v54
	v_dot4c_i32_i8_e32 v48, v37, v2
	v_dot4c_i32_i8_e32 v49, v5, v2
	v_lshlrev_b32_e32 v58, 4, v58
	v_and_b32_e32 v42, 0x4040404, v42
	v_and_b32_e32 v56, 0x4040404, v56
	v_perm_b32 v40, v41, v60, v40
	v_perm_b32 v32, v55, v59, v54
	v_dot4c_i32_i8_e32 v48, v30, v7
	v_dot4c_i32_i8_e32 v49, v34, v7
	v_and_or_b32 v44, v58, 48, v44
	v_perm_b32 v58, s16, v21, v43
	v_perm_b32 v43, s17, v22, v43
	;; [unrolled: 1-line block ×4, first 2 shown]
	v_or_b32_e32 v42, 0x3020100, v42
	v_or_b32_e32 v56, 0x3020100, v56
	v_dot4c_i32_i8_e32 v48, v40, v3
	v_dot4c_i32_i8_e32 v49, v32, v3
	v_perm_b32 v41, v43, v58, v42
	v_perm_b32 v28, v57, v28, v56
	v_dot4c_i32_i8_e32 v48, v31, v0
	v_dot4c_i32_i8_e32 v49, v35, v0
	v_subrev_u32_e32 v44, 32, v44
	v_subrev_u32_e32 v53, 32, v53
	v_dot4c_i32_i8_e32 v48, v41, v27
	v_dot4c_i32_i8_e32 v49, v28, v27
	v_cvt_f32_f16_e32 v4, v4
	v_cvt_f32_f16_e32 v52, v52
	;; [unrolled: 1-line block ×3, first 2 shown]
	v_mul_lo_u32 v0, v44, v48
	v_mul_lo_u32 v1, v53, v49
	v_cvt_f32_i32_e32 v0, v0
	v_cvt_f32_i32_e32 v1, v1
	v_mul_f32_e32 v2, v52, v4
	v_mul_f32_e32 v3, v51, v4
	v_fmac_f32_e32 v10, v2, v0
	v_fmac_f32_e32 v11, v3, v1
	s_andn2_b64 exec, exec, s[0:1]
	s_cbranch_execnz .LBB240_3
; %bb.4:
	s_or_b64 exec, exec, s[0:1]
.LBB240_5:
	s_or_b64 exec, exec, s[24:25]
	v_mbcnt_lo_u32_b32 v0, -1, 0
	v_mbcnt_hi_u32_b32 v4, -1, v0
	v_and_b32_e32 v0, 64, v4
	v_add_u32_e32 v5, 64, v0
	v_xor_b32_e32 v0, 32, v4
	v_cmp_lt_i32_e32 vcc, v0, v5
	v_xor_b32_e32 v2, 16, v4
	v_xor_b32_e32 v6, 8, v4
	v_cndmask_b32_e32 v0, v4, v0, vcc
	v_lshlrev_b32_e32 v1, 2, v0
	ds_bpermute_b32 v0, v1, v10
	ds_bpermute_b32 v1, v1, v11
	v_cmp_lt_i32_e32 vcc, v2, v5
	s_waitcnt lgkmcnt(0)
	v_pk_add_f32 v[0:1], v[10:11], v[0:1]
	v_cndmask_b32_e32 v2, v4, v2, vcc
	v_lshlrev_b32_e32 v3, 2, v2
	ds_bpermute_b32 v2, v3, v0
	ds_bpermute_b32 v3, v3, v1
	v_cmp_lt_i32_e32 vcc, v6, v5
	s_waitcnt lgkmcnt(0)
	v_pk_add_f32 v[0:1], v[0:1], v[2:3]
	v_cndmask_b32_e32 v6, v4, v6, vcc
	v_lshlrev_b32_e32 v6, 2, v6
	ds_bpermute_b32 v2, v6, v0
	ds_bpermute_b32 v3, v6, v1
	v_xor_b32_e32 v6, 4, v4
	v_cmp_lt_i32_e32 vcc, v6, v5
	s_waitcnt lgkmcnt(0)
	v_pk_add_f32 v[0:1], v[0:1], v[2:3]
	v_cndmask_b32_e32 v6, v4, v6, vcc
	v_lshlrev_b32_e32 v6, 2, v6
	ds_bpermute_b32 v2, v6, v0
	ds_bpermute_b32 v3, v6, v1
	v_xor_b32_e32 v6, 2, v4
	;; [unrolled: 8-line block ×3, first 2 shown]
	v_cmp_lt_i32_e32 vcc, v6, v5
	s_waitcnt lgkmcnt(0)
	v_pk_add_f32 v[0:1], v[0:1], v[2:3]
	v_cndmask_b32_e32 v4, v4, v6, vcc
	v_lshlrev_b32_e32 v4, 2, v4
	ds_bpermute_b32 v2, v4, v0
	ds_bpermute_b32 v3, v4, v1
	v_add_u32_e32 v4, s2, v19
	v_cmp_gt_u32_e32 vcc, 2, v19
	v_cmp_gt_u32_e64 s[0:1], s4, v4
	s_and_b64 s[0:1], vcc, s[0:1]
	s_and_b64 exec, exec, s[0:1]
	s_cbranch_execz .LBB240_7
; %bb.6:
	v_cmp_eq_u32_e32 vcc, 1, v19
	s_mul_i32 s3, s3, s10
	v_mov_b32_e32 v4, s18
	s_waitcnt lgkmcnt(0)
	v_cndmask_b32_e32 v2, v2, v3, vcc
	v_cndmask_b32_e32 v0, v0, v1, vcc
	v_add_f32_e32 v2, v0, v2
	v_mul_lo_u32 v0, v18, s7
	v_or_b32_e32 v1, s2, v19
	v_mov_b32_e32 v5, s19
	v_add3_u32 v0, v1, v0, s3
	v_mov_b32_e32 v1, 0
	v_lshl_add_u64 v[0:1], v[0:1], 2, v[4:5]
	global_store_dword v[0:1], v2, off
.LBB240_7:
	s_endpgm
	.section	.rodata,"a",@progbits
	.p2align	6, 0x0
	.amdhsa_kernel _ZL17mul_mat_vec_q_moeIL9ggml_type23ELi2EEvPKvS2_PKiPfj15HIP_vector_typeIjLj3EEjjjjjjjjj
		.amdhsa_group_segment_fixed_size 0
		.amdhsa_private_segment_fixed_size 0
		.amdhsa_kernarg_size 84
		.amdhsa_user_sgpr_count 2
		.amdhsa_user_sgpr_dispatch_ptr 0
		.amdhsa_user_sgpr_queue_ptr 0
		.amdhsa_user_sgpr_kernarg_segment_ptr 1
		.amdhsa_user_sgpr_dispatch_id 0
		.amdhsa_user_sgpr_kernarg_preload_length 0
		.amdhsa_user_sgpr_kernarg_preload_offset 0
		.amdhsa_user_sgpr_private_segment_size 0
		.amdhsa_uses_dynamic_stack 0
		.amdhsa_enable_private_segment 0
		.amdhsa_system_sgpr_workgroup_id_x 1
		.amdhsa_system_sgpr_workgroup_id_y 1
		.amdhsa_system_sgpr_workgroup_id_z 0
		.amdhsa_system_sgpr_workgroup_info 0
		.amdhsa_system_vgpr_workitem_id 1
		.amdhsa_next_free_vgpr 61
		.amdhsa_next_free_sgpr 29
		.amdhsa_accum_offset 64
		.amdhsa_reserve_vcc 1
		.amdhsa_float_round_mode_32 0
		.amdhsa_float_round_mode_16_64 0
		.amdhsa_float_denorm_mode_32 3
		.amdhsa_float_denorm_mode_16_64 3
		.amdhsa_dx10_clamp 1
		.amdhsa_ieee_mode 1
		.amdhsa_fp16_overflow 0
		.amdhsa_tg_split 0
		.amdhsa_exception_fp_ieee_invalid_op 0
		.amdhsa_exception_fp_denorm_src 0
		.amdhsa_exception_fp_ieee_div_zero 0
		.amdhsa_exception_fp_ieee_overflow 0
		.amdhsa_exception_fp_ieee_underflow 0
		.amdhsa_exception_fp_ieee_inexact 0
		.amdhsa_exception_int_div_zero 0
	.end_amdhsa_kernel
	.section	.text._ZL17mul_mat_vec_q_moeIL9ggml_type23ELi2EEvPKvS2_PKiPfj15HIP_vector_typeIjLj3EEjjjjjjjjj,"axG",@progbits,_ZL17mul_mat_vec_q_moeIL9ggml_type23ELi2EEvPKvS2_PKiPfj15HIP_vector_typeIjLj3EEjjjjjjjjj,comdat
.Lfunc_end240:
	.size	_ZL17mul_mat_vec_q_moeIL9ggml_type23ELi2EEvPKvS2_PKiPfj15HIP_vector_typeIjLj3EEjjjjjjjjj, .Lfunc_end240-_ZL17mul_mat_vec_q_moeIL9ggml_type23ELi2EEvPKvS2_PKiPfj15HIP_vector_typeIjLj3EEjjjjjjjjj
                                        ; -- End function
	.section	.AMDGPU.csdata,"",@progbits
; Kernel info:
; codeLenInByte = 1980
; NumSgprs: 35
; NumVgprs: 61
; NumAgprs: 0
; TotalNumVgprs: 61
; ScratchSize: 0
; MemoryBound: 0
; FloatMode: 240
; IeeeMode: 1
; LDSByteSize: 0 bytes/workgroup (compile time only)
; SGPRBlocks: 4
; VGPRBlocks: 7
; NumSGPRsForWavesPerEU: 35
; NumVGPRsForWavesPerEU: 61
; AccumOffset: 64
; Occupancy: 8
; WaveLimiterHint : 1
; COMPUTE_PGM_RSRC2:SCRATCH_EN: 0
; COMPUTE_PGM_RSRC2:USER_SGPR: 2
; COMPUTE_PGM_RSRC2:TRAP_HANDLER: 0
; COMPUTE_PGM_RSRC2:TGID_X_EN: 1
; COMPUTE_PGM_RSRC2:TGID_Y_EN: 1
; COMPUTE_PGM_RSRC2:TGID_Z_EN: 0
; COMPUTE_PGM_RSRC2:TIDIG_COMP_CNT: 1
; COMPUTE_PGM_RSRC3_GFX90A:ACCUM_OFFSET: 15
; COMPUTE_PGM_RSRC3_GFX90A:TG_SPLIT: 0
	.section	.text._ZL13mul_mat_vec_qIL9ggml_type23ELi1ELb1ELb1EEvPKvS2_PKi31ggml_cuda_mm_fusion_args_devicePfj15HIP_vector_typeIjLj3EEjjjS8_jjjS8_jjjj,"axG",@progbits,_ZL13mul_mat_vec_qIL9ggml_type23ELi1ELb1ELb1EEvPKvS2_PKi31ggml_cuda_mm_fusion_args_devicePfj15HIP_vector_typeIjLj3EEjjjS8_jjjS8_jjjj,comdat
	.globl	_ZL13mul_mat_vec_qIL9ggml_type23ELi1ELb1ELb1EEvPKvS2_PKi31ggml_cuda_mm_fusion_args_devicePfj15HIP_vector_typeIjLj3EEjjjS8_jjjS8_jjjj ; -- Begin function _ZL13mul_mat_vec_qIL9ggml_type23ELi1ELb1ELb1EEvPKvS2_PKi31ggml_cuda_mm_fusion_args_devicePfj15HIP_vector_typeIjLj3EEjjjS8_jjjS8_jjjj
	.p2align	8
	.type	_ZL13mul_mat_vec_qIL9ggml_type23ELi1ELb1ELb1EEvPKvS2_PKi31ggml_cuda_mm_fusion_args_devicePfj15HIP_vector_typeIjLj3EEjjjS8_jjjS8_jjjj,@function
_ZL13mul_mat_vec_qIL9ggml_type23ELi1ELb1ELb1EEvPKvS2_PKi31ggml_cuda_mm_fusion_args_devicePfj15HIP_vector_typeIjLj3EEjjjS8_jjjS8_jjjj: ; @_ZL13mul_mat_vec_qIL9ggml_type23ELi1ELb1ELb1EEvPKvS2_PKi31ggml_cuda_mm_fusion_args_devicePfj15HIP_vector_typeIjLj3EEjjjS8_jjjS8_jjjj
; %bb.0:
	s_load_dwordx8 s[16:23], s[2:3], 0x0
	s_load_dwordx4 s[36:39], s[2:3], 0x20
	s_load_dwordx4 s[40:43], s[2:3], 0x40
	;; [unrolled: 1-line block ×3, first 2 shown]
	s_mov_b32 s14, s5
	s_waitcnt lgkmcnt(0)
	s_cmp_lg_u64 s[20:21], 0
	s_cselect_b64 s[8:9], -1, 0
	s_cmp_eq_u64 s[20:21], 0
	s_mov_b64 s[10:11], 0
	s_cbranch_scc1 .LBB241_5
; %bb.1:
	s_mov_b32 s15, 0
	s_lshl_b64 s[12:13], s[14:15], 2
	s_add_u32 s12, s20, s12
	s_addc_u32 s13, s21, s13
	s_load_dword s44, s[12:13], 0x0
	s_load_dword s33, s[2:3], 0x50
	;; [unrolled: 1-line block ×3, first 2 shown]
	s_andn2_b64 vcc, exec, s[10:11]
	s_cbranch_vccnz .LBB241_3
.LBB241_2:
	s_load_dwordx2 s[10:11], s[2:3], 0x5c
	s_waitcnt lgkmcnt(0)
	s_mul_hi_u32 s5, s10, s14
	s_add_i32 s5, s14, s5
	s_lshr_b32 s44, s5, s11
.LBB241_3:
	s_andn2_b64 vcc, exec, s[8:9]
	s_cbranch_vccnz .LBB241_6
; %bb.4:
	s_mul_hi_u32 s5, s41, s14
	s_add_i32 s5, s14, s5
	s_lshr_b32 s5, s5, s42
	s_mul_i32 s5, s5, s43
	s_sub_i32 s41, s14, s5
	s_waitcnt lgkmcnt(0)
	s_mov_b32 s15, s44
	s_branch .LBB241_7
.LBB241_5:
                                        ; implicit-def: $sgpr44
	s_load_dword s33, s[2:3], 0x50
	s_load_dword s45, s[2:3], 0x78
	s_branch .LBB241_2
.LBB241_6:
	s_mov_b32 s15, s14
	s_mov_b32 s41, s14
.LBB241_7:
	s_load_dword s7, s[2:3], 0x58
	s_load_dwordx4 s[28:31], s[2:3], 0x80
	s_lshl_b32 s20, s4, 1
	s_cmp_eq_u64 s[22:23], 0
	v_and_b32_e32 v25, 0x3ff, v0
	v_bfe_u32 v30, v0, 10, 10
	s_cselect_b64 s[8:9], -1, 0
	s_and_b64 vcc, exec, s[8:9]
	v_mov_b32_e32 v26, 0
	v_cmp_gt_u32_e64 s[4:5], 2, v25
	v_cmp_eq_u32_e64 s[10:11], 0, v30
	v_or_b32_e32 v1, s20, v25
	v_mov_b32_e32 v27, 0
	s_cbranch_vccnz .LBB241_11
; %bb.8:
	s_waitcnt lgkmcnt(0)
	v_cmp_gt_u32_e32 vcc, s7, v1
	s_and_b64 s[4:5], s[4:5], vcc
	s_mov_b32 s13, 0
	s_and_b64 s[10:11], s[4:5], s[10:11]
	v_mov_b32_e32 v27, 0
	s_and_saveexec_b64 s[4:5], s[10:11]
	s_cbranch_execz .LBB241_10
; %bb.9:
	s_mul_i32 s12, s6, s30
	s_lshl_b64 s[10:11], s[12:13], 2
	s_add_u32 s21, s22, s10
	s_mul_i32 s12, s15, s26
	s_addc_u32 s22, s23, s11
	s_lshl_b64 s[10:11], s[12:13], 2
	s_add_u32 s12, s21, s10
	s_addc_u32 s13, s22, s11
	s_ashr_i32 s21, s20, 31
	s_lshl_b64 s[10:11], s[20:21], 2
	s_add_u32 s10, s12, s10
	s_addc_u32 s11, s13, s11
	v_lshlrev_b32_e32 v2, 2, v25
	global_load_dword v27, v2, s[10:11]
.LBB241_10:
	s_or_b64 exec, exec, s[4:5]
.LBB241_11:
	s_cmp_lg_u64 s[36:37], 0
	s_cselect_b64 s[34:35], -1, 0
	s_cmp_eq_u64 s[36:37], 0
	s_cselect_b64 s[22:23], -1, 0
	s_cmp_lg_u64 s[38:39], 0
	s_cselect_b64 s[4:5], -1, 0
	s_and_b64 s[10:11], s[4:5], s[34:35]
	s_andn2_b64 vcc, exec, s[10:11]
	s_cbranch_vccnz .LBB241_15
; %bb.12:
	v_cmp_gt_u32_e32 vcc, 2, v25
	s_waitcnt lgkmcnt(0)
	v_cmp_gt_u32_e64 s[12:13], s7, v1
	v_cmp_eq_u32_e64 s[10:11], 0, v30
	s_and_b64 s[12:13], vcc, s[12:13]
	s_mov_b32 s43, 0
	s_and_b64 s[12:13], s[12:13], s[10:11]
	v_mov_b32_e32 v26, 0
	s_and_saveexec_b64 s[10:11], s[12:13]
	s_cbranch_execz .LBB241_14
; %bb.13:
	s_mul_i32 s42, s6, s30
	s_lshl_b64 s[12:13], s[42:43], 2
	s_add_u32 s21, s38, s12
	s_mul_i32 s42, s15, s26
	s_addc_u32 s31, s39, s13
	s_lshl_b64 s[12:13], s[42:43], 2
	s_add_u32 s15, s21, s12
	s_addc_u32 s31, s31, s13
	s_ashr_i32 s21, s20, 31
	s_lshl_b64 s[12:13], s[20:21], 2
	s_add_u32 s12, s15, s12
	s_addc_u32 s13, s31, s13
	v_lshlrev_b32_e32 v1, 2, v25
	global_load_dword v26, v1, s[12:13]
.LBB241_14:
	s_or_b64 exec, exec, s[10:11]
.LBB241_15:
	s_load_dwordx2 s[0:1], s[0:1], 0x4
	v_bfe_u32 v1, v0, 20, 10
	v_lshl_add_u32 v0, v30, 6, v25
	s_lshr_b32 s15, s40, 8
	v_lshrrev_b32_e32 v31, 3, v0
	s_waitcnt lgkmcnt(0)
	s_lshr_b32 s0, s0, 16
	v_mul_u32_u24_e32 v2, s1, v30
	s_mul_i32 s0, s0, s1
	v_mad_u32_u24 v2, s0, v25, v2
	v_add_lshl_u32 v1, v2, v1, 3
	v_add_u32_e32 v29, 0x800, v1
	v_add_u32_e32 v28, 0x400, v1
	v_cndmask_b32_e64 v1, 0, 1, s[34:35]
	v_mov_b32_e32 v35, 0
	v_cmp_gt_u32_e32 vcc, s15, v31
	v_lshlrev_b32_e32 v24, 2, v25
	v_cmp_ne_u32_e64 s[10:11], 1, v1
	v_mov_b32_e32 v32, 0
	v_mov_b32_e32 v34, 0
	;; [unrolled: 1-line block ×3, first 2 shown]
	ds_write2_b32 v29, v35, v35 offset1:1
	ds_write2_b32 v28, v35, v35 offset1:1
	s_and_saveexec_b64 s[0:1], vcc
	s_cbranch_execz .LBB241_23
; %bb.16:
	s_mul_hi_u32 s13, s27, s6
	s_add_i32 s13, s6, s13
	s_lshr_b32 s13, s13, s45
	s_mul_i32 s21, s44, s24
	s_mul_i32 s13, s13, s28
	;; [unrolled: 1-line block ×3, first 2 shown]
	s_add_i32 s13, s13, s21
	s_add_i32 s21, s13, s24
	s_add_i32 s24, s20, 1
	s_mul_i32 s12, s41, s25
	s_mul_i32 s33, s33, s24
	s_add_i32 s24, s13, s33
	s_mul_hi_u32 s13, s12, 36
	s_mul_i32 s12, s12, 36
	v_lshrrev_b32_e32 v4, 3, v0
	v_mov_b32_e32 v0, s12
	v_mov_b32_e32 v1, s13
	s_movk_i32 s12, 0x120
	s_mul_i32 s29, s6, s29
	v_mad_u64_u32 v[0:1], s[12:13], v4, s12, v[0:1]
	v_and_b32_e32 v3, 7, v25
	v_mad_u64_u32 v[0:1], s[12:13], s29, 36, v[0:1]
	v_mad_u64_u32 v[0:1], s[12:13], v3, 36, v[0:1]
	v_and_b32_e32 v2, 28, v24
	v_mov_b32_e32 v17, 0
	v_lshl_add_u64 v[0:1], v[0:1], 0, s[18:19]
	v_bfe_u32 v18, v24, 3, 2
	v_mov_b32_e32 v19, v17
	v_and_b32_e32 v36, 4, v24
	v_lshrrev_b32_e32 v37, 1, v2
	v_lshl_add_u64 v[20:21], v[0:1], 0, 16
	s_mov_b64 s[12:13], 0
	s_movk_i32 s25, 0x88
	v_mov_b64_e32 v[22:23], s[16:17]
	v_lshlrev_b32_e32 v16, 2, v2
	s_mov_b32 s27, 0xf6eaddcf
	s_mov_b32 s28, 0x71594535
	s_mov_b64 s[18:19], 0x1200
	v_mov_b32_e32 v38, 0xbfad9881
	v_mov_b32_e32 v39, 0x26190d01
	v_mov_b32_e32 v33, v17
	v_mov_b32_e32 v32, v17
	v_mov_b32_e32 v34, v17
	v_mov_b32_e32 v35, v17
	s_branch .LBB241_18
.LBB241_17:                             ;   in Loop: Header=BB241_18 Depth=1
	s_waitcnt vmcnt(1)
	v_ashrrev_i32_e32 v45, 4, v12
	v_and_b32_e32 v46, 0x7070707, v12
	v_lshrrev_b32_e32 v12, 1, v12
	v_and_b32_e32 v48, 0x7070707, v45
	v_and_b32_e32 v12, 0x4040404, v12
	v_lshrrev_b32_e32 v45, 1, v45
	v_perm_b32 v47, s27, v38, v46
	v_perm_b32 v46, s28, v39, v46
	v_or_b32_e32 v12, 0x3020100, v12
	v_and_b32_e32 v45, 0x4040404, v45
	v_perm_b32 v49, s27, v38, v48
	v_perm_b32 v48, s28, v39, v48
	;; [unrolled: 1-line block ×3, first 2 shown]
	v_or_b32_e32 v45, 0x3020100, v45
	v_mov_b32_e32 v46, v17
	v_perm_b32 v45, v48, v49, v45
	v_dot4c_i32_i8_e32 v46, v12, v5
	v_dot4c_i32_i8_e32 v46, v45, v1
	v_ashrrev_i32_e32 v12, 4, v13
	v_and_b32_e32 v45, 0x7070707, v13
	v_lshrrev_b32_e32 v13, 1, v13
	v_and_b32_e32 v48, 0x7070707, v12
	v_and_b32_e32 v13, 0x4040404, v13
	v_lshrrev_b32_e32 v12, 1, v12
	v_perm_b32 v47, s27, v38, v45
	v_perm_b32 v45, s28, v39, v45
	v_or_b32_e32 v13, 0x3020100, v13
	v_and_b32_e32 v12, 0x4040404, v12
	v_perm_b32 v49, s27, v38, v48
	v_perm_b32 v48, s28, v39, v48
	v_perm_b32 v13, v45, v47, v13
	v_or_b32_e32 v12, 0x3020100, v12
	v_perm_b32 v12, v48, v49, v12
	v_dot4c_i32_i8_e32 v46, v13, v6
	v_dot4c_i32_i8_e32 v46, v12, v2
	v_ashrrev_i32_e32 v12, 4, v14
	v_and_b32_e32 v13, 0x7070707, v14
	v_lshrrev_b32_e32 v14, 1, v14
	v_and_b32_e32 v47, 0x7070707, v12
	v_and_b32_e32 v14, 0x4040404, v14
	v_lshrrev_b32_e32 v12, 1, v12
	v_perm_b32 v45, s27, v38, v13
	v_perm_b32 v13, s28, v39, v13
	v_or_b32_e32 v14, 0x3020100, v14
	v_and_b32_e32 v12, 0x4040404, v12
	v_perm_b32 v48, s27, v38, v47
	v_perm_b32 v47, s28, v39, v47
	v_perm_b32 v13, v13, v45, v14
	v_or_b32_e32 v12, 0x3020100, v12
	;; [unrolled: 17-line block ×3, first 2 shown]
	v_perm_b32 v12, v45, v47, v12
	v_dot4c_i32_i8_e32 v46, v13, v0
	v_dot4c_i32_i8_e32 v46, v12, v40
	v_and_b32_e32 v12, 0xff, v44
	s_waitcnt vmcnt(0)
	v_lshrrev_b32_sdwa v13, v37, v43 dst_sel:DWORD dst_unused:UNUSED_PAD src0_sel:DWORD src1_sel:WORD_1
	v_ashrrev_i32_e32 v14, 4, v8
	v_and_b32_e32 v15, 0x7070707, v8
	v_lshrrev_b32_e32 v8, 1, v8
	v_bfe_u32 v12, v12, v36, 4
	v_lshlrev_b32_e32 v13, 4, v13
	v_and_b32_e32 v44, 0x7070707, v14
	v_and_b32_e32 v8, 0x4040404, v8
	v_lshrrev_b32_e32 v14, 1, v14
	v_and_or_b32 v12, v13, 48, v12
	v_cvt_f32_f16_e32 v13, v43
	v_perm_b32 v43, s27, v38, v15
	v_perm_b32 v15, s28, v39, v15
	v_or_b32_e32 v8, 0x3020100, v8
	v_and_b32_e32 v14, 0x4040404, v14
	v_perm_b32 v45, s27, v38, v44
	v_perm_b32 v44, s28, v39, v44
	;; [unrolled: 1-line block ×3, first 2 shown]
	v_or_b32_e32 v14, 0x3020100, v14
	v_mov_b32_e32 v15, v17
	v_perm_b32 v14, v44, v45, v14
	v_dot4c_i32_i8_e32 v15, v8, v5
	v_dot4c_i32_i8_e32 v15, v14, v1
	v_ashrrev_i32_e32 v1, 4, v9
	v_and_b32_e32 v5, 0x7070707, v9
	v_lshrrev_b32_e32 v9, 1, v9
	v_and_b32_e32 v14, 0x7070707, v1
	v_and_b32_e32 v9, 0x4040404, v9
	v_lshrrev_b32_e32 v1, 1, v1
	v_perm_b32 v8, s27, v38, v5
	v_perm_b32 v5, s28, v39, v5
	v_or_b32_e32 v9, 0x3020100, v9
	v_and_b32_e32 v1, 0x4040404, v1
	v_perm_b32 v43, s27, v38, v14
	v_perm_b32 v14, s28, v39, v14
	;; [unrolled: 1-line block ×3, first 2 shown]
	v_or_b32_e32 v1, 0x3020100, v1
	v_perm_b32 v1, v14, v43, v1
	v_dot4c_i32_i8_e32 v15, v5, v6
	v_dot4c_i32_i8_e32 v15, v1, v2
	v_ashrrev_i32_e32 v1, 4, v10
	v_lshrrev_b32_e32 v9, 1, v10
	v_and_b32_e32 v2, 0x7070707, v10
	v_and_b32_e32 v6, 0x7070707, v1
	;; [unrolled: 1-line block ×3, first 2 shown]
	v_lshrrev_b32_e32 v1, 1, v1
	v_perm_b32 v5, s27, v38, v2
	v_perm_b32 v2, s28, v39, v2
	v_or_b32_e32 v9, 0x3020100, v9
	v_and_b32_e32 v1, 0x4040404, v1
	v_perm_b32 v8, s27, v38, v6
	v_perm_b32 v6, s28, v39, v6
	;; [unrolled: 1-line block ×3, first 2 shown]
	v_or_b32_e32 v1, 0x3020100, v1
	v_perm_b32 v1, v6, v8, v1
	v_dot4c_i32_i8_e32 v15, v2, v7
	v_dot4c_i32_i8_e32 v15, v1, v3
	v_ashrrev_i32_e32 v1, 4, v11
	v_lshrrev_b32_e32 v7, 1, v11
	v_and_b32_e32 v2, 0x7070707, v11
	v_and_b32_e32 v5, 0x7070707, v1
	;; [unrolled: 1-line block ×3, first 2 shown]
	v_lshrrev_b32_e32 v1, 1, v1
	v_perm_b32 v3, s27, v38, v2
	v_perm_b32 v2, s28, v39, v2
	v_or_b32_e32 v7, 0x3020100, v7
	v_and_b32_e32 v1, 0x4040404, v1
	v_perm_b32 v6, s27, v38, v5
	v_perm_b32 v5, s28, v39, v5
	;; [unrolled: 1-line block ×3, first 2 shown]
	v_or_b32_e32 v1, 0x3020100, v1
	v_perm_b32 v1, v5, v6, v1
	v_dot4c_i32_i8_e32 v15, v2, v0
	v_dot4c_i32_i8_e32 v15, v1, v40
	v_and_b32_e32 v0, 0xff, v42
	v_lshrrev_b32_sdwa v1, v37, v41 dst_sel:DWORD dst_unused:UNUSED_PAD src0_sel:DWORD src1_sel:WORD_1
	v_bfe_u32 v0, v0, v36, 4
	v_lshlrev_b32_e32 v1, 4, v1
	v_and_or_b32 v0, v1, 48, v0
	v_subrev_u32_e32 v12, 32, v12
	v_subrev_u32_e32 v0, 32, v0
	v_mul_lo_u32 v12, v12, v46
	v_mul_lo_u32 v0, v0, v15
	v_cvt_f32_f16_e32 v1, v41
	v_cvt_f32_i32_e32 v12, v12
	v_cvt_f32_i32_e32 v0, v0
	v_add_u32_e32 v31, 16, v31
	v_mul_f32_e32 v2, v13, v4
	v_mul_f32_e32 v1, v1, v4
	v_cmp_le_u32_e32 vcc, s15, v31
	v_fmac_f32_e32 v32, v2, v12
	v_fmac_f32_e32 v35, v1, v0
	s_or_b64 s[12:13], vcc, s[12:13]
	v_lshl_add_u64 v[20:21], v[20:21], 0, s[18:19]
	s_andn2_b64 exec, exec, s[12:13]
	s_cbranch_execz .LBB241_22
.LBB241_18:                             ; =>This Inner Loop Header: Depth=1
	v_add_u32_e32 v12, s21, v31
	v_mad_i64_i32 v[14:15], s[34:35], v12, s25, v[22:23]
	global_load_dwordx4 v[4:7], v[20:21], off offset:-16
	global_load_dwordx4 v[0:3], v[20:21], off
	global_load_dword v40, v[20:21], off offset:16
	v_lshl_add_u64 v[46:47], v[14:15], 0, v[18:19]
	v_lshl_add_u64 v[44:45], v[14:15], 0, v[16:17]
	global_load_ubyte v42, v[46:47], off offset:4
	global_load_dwordx4 v[8:11], v[44:45], off offset:8
	global_load_dword v41, v[14:15], off
	s_and_b64 vcc, exec, s[10:11]
	s_waitcnt vmcnt(5)
	v_cvt_f32_f16_e32 v4, v4
	s_cbranch_vccnz .LBB241_20
; %bb.19:                               ;   in Loop: Header=BB241_18 Depth=1
	v_mov_b64_e32 v[14:15], s[36:37]
	v_mad_i64_i32 v[44:45], s[34:35], v12, s25, v[14:15]
	v_lshl_add_u64 v[12:13], v[44:45], 0, v[16:17]
	global_load_dwordx4 v[12:15], v[12:13], off offset:8
	s_waitcnt vmcnt(0)
	v_ashrrev_i32_e32 v43, 4, v12
	v_and_b32_e32 v46, 0x7070707, v12
	v_lshrrev_b32_e32 v12, 1, v12
	v_and_b32_e32 v48, 0x7070707, v43
	v_and_b32_e32 v12, 0x4040404, v12
	v_lshrrev_b32_e32 v43, 1, v43
	v_perm_b32 v47, s27, v38, v46
	v_perm_b32 v46, s28, v39, v46
	v_or_b32_e32 v12, 0x3020100, v12
	v_and_b32_e32 v43, 0x4040404, v43
	v_perm_b32 v49, s27, v38, v48
	v_perm_b32 v48, s28, v39, v48
	;; [unrolled: 1-line block ×3, first 2 shown]
	v_or_b32_e32 v43, 0x3020100, v43
	v_mov_b32_e32 v46, v17
	v_perm_b32 v43, v48, v49, v43
	v_dot4c_i32_i8_e32 v46, v12, v5
	v_dot4c_i32_i8_e32 v46, v43, v1
	v_ashrrev_i32_e32 v12, 4, v13
	v_and_b32_e32 v43, 0x7070707, v13
	v_lshrrev_b32_e32 v13, 1, v13
	v_and_b32_e32 v48, 0x7070707, v12
	v_and_b32_e32 v13, 0x4040404, v13
	v_lshrrev_b32_e32 v12, 1, v12
	v_perm_b32 v47, s27, v38, v43
	v_perm_b32 v43, s28, v39, v43
	v_or_b32_e32 v13, 0x3020100, v13
	v_and_b32_e32 v12, 0x4040404, v12
	v_perm_b32 v49, s27, v38, v48
	v_perm_b32 v48, s28, v39, v48
	v_perm_b32 v13, v43, v47, v13
	v_or_b32_e32 v12, 0x3020100, v12
	v_perm_b32 v12, v48, v49, v12
	v_dot4c_i32_i8_e32 v46, v13, v6
	v_dot4c_i32_i8_e32 v46, v12, v2
	v_ashrrev_i32_e32 v12, 4, v14
	v_and_b32_e32 v13, 0x7070707, v14
	v_lshrrev_b32_e32 v14, 1, v14
	v_and_b32_e32 v47, 0x7070707, v12
	v_and_b32_e32 v14, 0x4040404, v14
	v_lshrrev_b32_e32 v12, 1, v12
	v_perm_b32 v43, s27, v38, v13
	v_perm_b32 v13, s28, v39, v13
	v_or_b32_e32 v14, 0x3020100, v14
	v_and_b32_e32 v12, 0x4040404, v12
	v_perm_b32 v48, s27, v38, v47
	v_perm_b32 v47, s28, v39, v47
	v_perm_b32 v13, v13, v43, v14
	v_or_b32_e32 v12, 0x3020100, v12
	;; [unrolled: 17-line block ×3, first 2 shown]
	v_perm_b32 v12, v43, v47, v12
	v_dot4c_i32_i8_e32 v46, v13, v0
	v_dot4c_i32_i8_e32 v46, v12, v40
	v_lshl_add_u64 v[12:13], v[44:45], 0, v[18:19]
	global_load_ubyte v12, v[12:13], off offset:4
	s_waitcnt vmcnt(0)
	v_bfe_u32 v12, v12, v36, 4
	global_load_dword v13, v[44:45], off
	s_waitcnt vmcnt(0)
	v_lshrrev_b32_sdwa v14, v37, v13 dst_sel:DWORD dst_unused:UNUSED_PAD src0_sel:DWORD src1_sel:WORD_1
	v_lshlrev_b32_e32 v14, 4, v14
	v_and_or_b32 v12, v14, 48, v12
	v_subrev_u32_e32 v12, 32, v12
	v_mul_lo_u32 v12, v46, v12
	v_cvt_f32_f16_e32 v13, v13
	v_cvt_f32_i32_e32 v12, v12
	v_mul_f32_e32 v13, v4, v13
	v_fmac_f32_e32 v34, v13, v12
.LBB241_20:                             ;   in Loop: Header=BB241_18 Depth=1
	v_add_u32_e32 v45, s24, v31
	v_mov_b64_e32 v[12:13], s[16:17]
	v_mad_i64_i32 v[46:47], s[34:35], v45, s25, v[12:13]
	v_lshl_add_u64 v[50:51], v[46:47], 0, v[18:19]
	v_lshl_add_u64 v[48:49], v[46:47], 0, v[16:17]
	global_load_ubyte v44, v[50:51], off offset:4
	global_load_dwordx4 v[12:15], v[48:49], off offset:8
	global_load_dword v43, v[46:47], off
	s_and_b64 vcc, exec, s[10:11]
	s_cbranch_vccnz .LBB241_17
; %bb.21:                               ;   in Loop: Header=BB241_18 Depth=1
	v_mov_b64_e32 v[46:47], s[36:37]
	v_mad_i64_i32 v[50:51], s[34:35], v45, s25, v[46:47]
	v_lshl_add_u64 v[46:47], v[50:51], 0, v[16:17]
	global_load_dwordx4 v[46:49], v[46:47], off offset:8
	s_waitcnt vmcnt(0)
	v_ashrrev_i32_e32 v45, 4, v46
	v_and_b32_e32 v52, 0x7070707, v46
	v_lshrrev_b32_e32 v46, 1, v46
	v_and_b32_e32 v54, 0x7070707, v45
	v_and_b32_e32 v46, 0x4040404, v46
	v_lshrrev_b32_e32 v45, 1, v45
	v_perm_b32 v53, s27, v38, v52
	v_perm_b32 v52, s28, v39, v52
	v_or_b32_e32 v46, 0x3020100, v46
	v_and_b32_e32 v45, 0x4040404, v45
	v_perm_b32 v55, s27, v38, v54
	v_perm_b32 v54, s28, v39, v54
	;; [unrolled: 1-line block ×3, first 2 shown]
	v_or_b32_e32 v45, 0x3020100, v45
	v_mov_b32_e32 v52, v17
	v_perm_b32 v45, v54, v55, v45
	v_dot4c_i32_i8_e32 v52, v46, v5
	v_dot4c_i32_i8_e32 v52, v45, v1
	v_ashrrev_i32_e32 v45, 4, v47
	v_and_b32_e32 v46, 0x7070707, v47
	v_lshrrev_b32_e32 v47, 1, v47
	v_and_b32_e32 v54, 0x7070707, v45
	v_and_b32_e32 v47, 0x4040404, v47
	v_lshrrev_b32_e32 v45, 1, v45
	v_perm_b32 v53, s27, v38, v46
	v_perm_b32 v46, s28, v39, v46
	v_or_b32_e32 v47, 0x3020100, v47
	v_and_b32_e32 v45, 0x4040404, v45
	v_perm_b32 v55, s27, v38, v54
	v_perm_b32 v54, s28, v39, v54
	v_perm_b32 v46, v46, v53, v47
	v_or_b32_e32 v45, 0x3020100, v45
	v_perm_b32 v45, v54, v55, v45
	v_dot4c_i32_i8_e32 v52, v46, v6
	v_dot4c_i32_i8_e32 v52, v45, v2
	v_ashrrev_i32_e32 v45, 4, v48
	v_and_b32_e32 v46, 0x7070707, v48
	v_lshrrev_b32_e32 v48, 1, v48
	v_and_b32_e32 v53, 0x7070707, v45
	v_and_b32_e32 v48, 0x4040404, v48
	v_lshrrev_b32_e32 v45, 1, v45
	v_perm_b32 v47, s27, v38, v46
	v_perm_b32 v46, s28, v39, v46
	v_or_b32_e32 v48, 0x3020100, v48
	v_and_b32_e32 v45, 0x4040404, v45
	v_perm_b32 v54, s27, v38, v53
	v_perm_b32 v53, s28, v39, v53
	v_perm_b32 v46, v46, v47, v48
	v_or_b32_e32 v45, 0x3020100, v45
	;; [unrolled: 17-line block ×3, first 2 shown]
	v_perm_b32 v45, v48, v53, v45
	v_dot4c_i32_i8_e32 v52, v46, v0
	v_lshl_add_u64 v[46:47], v[50:51], 0, v[18:19]
	v_dot4c_i32_i8_e32 v52, v45, v40
	global_load_ubyte v45, v[46:47], off offset:4
	s_waitcnt vmcnt(0)
	v_bfe_u32 v45, v45, v36, 4
	global_load_dword v46, v[50:51], off
	s_waitcnt vmcnt(0)
	v_lshrrev_b32_sdwa v47, v37, v46 dst_sel:DWORD dst_unused:UNUSED_PAD src0_sel:DWORD src1_sel:WORD_1
	v_lshlrev_b32_e32 v47, 4, v47
	v_and_or_b32 v45, v47, 48, v45
	v_subrev_u32_e32 v45, 32, v45
	v_mul_lo_u32 v45, v52, v45
	v_cvt_f32_f16_e32 v46, v46
	v_cvt_f32_i32_e32 v45, v45
	v_mul_f32_e32 v46, v4, v46
	v_fmac_f32_e32 v33, v46, v45
	s_branch .LBB241_17
.LBB241_22:
	s_or_b64 exec, exec, s[12:13]
	ds_write2_b32 v29, v35, v32 offset1:1
	ds_write2_b32 v28, v34, v33 offset1:1
.LBB241_23:
	s_or_b64 exec, exec, s[0:1]
	s_load_dword s15, s[2:3], 0x30
	v_cmp_eq_u32_e64 s[0:1], 0, v30
	v_cmp_ne_u32_e32 vcc, 0, v30
	s_and_saveexec_b64 s[12:13], vcc
	s_cbranch_execz .LBB241_28
; %bb.24:
	v_add_u32_e32 v0, -1, v30
	v_lshl_or_b32 v0, v0, 9, v24
	s_mov_b64 s[16:17], -1
	s_and_b64 vcc, exec, s[22:23]
	ds_write_b32 v0, v35
	s_cbranch_vccz .LBB241_26
; %bb.25:
	ds_write_b32 v0, v32 offset:256
	s_mov_b64 s[16:17], 0
.LBB241_26:
	s_andn2_b64 vcc, exec, s[16:17]
	s_cbranch_vccnz .LBB241_28
; %bb.27:
	ds_write_b32 v0, v32 offset:256
	ds_write2st64_b32 v0, v34, v33 offset0:2 offset1:3
.LBB241_28:
	s_or_b64 exec, exec, s[12:13]
	s_waitcnt lgkmcnt(0)
	s_barrier
	s_and_saveexec_b64 s[12:13], s[0:1]
	s_cbranch_execz .LBB241_61
; %bb.29:
	ds_read_b32 v1, v24
	ds_read_b32 v2, v29
	s_and_b64 vcc, exec, s[10:11]
	s_cbranch_vccnz .LBB241_31
; %bb.30:
	ds_read_b32 v0, v24 offset:512
	ds_read_b32 v3, v28
	s_waitcnt lgkmcnt(0)
	v_add_f32_e32 v0, v0, v3
	ds_write_b32 v28, v0
.LBB241_31:
	v_mbcnt_lo_u32_b32 v0, -1, 0
	v_mbcnt_hi_u32_b32 v5, -1, v0
	v_and_b32_e32 v0, 64, v5
	v_add_u32_e32 v6, 64, v0
	v_xor_b32_e32 v0, 32, v5
	v_cmp_lt_i32_e32 vcc, v0, v6
	s_waitcnt lgkmcnt(0)
	v_add_f32_e32 v2, v1, v2
	v_xor_b32_e32 v1, 16, v5
	v_cndmask_b32_e32 v0, v5, v0, vcc
	v_lshlrev_b32_e32 v0, 2, v0
	ds_bpermute_b32 v3, v0, v2
	v_cmp_lt_i32_e32 vcc, v1, v6
	v_xor_b32_e32 v9, 1, v5
	s_waitcnt lgkmcnt(0)
	v_add_f32_e32 v3, v2, v3
	v_cndmask_b32_e32 v1, v5, v1, vcc
	v_lshlrev_b32_e32 v1, 2, v1
	ds_bpermute_b32 v4, v1, v3
	v_xor_b32_e32 v2, 8, v5
	v_cmp_lt_i32_e32 vcc, v2, v6
	s_waitcnt lgkmcnt(0)
	v_add_f32_e32 v4, v3, v4
	v_cndmask_b32_e32 v2, v5, v2, vcc
	v_lshlrev_b32_e32 v2, 2, v2
	ds_bpermute_b32 v7, v2, v4
	v_xor_b32_e32 v3, 4, v5
	v_cmp_lt_i32_e32 vcc, v3, v6
	;; [unrolled: 7-line block ×3, first 2 shown]
	s_waitcnt lgkmcnt(0)
	v_add_f32_e32 v7, v7, v8
	v_cndmask_b32_e32 v4, v5, v4, vcc
	v_lshlrev_b32_e32 v4, 2, v4
	ds_bpermute_b32 v8, v4, v7
	v_cmp_lt_i32_e32 vcc, v9, v6
	s_waitcnt lgkmcnt(0)
	v_add_f32_e32 v6, v7, v8
	v_cndmask_b32_e32 v5, v5, v9, vcc
	v_lshlrev_b32_e32 v5, 2, v5
	ds_bpermute_b32 v7, v5, v6
	s_and_b64 vcc, exec, s[10:11]
	s_waitcnt lgkmcnt(0)
	v_add_f32_e32 v6, v6, v7
	ds_write_b32 v29, v6
	s_cbranch_vccnz .LBB241_33
; %bb.32:
	ds_read_b32 v6, v28
	s_waitcnt lgkmcnt(0)
	ds_bpermute_b32 v7, v0, v6
	s_waitcnt lgkmcnt(0)
	v_add_f32_e32 v6, v6, v7
	ds_bpermute_b32 v7, v1, v6
	s_waitcnt lgkmcnt(0)
	v_add_f32_e32 v6, v6, v7
	ds_bpermute_b32 v7, v2, v6
	s_waitcnt lgkmcnt(0)
	v_add_f32_e32 v6, v6, v7
	ds_bpermute_b32 v7, v3, v6
	s_waitcnt lgkmcnt(0)
	v_add_f32_e32 v6, v6, v7
	ds_bpermute_b32 v7, v4, v6
	s_waitcnt lgkmcnt(0)
	v_add_f32_e32 v6, v6, v7
	ds_bpermute_b32 v7, v5, v6
	s_waitcnt lgkmcnt(0)
	v_add_f32_e32 v6, v6, v7
	ds_write_b32 v28, v6
.LBB241_33:
	ds_read_b32 v6, v24 offset:256
	ds_read_b32 v7, v29 offset:4
	s_and_b64 vcc, exec, s[10:11]
	s_cbranch_vccnz .LBB241_35
; %bb.34:
	ds_read_b32 v8, v24 offset:768
	ds_read_b32 v9, v28 offset:4
	s_waitcnt lgkmcnt(0)
	v_add_f32_e32 v8, v8, v9
	ds_write_b32 v28, v8 offset:4
.LBB241_35:
	s_waitcnt lgkmcnt(0)
	v_add_f32_e32 v6, v6, v7
	ds_bpermute_b32 v7, v0, v6
	s_and_b64 vcc, exec, s[10:11]
	s_waitcnt lgkmcnt(0)
	v_add_f32_e32 v6, v6, v7
	ds_bpermute_b32 v7, v1, v6
	s_waitcnt lgkmcnt(0)
	v_add_f32_e32 v6, v6, v7
	ds_bpermute_b32 v7, v2, v6
	s_waitcnt lgkmcnt(0)
	v_add_f32_e32 v6, v6, v7
	ds_bpermute_b32 v7, v3, v6
	s_waitcnt lgkmcnt(0)
	v_add_f32_e32 v6, v6, v7
	ds_bpermute_b32 v7, v4, v6
	s_waitcnt lgkmcnt(0)
	v_add_f32_e32 v6, v6, v7
	ds_bpermute_b32 v7, v5, v6
	s_waitcnt lgkmcnt(0)
	v_add_f32_e32 v6, v6, v7
	ds_write_b32 v29, v6 offset:4
	s_cbranch_vccnz .LBB241_37
; %bb.36:
	ds_read_b32 v6, v28 offset:4
	s_waitcnt lgkmcnt(0)
	ds_bpermute_b32 v0, v0, v6
	s_waitcnt lgkmcnt(0)
	v_add_f32_e32 v0, v6, v0
	ds_bpermute_b32 v1, v1, v0
	s_waitcnt lgkmcnt(0)
	v_add_f32_e32 v0, v0, v1
	;; [unrolled: 3-line block ×6, first 2 shown]
	ds_write_b32 v28, v0 offset:4
.LBB241_37:
	v_add_u32_e32 v0, s20, v25
	v_cmp_gt_u32_e32 vcc, 2, v25
	v_cmp_gt_u32_e64 s[0:1], s7, v0
	s_and_b64 s[0:1], vcc, s[0:1]
	s_and_b64 exec, exec, s[0:1]
	s_cbranch_execz .LBB241_61
; %bb.38:
	v_lshl_add_u32 v0, v25, 2, v29
	ds_read_b32 v0, v0
	s_and_b64 vcc, exec, s[10:11]
	s_waitcnt vmcnt(0) lgkmcnt(0)
	v_add_f32_e32 v1, v27, v0
	v_cndmask_b32_e64 v0, v1, v0, s[8:9]
	s_cbranch_vccnz .LBB241_60
; %bb.39:
	v_lshl_add_u32 v1, v25, 2, v28
	ds_read_b32 v1, v1
	s_cmp_lt_i32 s15, 2
	s_mov_b64 s[0:1], 0
	s_waitcnt lgkmcnt(0)
	v_add_f32_e32 v2, v26, v1
	v_cndmask_b32_e64 v1, v1, v2, s[4:5]
	s_cbranch_scc1 .LBB241_43
; %bb.40:
	s_cmp_gt_i32 s15, 2
	s_cbranch_scc0 .LBB241_44
; %bb.41:
	s_cmp_eq_u32 s15, 3
	s_cbranch_scc0 .LBB241_45
; %bb.42:
	v_max_f32_e32 v2, v1, v1
	v_min_f32_e32 v4, 0x40e00000, v2
	v_mul_f32_e32 v3, 0xbfd9db23, v4
	s_mov_b32 s4, 0x3fb8aa3b
	v_mul_f32_e32 v2, 0x3fb8aa3b, v3
	v_fma_f32 v5, v3, s4, -v2
	v_rndne_f32_e32 v6, v2
	v_fmamk_f32 v5, v3, 0x32a5705f, v5
	v_sub_f32_e32 v2, v2, v6
	v_add_f32_e32 v2, v2, v5
	v_exp_f32_e32 v5, v2
	v_cvt_i32_f32_e32 v6, v6
	s_mov_b32 s4, 0xc2ce8ed0
	v_max_f32_e32 v2, v0, v0
	v_cmp_ngt_f32_e32 vcc, s4, v3
	v_ldexp_f32 v5, v5, v6
	s_mov_b32 s4, 0x42b17218
	v_min_f32_e32 v2, 0x40e00000, v2
	v_cndmask_b32_e32 v5, 0, v5, vcc
	v_mov_b32_e32 v6, 0x7f800000
	v_cmp_nlt_f32_e32 vcc, s4, v3
	v_max_f32_e32 v2, 0xc0e00000, v2
	s_nop 0
	v_cndmask_b32_e32 v3, v6, v5, vcc
	v_pk_add_f32 v[2:3], v[2:3], 1.0 op_sel_hi:[1,0]
	s_nop 0
	v_div_scale_f32 v5, s[4:5], v3, v3, v4
	v_rcp_f32_e32 v6, v5
	s_mov_b64 s[4:5], 0
	v_fma_f32 v7, -v5, v6, 1.0
	v_fmac_f32_e32 v6, v7, v6
	v_div_scale_f32 v7, vcc, v4, v3, v4
	v_mul_f32_e32 v8, v7, v6
	v_fma_f32 v9, -v5, v8, v7
	v_fmac_f32_e32 v8, v9, v6
	v_fma_f32 v5, -v5, v8, v7
	v_div_fmas_f32 v5, v5, v6, v8
	v_div_fixup_f32 v3, v5, v3, v4
	v_mul_f32_e32 v2, v2, v3
	s_branch .LBB241_46
.LBB241_43:
                                        ; implicit-def: $vgpr2
	s_mov_b64 s[4:5], 0
	s_cbranch_execnz .LBB241_50
	s_branch .LBB241_51
.LBB241_44:
	s_mov_b64 s[8:9], -1
	s_mov_b64 s[4:5], 0
                                        ; implicit-def: $vgpr2
	s_branch .LBB241_47
.LBB241_45:
	s_mov_b64 s[4:5], -1
                                        ; implicit-def: $vgpr2
.LBB241_46:
	s_mov_b64 s[8:9], 0
.LBB241_47:
	s_and_b64 vcc, exec, s[8:9]
	s_cbranch_vccz .LBB241_49
; %bb.48:
	v_mul_f32_e32 v2, 0xbfb8aa3b, v1
	s_mov_b32 s7, 0xbfb8aa3b
	v_rndne_f32_e32 v3, v2
	v_sub_f32_e32 v4, v2, v3
	v_fma_f32 v2, v1, s7, -v2
	v_fmamk_f32 v2, v1, 0xb2a5705f, v2
	v_add_f32_e32 v2, v4, v2
	v_exp_f32_e32 v2, v2
	v_cvt_i32_f32_e32 v3, v3
	s_mov_b32 s7, 0x42ce8ed0
	v_cmp_nlt_f32_e32 vcc, s7, v1
	s_mov_b32 s7, 0xc2b17218
	v_ldexp_f32 v2, v2, v3
	v_cndmask_b32_e32 v2, 0, v2, vcc
	v_mov_b32_e32 v3, 0x7f800000
	v_cmp_ngt_f32_e32 vcc, s7, v1
	s_nop 1
	v_cndmask_b32_e32 v2, v3, v2, vcc
	v_add_f32_e32 v2, 1.0, v2
	v_div_scale_f32 v3, s[8:9], v2, v2, v1
	v_rcp_f32_e32 v4, v3
	s_nop 0
	v_fma_f32 v5, -v3, v4, 1.0
	v_fmac_f32_e32 v4, v5, v4
	v_div_scale_f32 v5, vcc, v1, v2, v1
	v_mul_f32_e32 v6, v5, v4
	v_fma_f32 v7, -v3, v6, v5
	v_fmac_f32_e32 v6, v7, v4
	v_fma_f32 v3, -v3, v6, v5
	v_div_fmas_f32 v3, v3, v4, v6
	v_div_fixup_f32 v2, v3, v2, v1
	v_mul_f32_e32 v2, v0, v2
.LBB241_49:
	s_branch .LBB241_51
.LBB241_50:
	s_cmp_lg_u32 s15, 1
	s_mov_b64 s[0:1], -1
	s_cselect_b64 s[4:5], -1, 0
                                        ; implicit-def: $vgpr2
.LBB241_51:
	s_andn2_b64 vcc, exec, s[4:5]
	s_cbranch_vccz .LBB241_53
; %bb.52:
	s_andn2_b64 vcc, exec, s[0:1]
	s_cbranch_vccz .LBB241_54
	s_branch .LBB241_59
.LBB241_53:
	v_mul_f32_e32 v2, v0, v1
	s_cbranch_execnz .LBB241_59
.LBB241_54:
	v_mul_f32_e32 v3, 0x3d372713, v1
	v_mul_f32_e32 v2, 0x3f4c422a, v1
	v_fma_f32 v3, v1, v3, 1.0
	v_mul_f32_e32 v2, v2, v3
	s_mov_b32 s0, 0x3f200000
	v_cmp_nlt_f32_e64 s[0:1], |v2|, s0
                                        ; implicit-def: $vgpr3
	s_and_saveexec_b64 s[4:5], s[0:1]
	s_xor_b64 s[0:1], exec, s[4:5]
	s_cbranch_execz .LBB241_56
; %bb.55:
	v_add_f32_e64 v3, |v2|, |v2|
	v_mul_f32_e32 v4, 0x3fb8aa3b, v3
	s_mov_b32 s4, 0x3fb8aa3b
	v_rndne_f32_e32 v5, v4
	v_sub_f32_e32 v6, v4, v5
	v_fma_f32 v4, v3, s4, -v4
	v_fmamk_f32 v4, v3, 0x32a5705f, v4
	v_add_f32_e32 v4, v6, v4
	v_exp_f32_e32 v4, v4
	v_cvt_i32_f32_e32 v5, v5
	s_mov_b32 s4, 0xc2ce8ed0
	v_cmp_ngt_f32_e32 vcc, s4, v3
	s_mov_b32 s4, 0x42b17218
	v_ldexp_f32 v4, v4, v5
	v_cndmask_b32_e32 v4, 0, v4, vcc
	v_mov_b32_e32 v5, 0x7f800000
	v_cmp_nlt_f32_e32 vcc, s4, v3
	s_nop 1
	v_cndmask_b32_e32 v3, v5, v4, vcc
	v_add_f32_e32 v3, 1.0, v3
	v_rcp_f32_e32 v3, v3
	s_nop 0
	v_fma_f32 v3, v3, -2.0, 1.0
.LBB241_56:
	s_andn2_saveexec_b64 s[0:1], s[0:1]
; %bb.57:
	v_mul_f32_e32 v3, v2, v2
	v_mov_b32_e32 v4, 0x3ca908c9
	v_fmac_f32_e32 v4, 0xbbbac73d, v3
	v_fmaak_f32 v4, v3, v4, 0xbd5c1c4e
	v_fmaak_f32 v4, v3, v4, 0x3e088382
	;; [unrolled: 1-line block ×3, first 2 shown]
	v_mul_f32_e64 v4, |v2|, v4
	v_fma_f32 v3, v3, v4, |v2|
; %bb.58:
	s_or_b64 exec, exec, s[0:1]
	s_brev_b32 s0, -2
	v_bfi_b32 v2, s0, v3, v2
	v_mul_f32_e32 v1, 0.5, v1
	v_add_f32_e32 v2, 1.0, v2
	v_mul_f32_e32 v1, v1, v2
	v_mul_f32_e32 v2, v0, v1
.LBB241_59:
	v_mov_b32_e32 v0, v2
.LBB241_60:
	s_load_dwordx2 s[0:1], s[2:3], 0x38
	s_mul_i32 s4, s14, s26
	s_mul_i32 s6, s6, s30
	s_add_i32 s2, s4, s20
	s_add_i32 s2, s2, s6
	s_mov_b32 s3, 0
	s_lshl_b64 s[2:3], s[2:3], 2
	s_waitcnt lgkmcnt(0)
	s_add_u32 s0, s0, s2
	s_addc_u32 s1, s1, s3
	global_store_dword v24, v0, s[0:1]
.LBB241_61:
	s_endpgm
	.section	.rodata,"a",@progbits
	.p2align	6, 0x0
	.amdhsa_kernel _ZL13mul_mat_vec_qIL9ggml_type23ELi1ELb1ELb1EEvPKvS2_PKi31ggml_cuda_mm_fusion_args_devicePfj15HIP_vector_typeIjLj3EEjjjS8_jjjS8_jjjj
		.amdhsa_group_segment_fixed_size 3072
		.amdhsa_private_segment_fixed_size 0
		.amdhsa_kernarg_size 144
		.amdhsa_user_sgpr_count 4
		.amdhsa_user_sgpr_dispatch_ptr 1
		.amdhsa_user_sgpr_queue_ptr 0
		.amdhsa_user_sgpr_kernarg_segment_ptr 1
		.amdhsa_user_sgpr_dispatch_id 0
		.amdhsa_user_sgpr_kernarg_preload_length 0
		.amdhsa_user_sgpr_kernarg_preload_offset 0
		.amdhsa_user_sgpr_private_segment_size 0
		.amdhsa_uses_dynamic_stack 0
		.amdhsa_enable_private_segment 0
		.amdhsa_system_sgpr_workgroup_id_x 1
		.amdhsa_system_sgpr_workgroup_id_y 1
		.amdhsa_system_sgpr_workgroup_id_z 1
		.amdhsa_system_sgpr_workgroup_info 0
		.amdhsa_system_vgpr_workitem_id 2
		.amdhsa_next_free_vgpr 56
		.amdhsa_next_free_sgpr 46
		.amdhsa_accum_offset 56
		.amdhsa_reserve_vcc 1
		.amdhsa_float_round_mode_32 0
		.amdhsa_float_round_mode_16_64 0
		.amdhsa_float_denorm_mode_32 3
		.amdhsa_float_denorm_mode_16_64 3
		.amdhsa_dx10_clamp 1
		.amdhsa_ieee_mode 1
		.amdhsa_fp16_overflow 0
		.amdhsa_tg_split 0
		.amdhsa_exception_fp_ieee_invalid_op 0
		.amdhsa_exception_fp_denorm_src 0
		.amdhsa_exception_fp_ieee_div_zero 0
		.amdhsa_exception_fp_ieee_overflow 0
		.amdhsa_exception_fp_ieee_underflow 0
		.amdhsa_exception_fp_ieee_inexact 0
		.amdhsa_exception_int_div_zero 0
	.end_amdhsa_kernel
	.section	.text._ZL13mul_mat_vec_qIL9ggml_type23ELi1ELb1ELb1EEvPKvS2_PKi31ggml_cuda_mm_fusion_args_devicePfj15HIP_vector_typeIjLj3EEjjjS8_jjjS8_jjjj,"axG",@progbits,_ZL13mul_mat_vec_qIL9ggml_type23ELi1ELb1ELb1EEvPKvS2_PKi31ggml_cuda_mm_fusion_args_devicePfj15HIP_vector_typeIjLj3EEjjjS8_jjjS8_jjjj,comdat
.Lfunc_end241:
	.size	_ZL13mul_mat_vec_qIL9ggml_type23ELi1ELb1ELb1EEvPKvS2_PKi31ggml_cuda_mm_fusion_args_devicePfj15HIP_vector_typeIjLj3EEjjjS8_jjjS8_jjjj, .Lfunc_end241-_ZL13mul_mat_vec_qIL9ggml_type23ELi1ELb1ELb1EEvPKvS2_PKi31ggml_cuda_mm_fusion_args_devicePfj15HIP_vector_typeIjLj3EEjjjS8_jjjS8_jjjj
                                        ; -- End function
	.section	.AMDGPU.csdata,"",@progbits
; Kernel info:
; codeLenInByte = 5156
; NumSgprs: 52
; NumVgprs: 56
; NumAgprs: 0
; TotalNumVgprs: 56
; ScratchSize: 0
; MemoryBound: 0
; FloatMode: 240
; IeeeMode: 1
; LDSByteSize: 3072 bytes/workgroup (compile time only)
; SGPRBlocks: 6
; VGPRBlocks: 6
; NumSGPRsForWavesPerEU: 52
; NumVGPRsForWavesPerEU: 56
; AccumOffset: 56
; Occupancy: 8
; WaveLimiterHint : 0
; COMPUTE_PGM_RSRC2:SCRATCH_EN: 0
; COMPUTE_PGM_RSRC2:USER_SGPR: 4
; COMPUTE_PGM_RSRC2:TRAP_HANDLER: 0
; COMPUTE_PGM_RSRC2:TGID_X_EN: 1
; COMPUTE_PGM_RSRC2:TGID_Y_EN: 1
; COMPUTE_PGM_RSRC2:TGID_Z_EN: 1
; COMPUTE_PGM_RSRC2:TIDIG_COMP_CNT: 2
; COMPUTE_PGM_RSRC3_GFX90A:ACCUM_OFFSET: 13
; COMPUTE_PGM_RSRC3_GFX90A:TG_SPLIT: 0
	.section	.text._ZL13mul_mat_vec_qIL9ggml_type23ELi1ELb0ELb1EEvPKvS2_PKi31ggml_cuda_mm_fusion_args_devicePfj15HIP_vector_typeIjLj3EEjjjS8_jjjS8_jjjj,"axG",@progbits,_ZL13mul_mat_vec_qIL9ggml_type23ELi1ELb0ELb1EEvPKvS2_PKi31ggml_cuda_mm_fusion_args_devicePfj15HIP_vector_typeIjLj3EEjjjS8_jjjS8_jjjj,comdat
	.globl	_ZL13mul_mat_vec_qIL9ggml_type23ELi1ELb0ELb1EEvPKvS2_PKi31ggml_cuda_mm_fusion_args_devicePfj15HIP_vector_typeIjLj3EEjjjS8_jjjS8_jjjj ; -- Begin function _ZL13mul_mat_vec_qIL9ggml_type23ELi1ELb0ELb1EEvPKvS2_PKi31ggml_cuda_mm_fusion_args_devicePfj15HIP_vector_typeIjLj3EEjjjS8_jjjS8_jjjj
	.p2align	8
	.type	_ZL13mul_mat_vec_qIL9ggml_type23ELi1ELb0ELb1EEvPKvS2_PKi31ggml_cuda_mm_fusion_args_devicePfj15HIP_vector_typeIjLj3EEjjjS8_jjjS8_jjjj,@function
_ZL13mul_mat_vec_qIL9ggml_type23ELi1ELb0ELb1EEvPKvS2_PKi31ggml_cuda_mm_fusion_args_devicePfj15HIP_vector_typeIjLj3EEjjjS8_jjjS8_jjjj: ; @_ZL13mul_mat_vec_qIL9ggml_type23ELi1ELb0ELb1EEvPKvS2_PKi31ggml_cuda_mm_fusion_args_devicePfj15HIP_vector_typeIjLj3EEjjjS8_jjjS8_jjjj
; %bb.0:
	s_load_dwordx2 s[8:9], s[2:3], 0x10
	s_load_dwordx4 s[16:19], s[2:3], 0x40
	s_mov_b32 s20, s5
	s_mov_b64 s[14:15], 0
	s_waitcnt lgkmcnt(0)
	s_cmp_lg_u64 s[8:9], 0
	s_cselect_b64 s[12:13], -1, 0
	s_cmp_eq_u64 s[8:9], 0
	s_cbranch_scc1 .LBB242_5
; %bb.1:
	s_mov_b32 s21, 0
	s_lshl_b64 s[10:11], s[20:21], 2
	s_add_u32 s8, s8, s10
	s_addc_u32 s9, s9, s11
	s_load_dword s21, s[8:9], 0x0
	s_nop 0
	s_load_dwordx4 s[8:11], s[2:3], 0x68
	s_load_dword s5, s[2:3], 0x50
	s_andn2_b64 vcc, exec, s[14:15]
	s_cbranch_vccnz .LBB242_3
.LBB242_2:
	s_load_dwordx2 s[14:15], s[2:3], 0x5c
	s_waitcnt lgkmcnt(0)
	s_mul_hi_u32 s7, s14, s20
	s_add_i32 s7, s20, s7
	s_lshr_b32 s21, s7, s15
.LBB242_3:
	s_load_dword s22, s[2:3], 0x78
	s_andn2_b64 vcc, exec, s[12:13]
	s_cbranch_vccnz .LBB242_6
; %bb.4:
	s_mul_hi_u32 s7, s17, s20
	s_add_i32 s7, s20, s7
	s_lshr_b32 s7, s7, s18
	s_mul_i32 s7, s7, s19
	s_sub_i32 s17, s20, s7
	s_branch .LBB242_7
.LBB242_5:
                                        ; implicit-def: $sgpr21
	s_load_dwordx4 s[8:11], s[2:3], 0x68
	s_load_dword s5, s[2:3], 0x50
	s_branch .LBB242_2
.LBB242_6:
	s_mov_b32 s17, s20
.LBB242_7:
	s_load_dwordx2 s[18:19], s[0:1], 0x4
	s_load_dwordx4 s[12:15], s[2:3], 0x80
	v_bfe_u32 v19, v0, 10, 10
	v_and_b32_e32 v18, 0x3ff, v0
	v_bfe_u32 v0, v0, 20, 10
	s_waitcnt lgkmcnt(0)
	s_lshr_b32 s0, s18, 16
	v_mul_u32_u24_e32 v1, s19, v19
	s_mul_i32 s0, s0, s19
	v_mad_u32_u24 v1, s0, v18, v1
	v_add_lshl_u32 v1, v1, v0, 3
	v_lshl_add_u32 v0, v19, 6, v18
	s_lshr_b32 s15, s16, 8
	v_lshrrev_b32_e32 v20, 3, v0
	v_add_u32_e32 v16, 0x200, v1
	s_lshl_b32 s7, s4, 1
	v_mov_b32_e32 v22, 0
	v_cmp_gt_u32_e32 vcc, s15, v20
	v_lshlrev_b32_e32 v17, 2, v18
	v_mov_b32_e32 v24, 0
	ds_write2_b32 v1, v22, v22 offset0:128 offset1:129
	s_and_saveexec_b64 s[0:1], vcc
	s_cbranch_execz .LBB242_11
; %bb.8:
	s_mul_i32 s4, s17, s9
	s_mul_hi_u32 s9, s11, s6
	s_add_i32 s9, s6, s9
	s_lshr_b32 s9, s9, s22
	s_mul_i32 s8, s21, s8
	s_mul_i32 s9, s9, s12
	s_add_i32 s12, s9, s8
	s_add_i32 s8, s7, 1
	s_mul_i32 s11, s7, s5
	s_mul_i32 s5, s5, s8
	s_load_dwordx4 s[24:27], s[2:3], 0x0
	s_add_i32 s11, s12, s11
	s_add_i32 s12, s12, s5
	s_mul_hi_u32 s5, s4, 36
	s_mul_i32 s4, s4, 36
	v_lshrrev_b32_e32 v4, 3, v0
	v_mov_b32_e32 v0, s4
	v_mov_b32_e32 v1, s5
	s_movk_i32 s4, 0x120
	s_mul_i32 s13, s6, s13
	v_mad_u64_u32 v[0:1], s[4:5], v4, s4, v[0:1]
	v_and_b32_e32 v3, 7, v18
	v_mad_u64_u32 v[0:1], s[4:5], s13, 36, v[0:1]
	v_mad_u64_u32 v[0:1], s[4:5], v3, 36, v[0:1]
	v_and_b32_e32 v2, 28, v17
	v_mov_b32_e32 v9, 0
	s_waitcnt lgkmcnt(0)
	v_lshl_add_u64 v[0:1], v[0:1], 0, s[26:27]
	v_bfe_u32 v8, v17, 3, 2
	v_and_b32_e32 v21, 4, v17
	v_lshrrev_b32_e32 v23, 1, v2
	v_lshl_add_u64 v[10:11], v[0:1], 0, 16
	s_mov_b64 s[4:5], 0
	s_movk_i32 s13, 0x88
	v_mov_b64_e32 v[12:13], s[24:25]
	v_lshlrev_b32_e32 v14, 2, v2
	v_mov_b32_e32 v15, v9
	s_mov_b32 s16, 0xf6eaddcf
	v_mov_b32_e32 v25, 0xbfad9881
	s_mov_b32 s17, 0x71594535
	v_mov_b32_e32 v26, 0x26190d01
	s_mov_b64 s[8:9], 0x1200
	v_mov_b32_e32 v22, v9
	v_mov_b32_e32 v24, v9
.LBB242_9:                              ; =>This Inner Loop Header: Depth=1
	v_add_u32_e32 v28, s11, v20
	v_add_u32_e32 v29, s12, v20
	v_mad_i64_i32 v[36:37], s[18:19], v28, s13, v[12:13]
	v_mad_i64_i32 v[38:39], s[18:19], v29, s13, v[12:13]
	v_lshl_add_u64 v[40:41], v[36:37], 0, v[14:15]
	global_load_dword v27, v[10:11], off offset:16
	global_load_dwordx4 v[0:3], v[10:11], off
	global_load_dwordx4 v[4:7], v[10:11], off offset:-16
	v_lshl_add_u64 v[42:43], v[36:37], 0, v[8:9]
	v_lshl_add_u64 v[44:45], v[38:39], 0, v[14:15]
	;; [unrolled: 1-line block ×3, first 2 shown]
	global_load_dwordx4 v[28:31], v[40:41], off offset:8
	global_load_ubyte v50, v[42:43], off offset:4
	global_load_dword v51, v[38:39], off
	global_load_dword v52, v[36:37], off
	global_load_dwordx4 v[32:35], v[44:45], off offset:8
	global_load_ubyte v53, v[46:47], off offset:4
	v_mov_b32_e32 v48, 0
	v_mov_b32_e32 v49, 0
	v_add_u32_e32 v20, 16, v20
	v_cmp_le_u32_e32 vcc, s15, v20
	v_lshl_add_u64 v[10:11], v[10:11], 0, s[8:9]
	s_or_b64 s[4:5], vcc, s[4:5]
	s_waitcnt vmcnt(5)
	v_ashrrev_i32_e32 v36, 4, v28
	v_and_b32_e32 v37, 0x7070707, v28
	v_lshrrev_b32_e32 v28, 1, v28
	v_ashrrev_i32_e32 v38, 4, v29
	v_and_b32_e32 v39, 0x7070707, v29
	v_lshrrev_b32_e32 v29, 1, v29
	;; [unrolled: 3-line block ×3, first 2 shown]
	v_and_b32_e32 v28, 0x4040404, v28
	v_ashrrev_i32_e32 v42, 4, v31
	v_and_b32_e32 v43, 0x7070707, v31
	v_lshrrev_b32_e32 v31, 1, v31
	s_waitcnt vmcnt(4)
	v_bfe_u32 v44, v50, v21, 4
	s_waitcnt vmcnt(1)
	v_ashrrev_i32_e32 v47, 4, v32
	v_and_b32_e32 v50, 0x7070707, v32
	v_lshrrev_b32_e32 v32, 1, v32
	v_perm_b32 v60, s16, v25, v37
	v_perm_b32 v37, s17, v26, v37
	v_or_b32_e32 v28, 0x3020100, v28
	v_and_b32_e32 v29, 0x4040404, v29
	v_and_b32_e32 v30, 0x4040404, v30
	v_lshrrev_b32_sdwa v45, v23, v52 dst_sel:DWORD dst_unused:UNUSED_PAD src0_sel:DWORD src1_sel:WORD_1
	v_cvt_f32_f16_e32 v46, v52
	v_ashrrev_i32_e32 v52, 4, v33
	v_and_b32_e32 v54, 0x7070707, v33
	v_lshrrev_b32_e32 v33, 1, v33
	v_ashrrev_i32_e32 v55, 4, v34
	v_and_b32_e32 v56, 0x7070707, v34
	v_lshrrev_b32_e32 v34, 1, v34
	v_perm_b32 v62, s16, v25, v39
	v_perm_b32 v28, v37, v60, v28
	;; [unrolled: 1-line block ×4, first 2 shown]
	v_or_b32_e32 v29, 0x3020100, v29
	v_perm_b32 v41, s17, v26, v41
	v_or_b32_e32 v30, 0x3020100, v30
	v_and_b32_e32 v31, 0x4040404, v31
	v_and_b32_e32 v32, 0x4040404, v32
	v_ashrrev_i32_e32 v57, 4, v35
	v_and_b32_e32 v58, 0x7070707, v35
	v_lshrrev_b32_e32 v35, 1, v35
	v_and_b32_e32 v61, 0x7070707, v36
	v_lshrrev_b32_e32 v36, 1, v36
	v_perm_b32 v29, v39, v62, v29
	v_perm_b32 v62, s16, v25, v43
	;; [unrolled: 1-line block ×5, first 2 shown]
	v_or_b32_e32 v31, 0x3020100, v31
	v_perm_b32 v50, s17, v26, v50
	v_or_b32_e32 v32, 0x3020100, v32
	v_and_b32_e32 v33, 0x4040404, v33
	v_and_b32_e32 v34, 0x4040404, v34
	v_and_b32_e32 v37, 0x7070707, v38
	v_lshrrev_b32_e32 v38, 1, v38
	v_and_b32_e32 v39, 0x7070707, v40
	v_lshrrev_b32_e32 v40, 1, v40
	v_perm_b32 v31, v43, v62, v31
	v_and_b32_e32 v43, 0x7070707, v47
	v_lshrrev_b32_e32 v47, 1, v47
	v_perm_b32 v62, s16, v25, v54
	v_perm_b32 v32, v50, v60, v32
	;; [unrolled: 1-line block ×4, first 2 shown]
	v_or_b32_e32 v33, 0x3020100, v33
	v_perm_b32 v56, s17, v26, v56
	v_or_b32_e32 v34, 0x3020100, v34
	v_and_b32_e32 v35, 0x4040404, v35
	v_and_b32_e32 v36, 0x4040404, v36
	v_perm_b32 v33, v54, v62, v33
	v_perm_b32 v62, s16, v25, v58
	;; [unrolled: 1-line block ×6, first 2 shown]
	v_or_b32_e32 v35, 0x3020100, v35
	v_and_b32_e32 v38, 0x4040404, v38
	v_and_b32_e32 v40, 0x4040404, v40
	v_or_b32_e32 v36, 0x3020100, v36
	v_and_b32_e32 v47, 0x4040404, v47
	v_and_b32_e32 v50, 0x7070707, v52
	v_lshrrev_b32_e32 v52, 1, v52
	v_perm_b32 v35, v58, v62, v35
	v_perm_b32 v58, s16, v25, v37
	v_perm_b32 v37, s17, v26, v37
	v_perm_b32 v62, s16, v25, v39
	v_perm_b32 v39, s17, v26, v39
	v_perm_b32 v36, v61, v60, v36
	v_perm_b32 v60, s16, v25, v43
	v_perm_b32 v43, s17, v26, v43
	v_or_b32_e32 v38, 0x3020100, v38
	v_or_b32_e32 v40, 0x3020100, v40
	;; [unrolled: 1-line block ×3, first 2 shown]
	v_and_b32_e32 v52, 0x4040404, v52
	v_dot4c_i32_i8_e32 v48, v28, v5
	v_perm_b32 v37, v37, v58, v38
	v_perm_b32 v38, v39, v62, v40
	;; [unrolled: 1-line block ×3, first 2 shown]
	v_dot4c_i32_i8_e32 v49, v32, v5
	v_lshrrev_b32_sdwa v59, v23, v51 dst_sel:DWORD dst_unused:UNUSED_PAD src0_sel:DWORD src1_sel:WORD_1
	v_and_b32_e32 v54, 0x7070707, v55
	v_lshrrev_b32_e32 v55, 1, v55
	v_perm_b32 v61, s16, v25, v50
	v_perm_b32 v50, s17, v26, v50
	v_or_b32_e32 v52, 0x3020100, v52
	v_dot4c_i32_i8_e32 v48, v36, v1
	v_dot4c_i32_i8_e32 v49, v40, v1
	s_waitcnt vmcnt(0)
	v_bfe_u32 v53, v53, v21, 4
	v_lshlrev_b32_e32 v59, 4, v59
	v_and_b32_e32 v55, 0x4040404, v55
	v_perm_b32 v5, v50, v61, v52
	v_dot4c_i32_i8_e32 v48, v29, v6
	v_dot4c_i32_i8_e32 v49, v33, v6
	v_and_b32_e32 v41, 0x7070707, v42
	v_lshrrev_b32_e32 v42, 1, v42
	v_and_b32_e32 v56, 0x7070707, v57
	v_lshrrev_b32_e32 v57, 1, v57
	v_and_or_b32 v53, v59, 48, v53
	v_perm_b32 v59, s16, v25, v54
	v_perm_b32 v54, s17, v26, v54
	v_or_b32_e32 v55, 0x3020100, v55
	v_dot4c_i32_i8_e32 v48, v37, v2
	v_dot4c_i32_i8_e32 v49, v5, v2
	v_lshlrev_b32_e32 v45, 4, v45
	v_and_b32_e32 v42, 0x4040404, v42
	v_and_b32_e32 v57, 0x4040404, v57
	v_perm_b32 v32, v54, v59, v55
	v_dot4c_i32_i8_e32 v48, v30, v7
	v_dot4c_i32_i8_e32 v49, v34, v7
	v_and_or_b32 v44, v45, 48, v44
	v_perm_b32 v45, s16, v25, v41
	v_perm_b32 v41, s17, v26, v41
	;; [unrolled: 1-line block ×4, first 2 shown]
	v_or_b32_e32 v42, 0x3020100, v42
	v_or_b32_e32 v57, 0x3020100, v57
	v_dot4c_i32_i8_e32 v48, v38, v3
	v_dot4c_i32_i8_e32 v49, v32, v3
	v_perm_b32 v39, v41, v45, v42
	v_perm_b32 v28, v56, v28, v57
	v_dot4c_i32_i8_e32 v48, v31, v0
	v_dot4c_i32_i8_e32 v49, v35, v0
	v_subrev_u32_e32 v44, 32, v44
	v_subrev_u32_e32 v53, 32, v53
	v_dot4c_i32_i8_e32 v48, v39, v27
	v_dot4c_i32_i8_e32 v49, v28, v27
	v_cvt_f32_f16_e32 v4, v4
	v_cvt_f32_f16_e32 v51, v51
	v_mul_lo_u32 v0, v44, v48
	v_mul_lo_u32 v1, v53, v49
	v_cvt_f32_i32_e32 v0, v0
	v_cvt_f32_i32_e32 v1, v1
	v_mul_f32_e32 v2, v46, v4
	v_mul_f32_e32 v3, v51, v4
	v_fmac_f32_e32 v24, v2, v0
	v_fmac_f32_e32 v22, v3, v1
	s_andn2_b64 exec, exec, s[4:5]
	s_cbranch_execnz .LBB242_9
; %bb.10:
	s_or_b64 exec, exec, s[4:5]
	ds_write2_b32 v16, v24, v22 offset1:1
.LBB242_11:
	s_or_b64 exec, exec, s[0:1]
	v_cmp_eq_u32_e32 vcc, 0, v19
	v_cmp_ne_u32_e64 s[0:1], 0, v19
	s_and_saveexec_b64 s[4:5], s[0:1]
	s_cbranch_execz .LBB242_13
; %bb.12:
	v_lshl_or_b32 v0, v19, 9, v17
	v_add_u32_e32 v0, 0xfffffe00, v0
	ds_write2st64_b32 v0, v24, v22 offset1:1
.LBB242_13:
	s_or_b64 exec, exec, s[4:5]
	s_waitcnt lgkmcnt(0)
	s_barrier
	s_and_saveexec_b64 s[0:1], vcc
	s_cbranch_execz .LBB242_16
; %bb.14:
	v_mbcnt_lo_u32_b32 v0, -1, 0
	v_mbcnt_hi_u32_b32 v4, -1, v0
	v_and_b32_e32 v0, 64, v4
	v_add_u32_e32 v5, 64, v0
	ds_read2st64_b32 v[0:1], v17 offset1:1
	ds_read2_b32 v[2:3], v16 offset1:1
	v_xor_b32_e32 v6, 32, v4
	v_cmp_lt_i32_e32 vcc, v6, v5
	s_load_dword s0, s[2:3], 0x58
	s_mov_b32 s5, 0
	v_cndmask_b32_e32 v6, v4, v6, vcc
	v_lshlrev_b32_e32 v6, 2, v6
	s_waitcnt lgkmcnt(0)
	v_pk_add_f32 v[0:1], v[0:1], v[2:3]
	ds_bpermute_b32 v2, v6, v0
	ds_bpermute_b32 v3, v6, v1
	v_xor_b32_e32 v6, 16, v4
	v_cmp_lt_i32_e32 vcc, v6, v5
	s_waitcnt lgkmcnt(0)
	v_pk_add_f32 v[0:1], v[0:1], v[2:3]
	v_cndmask_b32_e32 v6, v4, v6, vcc
	v_lshlrev_b32_e32 v6, 2, v6
	ds_bpermute_b32 v2, v6, v0
	ds_bpermute_b32 v3, v6, v1
	v_xor_b32_e32 v6, 8, v4
	v_cmp_lt_i32_e32 vcc, v6, v5
	s_waitcnt lgkmcnt(0)
	v_pk_add_f32 v[0:1], v[0:1], v[2:3]
	v_cndmask_b32_e32 v6, v4, v6, vcc
	v_lshlrev_b32_e32 v6, 2, v6
	;; [unrolled: 8-line block ×5, first 2 shown]
	ds_bpermute_b32 v2, v4, v0
	ds_bpermute_b32 v3, v4, v1
	v_cmp_gt_u32_e32 vcc, 2, v18
	s_waitcnt lgkmcnt(0)
	v_pk_add_f32 v[0:1], v[0:1], v[2:3]
	ds_write2_b32 v16, v0, v1 offset1:1
	v_or_b32_e32 v0, s7, v18
	v_cmp_gt_u32_e64 s[0:1], s0, v0
	s_and_b64 s[0:1], vcc, s[0:1]
	s_and_b64 exec, exec, s[0:1]
	s_cbranch_execz .LBB242_16
; %bb.15:
	s_load_dwordx2 s[0:1], s[2:3], 0x38
	s_mul_i32 s2, s20, s10
	v_add_u32_e32 v0, v16, v17
	s_add_i32 s2, s2, s7
	s_mul_i32 s6, s6, s14
	ds_read_b32 v0, v0
	s_add_i32 s4, s2, s6
	s_lshl_b64 s[2:3], s[4:5], 2
	s_waitcnt lgkmcnt(0)
	s_add_u32 s0, s0, s2
	s_addc_u32 s1, s1, s3
	global_store_dword v17, v0, s[0:1]
.LBB242_16:
	s_endpgm
	.section	.rodata,"a",@progbits
	.p2align	6, 0x0
	.amdhsa_kernel _ZL13mul_mat_vec_qIL9ggml_type23ELi1ELb0ELb1EEvPKvS2_PKi31ggml_cuda_mm_fusion_args_devicePfj15HIP_vector_typeIjLj3EEjjjS8_jjjS8_jjjj
		.amdhsa_group_segment_fixed_size 1536
		.amdhsa_private_segment_fixed_size 0
		.amdhsa_kernarg_size 144
		.amdhsa_user_sgpr_count 4
		.amdhsa_user_sgpr_dispatch_ptr 1
		.amdhsa_user_sgpr_queue_ptr 0
		.amdhsa_user_sgpr_kernarg_segment_ptr 1
		.amdhsa_user_sgpr_dispatch_id 0
		.amdhsa_user_sgpr_kernarg_preload_length 0
		.amdhsa_user_sgpr_kernarg_preload_offset 0
		.amdhsa_user_sgpr_private_segment_size 0
		.amdhsa_uses_dynamic_stack 0
		.amdhsa_enable_private_segment 0
		.amdhsa_system_sgpr_workgroup_id_x 1
		.amdhsa_system_sgpr_workgroup_id_y 1
		.amdhsa_system_sgpr_workgroup_id_z 1
		.amdhsa_system_sgpr_workgroup_info 0
		.amdhsa_system_vgpr_workitem_id 2
		.amdhsa_next_free_vgpr 63
		.amdhsa_next_free_sgpr 28
		.amdhsa_accum_offset 64
		.amdhsa_reserve_vcc 1
		.amdhsa_float_round_mode_32 0
		.amdhsa_float_round_mode_16_64 0
		.amdhsa_float_denorm_mode_32 3
		.amdhsa_float_denorm_mode_16_64 3
		.amdhsa_dx10_clamp 1
		.amdhsa_ieee_mode 1
		.amdhsa_fp16_overflow 0
		.amdhsa_tg_split 0
		.amdhsa_exception_fp_ieee_invalid_op 0
		.amdhsa_exception_fp_denorm_src 0
		.amdhsa_exception_fp_ieee_div_zero 0
		.amdhsa_exception_fp_ieee_overflow 0
		.amdhsa_exception_fp_ieee_underflow 0
		.amdhsa_exception_fp_ieee_inexact 0
		.amdhsa_exception_int_div_zero 0
	.end_amdhsa_kernel
	.section	.text._ZL13mul_mat_vec_qIL9ggml_type23ELi1ELb0ELb1EEvPKvS2_PKi31ggml_cuda_mm_fusion_args_devicePfj15HIP_vector_typeIjLj3EEjjjS8_jjjS8_jjjj,"axG",@progbits,_ZL13mul_mat_vec_qIL9ggml_type23ELi1ELb0ELb1EEvPKvS2_PKi31ggml_cuda_mm_fusion_args_devicePfj15HIP_vector_typeIjLj3EEjjjS8_jjjS8_jjjj,comdat
.Lfunc_end242:
	.size	_ZL13mul_mat_vec_qIL9ggml_type23ELi1ELb0ELb1EEvPKvS2_PKi31ggml_cuda_mm_fusion_args_devicePfj15HIP_vector_typeIjLj3EEjjjS8_jjjS8_jjjj, .Lfunc_end242-_ZL13mul_mat_vec_qIL9ggml_type23ELi1ELb0ELb1EEvPKvS2_PKi31ggml_cuda_mm_fusion_args_devicePfj15HIP_vector_typeIjLj3EEjjjS8_jjjS8_jjjj
                                        ; -- End function
	.section	.AMDGPU.csdata,"",@progbits
; Kernel info:
; codeLenInByte = 2272
; NumSgprs: 34
; NumVgprs: 63
; NumAgprs: 0
; TotalNumVgprs: 63
; ScratchSize: 0
; MemoryBound: 0
; FloatMode: 240
; IeeeMode: 1
; LDSByteSize: 1536 bytes/workgroup (compile time only)
; SGPRBlocks: 4
; VGPRBlocks: 7
; NumSGPRsForWavesPerEU: 34
; NumVGPRsForWavesPerEU: 63
; AccumOffset: 64
; Occupancy: 8
; WaveLimiterHint : 0
; COMPUTE_PGM_RSRC2:SCRATCH_EN: 0
; COMPUTE_PGM_RSRC2:USER_SGPR: 4
; COMPUTE_PGM_RSRC2:TRAP_HANDLER: 0
; COMPUTE_PGM_RSRC2:TGID_X_EN: 1
; COMPUTE_PGM_RSRC2:TGID_Y_EN: 1
; COMPUTE_PGM_RSRC2:TGID_Z_EN: 1
; COMPUTE_PGM_RSRC2:TIDIG_COMP_CNT: 2
; COMPUTE_PGM_RSRC3_GFX90A:ACCUM_OFFSET: 15
; COMPUTE_PGM_RSRC3_GFX90A:TG_SPLIT: 0
	.section	.text._ZL13mul_mat_vec_qIL9ggml_type23ELi1ELb1ELb0EEvPKvS2_PKi31ggml_cuda_mm_fusion_args_devicePfj15HIP_vector_typeIjLj3EEjjjS8_jjjS8_jjjj,"axG",@progbits,_ZL13mul_mat_vec_qIL9ggml_type23ELi1ELb1ELb0EEvPKvS2_PKi31ggml_cuda_mm_fusion_args_devicePfj15HIP_vector_typeIjLj3EEjjjS8_jjjS8_jjjj,comdat
	.globl	_ZL13mul_mat_vec_qIL9ggml_type23ELi1ELb1ELb0EEvPKvS2_PKi31ggml_cuda_mm_fusion_args_devicePfj15HIP_vector_typeIjLj3EEjjjS8_jjjS8_jjjj ; -- Begin function _ZL13mul_mat_vec_qIL9ggml_type23ELi1ELb1ELb0EEvPKvS2_PKi31ggml_cuda_mm_fusion_args_devicePfj15HIP_vector_typeIjLj3EEjjjS8_jjjS8_jjjj
	.p2align	8
	.type	_ZL13mul_mat_vec_qIL9ggml_type23ELi1ELb1ELb0EEvPKvS2_PKi31ggml_cuda_mm_fusion_args_devicePfj15HIP_vector_typeIjLj3EEjjjS8_jjjS8_jjjj,@function
_ZL13mul_mat_vec_qIL9ggml_type23ELi1ELb1ELb0EEvPKvS2_PKi31ggml_cuda_mm_fusion_args_devicePfj15HIP_vector_typeIjLj3EEjjjS8_jjjS8_jjjj: ; @_ZL13mul_mat_vec_qIL9ggml_type23ELi1ELb1ELb0EEvPKvS2_PKi31ggml_cuda_mm_fusion_args_devicePfj15HIP_vector_typeIjLj3EEjjjS8_jjjS8_jjjj
; %bb.0:
	s_load_dwordx8 s[16:23], s[0:1], 0x0
	s_load_dwordx4 s[36:39], s[0:1], 0x20
	s_load_dwordx4 s[8:11], s[0:1], 0x40
	;; [unrolled: 1-line block ×3, first 2 shown]
	s_mov_b32 s14, s3
	s_waitcnt lgkmcnt(0)
	s_cmp_lg_u64 s[20:21], 0
	s_cselect_b64 s[6:7], -1, 0
	s_cmp_eq_u64 s[20:21], 0
	s_mov_b64 s[12:13], 0
	s_cbranch_scc1 .LBB243_5
; %bb.1:
	s_mov_b32 s15, 0
	s_lshl_b64 s[28:29], s[14:15], 2
	s_add_u32 s20, s20, s28
	s_addc_u32 s21, s21, s29
	s_load_dword s5, s[20:21], 0x0
	s_load_dword s15, s[0:1], 0x50
	;; [unrolled: 1-line block ×3, first 2 shown]
	s_andn2_b64 vcc, exec, s[12:13]
	s_cbranch_vccnz .LBB243_3
.LBB243_2:
	s_load_dwordx2 s[12:13], s[0:1], 0x5c
	s_waitcnt lgkmcnt(0)
	s_mul_hi_u32 s3, s12, s14
	s_add_i32 s3, s14, s3
	s_lshr_b32 s5, s3, s13
.LBB243_3:
	s_andn2_b64 vcc, exec, s[6:7]
	s_cbranch_vccnz .LBB243_6
; %bb.4:
	s_mul_hi_u32 s3, s9, s14
	s_add_i32 s3, s14, s3
	s_lshr_b32 s3, s3, s10
	s_mul_i32 s3, s3, s11
	s_sub_i32 s34, s14, s3
	s_waitcnt lgkmcnt(0)
	s_mov_b32 s3, s5
	s_branch .LBB243_7
.LBB243_5:
                                        ; implicit-def: $sgpr5
	s_load_dword s15, s[0:1], 0x50
	s_load_dword s33, s[0:1], 0x78
	s_branch .LBB243_2
.LBB243_6:
	s_mov_b32 s3, s14
	s_mov_b32 s34, s14
.LBB243_7:
	s_load_dwordx4 s[28:31], s[0:1], 0x80
	v_bfe_u32 v24, v0, 10, 10
	v_and_b32_e32 v21, 0x3ff, v0
	s_cmp_lg_u64 s[22:23], 0
	v_or_b32_e32 v0, v24, v21
	s_cselect_b64 s[12:13], -1, 0
	v_cmp_eq_u32_e32 vcc, 0, v0
	s_mov_b32 s21, 0
	s_and_b64 s[40:41], vcc, s[12:13]
	v_mov_b32_e32 v22, 0
	s_mul_i32 s10, s3, s26
	v_lshlrev_b32_e32 v20, 2, v21
	v_mov_b32_e32 v23, 0
	s_and_saveexec_b64 s[6:7], s[40:41]
	s_cbranch_execz .LBB243_9
; %bb.8:
	s_waitcnt lgkmcnt(0)
	s_mul_i32 s20, s4, s30
	s_lshl_b64 s[40:41], s[20:21], 2
	s_add_u32 s3, s22, s40
	s_mov_b32 s11, s21
	s_addc_u32 s9, s23, s41
	s_lshl_b64 s[20:21], s[10:11], 2
	s_add_u32 s11, s3, s20
	s_addc_u32 s9, s9, s21
	s_ashr_i32 s3, s2, 31
	s_lshl_b64 s[20:21], s[2:3], 2
	s_add_u32 s20, s11, s20
	s_addc_u32 s21, s9, s21
	global_load_dword v23, v20, s[20:21]
.LBB243_9:
	s_or_b64 exec, exec, s[6:7]
	s_cmp_lg_u64 s[36:37], 0
	s_cselect_b64 s[20:21], -1, 0
	s_cmp_lg_u64 s[38:39], 0
	s_cselect_b64 s[6:7], -1, 0
	s_and_b64 s[22:23], s[6:7], s[20:21]
	s_and_b64 s[40:41], vcc, s[22:23]
	s_and_saveexec_b64 s[22:23], s[40:41]
	s_cbranch_execz .LBB243_11
; %bb.10:
	s_waitcnt lgkmcnt(0)
	s_mul_i32 s40, s4, s30
	s_mov_b32 s41, 0
	s_lshl_b64 s[42:43], s[40:41], 2
	s_add_u32 s3, s38, s42
	s_mov_b32 s11, s41
	s_addc_u32 s9, s39, s43
	s_lshl_b64 s[10:11], s[10:11], 2
	s_add_u32 s31, s3, s10
	s_addc_u32 s9, s9, s11
	s_ashr_i32 s3, s2, 31
	s_lshl_b64 s[10:11], s[2:3], 2
	s_add_u32 s10, s31, s10
	s_addc_u32 s11, s9, s11
	global_load_dword v22, v20, s[10:11]
.LBB243_11:
	s_or_b64 exec, exec, s[22:23]
	v_lshl_add_u32 v0, v24, 6, v21
	s_lshr_b32 s3, s8, 8
	v_lshrrev_b32_e32 v26, 3, v0
	v_cndmask_b32_e64 v1, 0, 1, s[20:21]
	v_cmp_gt_u32_e32 vcc, s3, v26
	v_mov_b32_e32 v27, 0
	v_cmp_ne_u32_e64 s[8:9], 1, v1
	v_mov_b32_e32 v25, 0
	s_and_saveexec_b64 s[10:11], vcc
	s_cbranch_execz .LBB243_17
; %bb.12:
	s_mul_hi_u32 s21, s27, s4
	s_add_i32 s21, s4, s21
	s_waitcnt lgkmcnt(0)
	s_lshr_b32 s21, s21, s33
	s_mul_i32 s5, s5, s24
	s_mul_i32 s21, s21, s28
	s_mul_i32 s20, s34, s25
	s_mul_i32 s15, s2, s15
	s_add_i32 s5, s21, s5
	s_add_i32 s5, s5, s15
	s_mul_hi_u32 s15, s20, 36
	s_mul_i32 s20, s20, 36
	v_lshrrev_b32_e32 v4, 3, v0
	v_mov_b32_e32 v0, s20
	v_mov_b32_e32 v1, s15
	s_movk_i32 s15, 0x120
	s_mul_i32 s22, s4, s29
	v_mad_u64_u32 v[0:1], s[20:21], v4, s15, v[0:1]
	v_and_b32_e32 v3, 7, v21
	v_mad_u64_u32 v[0:1], s[20:21], s22, 36, v[0:1]
	v_mad_u64_u32 v[0:1], s[20:21], v3, 36, v[0:1]
	v_and_b32_e32 v2, 28, v20
	v_mov_b32_e32 v13, 0
	v_lshl_add_u64 v[0:1], v[0:1], 0, s[18:19]
	v_bfe_u32 v12, v20, 3, 2
	v_and_b32_e32 v28, 4, v20
	v_lshrrev_b32_e32 v29, 1, v2
	v_lshl_add_u64 v[14:15], v[0:1], 0, 16
	s_mov_b64 s[18:19], 0
	s_movk_i32 s15, 0x88
	v_mov_b64_e32 v[16:17], s[16:17]
	v_lshlrev_b32_e32 v18, 2, v2
	v_mov_b32_e32 v19, v13
	s_mov_b32 s20, 0xf6eaddcf
	s_mov_b32 s21, 0x71594535
	s_mov_b64 s[16:17], 0x1200
	v_mov_b32_e32 v30, 0xbfad9881
	v_mov_b32_e32 v31, 0x26190d01
	;; [unrolled: 1-line block ×4, first 2 shown]
	s_branch .LBB243_14
.LBB243_13:                             ;   in Loop: Header=BB243_14 Depth=1
	s_waitcnt vmcnt(1)
	v_ashrrev_i32_e32 v35, 4, v4
	v_and_b32_e32 v36, 0x7070707, v4
	v_lshrrev_b32_e32 v4, 1, v4
	v_and_b32_e32 v38, 0x7070707, v35
	v_and_b32_e32 v4, 0x4040404, v4
	v_lshrrev_b32_e32 v35, 1, v35
	v_perm_b32 v37, s20, v30, v36
	v_perm_b32 v36, s21, v31, v36
	v_or_b32_e32 v4, 0x3020100, v4
	v_and_b32_e32 v35, 0x4040404, v35
	v_perm_b32 v39, s20, v30, v38
	v_perm_b32 v38, s21, v31, v38
	;; [unrolled: 1-line block ×3, first 2 shown]
	v_or_b32_e32 v35, 0x3020100, v35
	v_mov_b32_e32 v36, 0
	v_perm_b32 v35, v38, v39, v35
	v_dot4c_i32_i8_e32 v36, v4, v9
	v_dot4c_i32_i8_e32 v36, v35, v1
	v_ashrrev_i32_e32 v1, 4, v5
	v_and_b32_e32 v4, 0x7070707, v5
	v_lshrrev_b32_e32 v5, 1, v5
	v_and_b32_e32 v35, 0x7070707, v1
	v_and_b32_e32 v5, 0x4040404, v5
	v_lshrrev_b32_e32 v1, 1, v1
	v_perm_b32 v9, s20, v30, v4
	v_perm_b32 v4, s21, v31, v4
	v_or_b32_e32 v5, 0x3020100, v5
	v_and_b32_e32 v1, 0x4040404, v1
	v_perm_b32 v37, s20, v30, v35
	v_perm_b32 v35, s21, v31, v35
	;; [unrolled: 1-line block ×3, first 2 shown]
	v_or_b32_e32 v1, 0x3020100, v1
	v_perm_b32 v1, v35, v37, v1
	v_dot4c_i32_i8_e32 v36, v4, v10
	v_dot4c_i32_i8_e32 v36, v1, v2
	v_ashrrev_i32_e32 v1, 4, v6
	v_and_b32_e32 v2, 0x7070707, v6
	v_lshrrev_b32_e32 v6, 1, v6
	v_and_b32_e32 v5, 0x7070707, v1
	v_and_b32_e32 v6, 0x4040404, v6
	v_lshrrev_b32_e32 v1, 1, v1
	v_perm_b32 v4, s20, v30, v2
	v_perm_b32 v2, s21, v31, v2
	v_or_b32_e32 v6, 0x3020100, v6
	v_and_b32_e32 v1, 0x4040404, v1
	v_perm_b32 v9, s20, v30, v5
	v_perm_b32 v5, s21, v31, v5
	v_perm_b32 v2, v2, v4, v6
	v_or_b32_e32 v1, 0x3020100, v1
	v_perm_b32 v1, v5, v9, v1
	v_dot4c_i32_i8_e32 v36, v2, v11
	v_dot4c_i32_i8_e32 v36, v1, v3
	v_ashrrev_i32_e32 v1, 4, v7
	v_lshrrev_b32_e32 v6, 1, v7
	v_and_b32_e32 v2, 0x7070707, v7
	v_and_b32_e32 v4, 0x7070707, v1
	;; [unrolled: 1-line block ×3, first 2 shown]
	v_lshrrev_b32_e32 v1, 1, v1
	v_perm_b32 v3, s20, v30, v2
	v_perm_b32 v2, s21, v31, v2
	v_or_b32_e32 v6, 0x3020100, v6
	v_and_b32_e32 v1, 0x4040404, v1
	v_perm_b32 v5, s20, v30, v4
	v_perm_b32 v4, s21, v31, v4
	;; [unrolled: 1-line block ×3, first 2 shown]
	v_or_b32_e32 v1, 0x3020100, v1
	v_perm_b32 v1, v4, v5, v1
	v_dot4c_i32_i8_e32 v36, v2, v0
	v_dot4c_i32_i8_e32 v36, v1, v33
	v_and_b32_e32 v0, 0xff, v34
	s_waitcnt vmcnt(0)
	v_lshrrev_b32_sdwa v1, v29, v32 dst_sel:DWORD dst_unused:UNUSED_PAD src0_sel:DWORD src1_sel:WORD_1
	v_bfe_u32 v0, v0, v28, 4
	v_lshlrev_b32_e32 v1, 4, v1
	v_and_or_b32 v0, v1, 48, v0
	v_subrev_u32_e32 v0, 32, v0
	v_mul_lo_u32 v0, v0, v36
	v_cvt_f32_f16_e32 v1, v32
	v_cvt_f32_i32_e32 v0, v0
	v_add_u32_e32 v26, 16, v26
	v_cmp_le_u32_e32 vcc, s3, v26
	v_mul_f32_e32 v1, v1, v8
	v_fmac_f32_e32 v27, v1, v0
	s_or_b64 s[18:19], vcc, s[18:19]
	v_lshl_add_u64 v[14:15], v[14:15], 0, s[16:17]
	s_andn2_b64 exec, exec, s[18:19]
	s_cbranch_execz .LBB243_16
.LBB243_14:                             ; =>This Inner Loop Header: Depth=1
	v_add_u32_e32 v35, s5, v26
	v_mad_i64_i32 v[36:37], s[22:23], v35, s15, v[16:17]
	global_load_dwordx4 v[8:11], v[14:15], off offset:-16
	global_load_dwordx4 v[0:3], v[14:15], off
	global_load_dword v33, v[14:15], off offset:16
	v_lshl_add_u64 v[40:41], v[36:37], 0, v[12:13]
	v_lshl_add_u64 v[38:39], v[36:37], 0, v[18:19]
	global_load_ubyte v34, v[40:41], off offset:4
	global_load_dwordx4 v[4:7], v[38:39], off offset:8
	global_load_dword v32, v[36:37], off
	s_and_b64 vcc, exec, s[8:9]
	s_waitcnt vmcnt(5)
	v_cvt_f32_f16_e32 v8, v8
	s_cbranch_vccnz .LBB243_13
; %bb.15:                               ;   in Loop: Header=BB243_14 Depth=1
	v_mov_b64_e32 v[36:37], s[36:37]
	v_mad_i64_i32 v[40:41], s[22:23], v35, s15, v[36:37]
	v_lshl_add_u64 v[36:37], v[40:41], 0, v[18:19]
	global_load_dwordx4 v[36:39], v[36:37], off offset:8
	v_lshl_add_u64 v[42:43], v[40:41], 0, v[12:13]
	global_load_ubyte v35, v[42:43], off offset:4
	global_load_dword v44, v[40:41], off
	v_mov_b32_e32 v40, 0
	s_waitcnt vmcnt(2)
	v_ashrrev_i32_e32 v41, 4, v36
	v_and_b32_e32 v42, 0x7070707, v36
	v_lshrrev_b32_e32 v36, 1, v36
	v_and_b32_e32 v52, 0x7070707, v41
	v_and_b32_e32 v36, 0x4040404, v36
	v_lshrrev_b32_e32 v41, 1, v41
	v_ashrrev_i32_e32 v43, 4, v37
	v_and_b32_e32 v45, 0x7070707, v37
	v_lshrrev_b32_e32 v37, 1, v37
	v_perm_b32 v51, s20, v30, v42
	v_perm_b32 v42, s21, v31, v42
	v_or_b32_e32 v36, 0x3020100, v36
	v_and_b32_e32 v41, 0x4040404, v41
	v_and_b32_e32 v54, 0x7070707, v43
	;; [unrolled: 1-line block ×3, first 2 shown]
	v_lshrrev_b32_e32 v43, 1, v43
	v_perm_b32 v59, s20, v30, v52
	v_perm_b32 v52, s21, v31, v52
	;; [unrolled: 1-line block ×3, first 2 shown]
	v_or_b32_e32 v41, 0x3020100, v41
	v_ashrrev_i32_e32 v46, 4, v38
	v_and_b32_e32 v47, 0x7070707, v38
	v_lshrrev_b32_e32 v38, 1, v38
	v_perm_b32 v53, s20, v30, v45
	v_perm_b32 v45, s21, v31, v45
	v_or_b32_e32 v37, 0x3020100, v37
	v_and_b32_e32 v43, 0x4040404, v43
	v_perm_b32 v41, v52, v59, v41
	v_dot4c_i32_i8_e32 v40, v36, v9
	v_and_b32_e32 v56, 0x7070707, v46
	v_and_b32_e32 v38, 0x4040404, v38
	v_lshrrev_b32_e32 v46, 1, v46
	v_perm_b32 v60, s20, v30, v54
	v_perm_b32 v54, s21, v31, v54
	v_perm_b32 v37, v45, v53, v37
	v_or_b32_e32 v42, 0x3020100, v43
	v_dot4c_i32_i8_e32 v40, v41, v1
	v_ashrrev_i32_e32 v48, 4, v39
	v_and_b32_e32 v49, 0x7070707, v39
	v_lshrrev_b32_e32 v39, 1, v39
	v_perm_b32 v55, s20, v30, v47
	v_perm_b32 v47, s21, v31, v47
	v_or_b32_e32 v38, 0x3020100, v38
	v_and_b32_e32 v46, 0x4040404, v46
	v_perm_b32 v36, v54, v60, v42
	v_dot4c_i32_i8_e32 v40, v37, v10
	v_and_b32_e32 v58, 0x7070707, v48
	v_and_b32_e32 v39, 0x4040404, v39
	v_lshrrev_b32_e32 v48, 1, v48
	v_perm_b32 v61, s20, v30, v56
	v_perm_b32 v56, s21, v31, v56
	;; [unrolled: 1-line block ×3, first 2 shown]
	v_or_b32_e32 v43, 0x3020100, v46
	v_dot4c_i32_i8_e32 v40, v36, v2
	s_waitcnt vmcnt(0)
	v_lshrrev_b32_sdwa v50, v29, v44 dst_sel:DWORD dst_unused:UNUSED_PAD src0_sel:DWORD src1_sel:WORD_1
	v_perm_b32 v57, s20, v30, v49
	v_perm_b32 v49, s21, v31, v49
	v_or_b32_e32 v39, 0x3020100, v39
	v_and_b32_e32 v48, 0x4040404, v48
	v_perm_b32 v42, v56, v61, v43
	v_dot4c_i32_i8_e32 v40, v38, v11
	v_bfe_u32 v35, v35, v28, 4
	v_lshlrev_b32_e32 v50, 4, v50
	v_perm_b32 v62, s20, v30, v58
	v_perm_b32 v58, s21, v31, v58
	;; [unrolled: 1-line block ×3, first 2 shown]
	v_or_b32_e32 v45, 0x3020100, v48
	v_dot4c_i32_i8_e32 v40, v42, v3
	v_and_or_b32 v35, v50, 48, v35
	v_perm_b32 v43, v58, v62, v45
	v_dot4c_i32_i8_e32 v40, v39, v0
	v_subrev_u32_e32 v35, 32, v35
	v_dot4c_i32_i8_e32 v40, v43, v33
	v_cvt_f32_f16_e32 v36, v44
	v_mul_f32_e32 v36, v8, v36
	s_nop 0
	v_mul_lo_u32 v35, v40, v35
	v_cvt_f32_i32_e32 v35, v35
	v_fmac_f32_e32 v25, v36, v35
	s_branch .LBB243_13
.LBB243_16:
	s_or_b64 exec, exec, s[18:19]
.LBB243_17:
	s_or_b64 exec, exec, s[10:11]
	s_load_dword s3, s[0:1], 0x30
	v_cmp_eq_u32_e64 s[10:11], 0, v24
	v_cmp_ne_u32_e32 vcc, 0, v24
	s_and_saveexec_b64 s[16:17], vcc
	s_cbranch_execz .LBB243_20
; %bb.18:
	v_add_u32_e32 v0, -1, v24
	v_lshl_add_u32 v0, v0, 8, v20
	s_and_b64 vcc, exec, s[8:9]
	ds_write_b32 v0, v27
	s_cbranch_vccnz .LBB243_20
; %bb.19:
	ds_write_b32 v0, v25 offset:256
.LBB243_20:
	s_or_b64 exec, exec, s[16:17]
	s_waitcnt lgkmcnt(0)
	s_barrier
	s_and_saveexec_b64 s[16:17], s[10:11]
	s_cbranch_execz .LBB243_49
; %bb.21:
	ds_read_b32 v0, v20
	s_and_b64 vcc, exec, s[8:9]
	s_cbranch_vccnz .LBB243_23
; %bb.22:
	ds_read_b32 v1, v20 offset:256
	s_waitcnt lgkmcnt(0)
	v_add_f32_e32 v25, v25, v1
.LBB243_23:
	s_waitcnt lgkmcnt(0)
	v_add_f32_e32 v1, v27, v0
	v_mbcnt_lo_u32_b32 v0, -1, 0
	v_mbcnt_hi_u32_b32 v4, -1, v0
	v_and_b32_e32 v0, 64, v4
	v_add_u32_e32 v7, 64, v0
	v_xor_b32_e32 v0, 32, v4
	v_cmp_lt_i32_e32 vcc, v0, v7
	v_xor_b32_e32 v3, 16, v4
	v_xor_b32_e32 v5, 8, v4
	v_cndmask_b32_e32 v0, v4, v0, vcc
	v_lshlrev_b32_e32 v0, 2, v0
	ds_bpermute_b32 v2, v0, v1
	v_cmp_lt_i32_e32 vcc, v3, v7
	v_xor_b32_e32 v6, 4, v4
	v_xor_b32_e32 v8, 2, v4
	;; [unrolled: 1-line block ×3, first 2 shown]
	s_waitcnt lgkmcnt(0)
	v_add_f32_e32 v2, v1, v2
	v_cndmask_b32_e32 v1, v4, v3, vcc
	v_lshlrev_b32_e32 v1, 2, v1
	ds_bpermute_b32 v3, v1, v2
	v_cmp_lt_i32_e32 vcc, v5, v7
	s_waitcnt lgkmcnt(0)
	v_add_f32_e32 v2, v2, v3
	v_cndmask_b32_e32 v3, v4, v5, vcc
	v_lshlrev_b32_e32 v3, 2, v3
	ds_bpermute_b32 v5, v3, v2
	v_cmp_lt_i32_e32 vcc, v6, v7
	;; [unrolled: 6-line block ×4, first 2 shown]
	s_waitcnt lgkmcnt(0)
	v_add_f32_e32 v2, v2, v8
	v_cndmask_b32_e32 v4, v4, v9, vcc
	v_lshlrev_b32_e32 v7, 2, v4
	ds_bpermute_b32 v4, v7, v2
	s_and_b64 vcc, exec, s[8:9]
	s_cbranch_vccnz .LBB243_25
; %bb.24:
	ds_bpermute_b32 v0, v0, v25
	s_waitcnt lgkmcnt(0)
	v_add_f32_e32 v0, v25, v0
	ds_bpermute_b32 v1, v1, v0
	s_waitcnt lgkmcnt(0)
	v_add_f32_e32 v0, v0, v1
	ds_bpermute_b32 v1, v3, v0
	s_waitcnt lgkmcnt(0)
	v_add_f32_e32 v0, v0, v1
	ds_bpermute_b32 v1, v5, v0
	s_waitcnt lgkmcnt(0)
	v_add_f32_e32 v0, v0, v1
	ds_bpermute_b32 v1, v6, v0
	s_waitcnt lgkmcnt(0)
	v_add_f32_e32 v0, v0, v1
	ds_bpermute_b32 v1, v7, v0
	s_waitcnt lgkmcnt(0)
	v_add_f32_e32 v25, v0, v1
.LBB243_25:
	v_cmp_eq_u32_e32 vcc, 0, v21
	s_and_b64 exec, exec, vcc
	s_cbranch_execz .LBB243_49
; %bb.26:
	s_waitcnt lgkmcnt(0)
	v_add_f32_e32 v0, v2, v4
	s_waitcnt vmcnt(0)
	v_add_f32_e32 v1, v23, v0
	s_and_b64 vcc, exec, s[8:9]
	v_cndmask_b32_e64 v0, v0, v1, s[12:13]
	s_cbranch_vccnz .LBB243_48
; %bb.27:
	v_add_f32_e32 v1, v22, v25
	v_cndmask_b32_e64 v1, v25, v1, s[6:7]
	s_cmp_lt_i32 s3, 2
	s_mov_b64 s[6:7], 0
	s_cbranch_scc1 .LBB243_31
; %bb.28:
	s_cmp_gt_i32 s3, 2
	s_cbranch_scc0 .LBB243_32
; %bb.29:
	s_cmp_eq_u32 s3, 3
	s_cbranch_scc0 .LBB243_33
; %bb.30:
	v_max_f32_e32 v2, v1, v1
	v_min_f32_e32 v4, 0x40e00000, v2
	v_mul_f32_e32 v3, 0xbfd9db23, v4
	s_mov_b32 s5, 0x3fb8aa3b
	v_mul_f32_e32 v2, 0x3fb8aa3b, v3
	v_fma_f32 v5, v3, s5, -v2
	v_rndne_f32_e32 v6, v2
	v_fmamk_f32 v5, v3, 0x32a5705f, v5
	v_sub_f32_e32 v2, v2, v6
	v_add_f32_e32 v2, v2, v5
	v_exp_f32_e32 v5, v2
	v_cvt_i32_f32_e32 v6, v6
	s_mov_b32 s5, 0xc2ce8ed0
	v_max_f32_e32 v2, v0, v0
	v_cmp_ngt_f32_e32 vcc, s5, v3
	v_ldexp_f32 v5, v5, v6
	s_mov_b32 s5, 0x42b17218
	v_min_f32_e32 v2, 0x40e00000, v2
	v_cndmask_b32_e32 v5, 0, v5, vcc
	v_mov_b32_e32 v6, 0x7f800000
	v_cmp_nlt_f32_e32 vcc, s5, v3
	v_max_f32_e32 v2, 0xc0e00000, v2
	s_nop 0
	v_cndmask_b32_e32 v3, v6, v5, vcc
	v_pk_add_f32 v[2:3], v[2:3], 1.0 op_sel_hi:[1,0]
	s_nop 0
	v_div_scale_f32 v5, s[8:9], v3, v3, v4
	v_rcp_f32_e32 v6, v5
	s_mov_b64 s[8:9], 0
	v_fma_f32 v7, -v5, v6, 1.0
	v_fmac_f32_e32 v6, v7, v6
	v_div_scale_f32 v7, vcc, v4, v3, v4
	v_mul_f32_e32 v8, v7, v6
	v_fma_f32 v9, -v5, v8, v7
	v_fmac_f32_e32 v8, v9, v6
	v_fma_f32 v5, -v5, v8, v7
	v_div_fmas_f32 v5, v5, v6, v8
	v_div_fixup_f32 v3, v5, v3, v4
	v_mul_f32_e32 v2, v2, v3
	s_branch .LBB243_34
.LBB243_31:
                                        ; implicit-def: $vgpr2
	s_mov_b64 s[8:9], 0
	s_cbranch_execnz .LBB243_38
	s_branch .LBB243_39
.LBB243_32:
	s_mov_b64 s[10:11], -1
	s_mov_b64 s[8:9], 0
                                        ; implicit-def: $vgpr2
	s_branch .LBB243_35
.LBB243_33:
	s_mov_b64 s[8:9], -1
                                        ; implicit-def: $vgpr2
.LBB243_34:
	s_mov_b64 s[10:11], 0
.LBB243_35:
	s_and_b64 vcc, exec, s[10:11]
	s_cbranch_vccz .LBB243_37
; %bb.36:
	v_mul_f32_e32 v2, 0xbfb8aa3b, v1
	s_mov_b32 s5, 0xbfb8aa3b
	v_rndne_f32_e32 v3, v2
	v_sub_f32_e32 v4, v2, v3
	v_fma_f32 v2, v1, s5, -v2
	v_fmamk_f32 v2, v1, 0xb2a5705f, v2
	v_add_f32_e32 v2, v4, v2
	v_exp_f32_e32 v2, v2
	v_cvt_i32_f32_e32 v3, v3
	s_mov_b32 s5, 0x42ce8ed0
	v_cmp_nlt_f32_e32 vcc, s5, v1
	s_mov_b32 s5, 0xc2b17218
	v_ldexp_f32 v2, v2, v3
	v_cndmask_b32_e32 v2, 0, v2, vcc
	v_mov_b32_e32 v3, 0x7f800000
	v_cmp_ngt_f32_e32 vcc, s5, v1
	s_nop 1
	v_cndmask_b32_e32 v2, v3, v2, vcc
	v_add_f32_e32 v2, 1.0, v2
	v_div_scale_f32 v3, s[10:11], v2, v2, v1
	v_rcp_f32_e32 v4, v3
	s_nop 0
	v_fma_f32 v5, -v3, v4, 1.0
	v_fmac_f32_e32 v4, v5, v4
	v_div_scale_f32 v5, vcc, v1, v2, v1
	v_mul_f32_e32 v6, v5, v4
	v_fma_f32 v7, -v3, v6, v5
	v_fmac_f32_e32 v6, v7, v4
	v_fma_f32 v3, -v3, v6, v5
	v_div_fmas_f32 v3, v3, v4, v6
	v_div_fixup_f32 v2, v3, v2, v1
	v_mul_f32_e32 v2, v0, v2
.LBB243_37:
	s_branch .LBB243_39
.LBB243_38:
	s_cmp_lg_u32 s3, 1
	s_mov_b64 s[6:7], -1
	s_cselect_b64 s[8:9], -1, 0
                                        ; implicit-def: $vgpr2
.LBB243_39:
	s_andn2_b64 vcc, exec, s[8:9]
	s_cbranch_vccz .LBB243_41
; %bb.40:
	s_andn2_b64 vcc, exec, s[6:7]
	s_cbranch_vccz .LBB243_42
	s_branch .LBB243_47
.LBB243_41:
	v_mul_f32_e32 v2, v0, v1
	s_cbranch_execnz .LBB243_47
.LBB243_42:
	v_mul_f32_e32 v3, 0x3d372713, v1
	v_mul_f32_e32 v2, 0x3f4c422a, v1
	v_fma_f32 v3, v1, v3, 1.0
	v_mul_f32_e32 v2, v2, v3
	s_mov_b32 s3, 0x3f200000
	v_cmp_nlt_f32_e64 s[6:7], |v2|, s3
                                        ; implicit-def: $vgpr3
	s_and_saveexec_b64 s[8:9], s[6:7]
	s_xor_b64 s[6:7], exec, s[8:9]
	s_cbranch_execz .LBB243_44
; %bb.43:
	v_add_f32_e64 v3, |v2|, |v2|
	v_mul_f32_e32 v4, 0x3fb8aa3b, v3
	s_mov_b32 s3, 0x3fb8aa3b
	v_rndne_f32_e32 v5, v4
	v_sub_f32_e32 v6, v4, v5
	v_fma_f32 v4, v3, s3, -v4
	v_fmamk_f32 v4, v3, 0x32a5705f, v4
	v_add_f32_e32 v4, v6, v4
	v_exp_f32_e32 v4, v4
	v_cvt_i32_f32_e32 v5, v5
	s_mov_b32 s3, 0xc2ce8ed0
	v_cmp_ngt_f32_e32 vcc, s3, v3
	s_mov_b32 s3, 0x42b17218
	v_ldexp_f32 v4, v4, v5
	v_cndmask_b32_e32 v4, 0, v4, vcc
	v_mov_b32_e32 v5, 0x7f800000
	v_cmp_nlt_f32_e32 vcc, s3, v3
	s_nop 1
	v_cndmask_b32_e32 v3, v5, v4, vcc
	v_add_f32_e32 v3, 1.0, v3
	v_rcp_f32_e32 v3, v3
	s_nop 0
	v_fma_f32 v3, v3, -2.0, 1.0
.LBB243_44:
	s_andn2_saveexec_b64 s[6:7], s[6:7]
; %bb.45:
	v_mul_f32_e32 v3, v2, v2
	v_mov_b32_e32 v4, 0x3ca908c9
	v_fmac_f32_e32 v4, 0xbbbac73d, v3
	v_fmaak_f32 v4, v3, v4, 0xbd5c1c4e
	v_fmaak_f32 v4, v3, v4, 0x3e088382
	;; [unrolled: 1-line block ×3, first 2 shown]
	v_mul_f32_e64 v4, |v2|, v4
	v_fma_f32 v3, v3, v4, |v2|
; %bb.46:
	s_or_b64 exec, exec, s[6:7]
	s_brev_b32 s3, -2
	v_bfi_b32 v2, s3, v3, v2
	v_mul_f32_e32 v1, 0.5, v1
	v_add_f32_e32 v2, 1.0, v2
	v_mul_f32_e32 v1, v1, v2
	v_mul_f32_e32 v2, v0, v1
.LBB243_47:
	v_mov_b32_e32 v0, v2
.LBB243_48:
	s_load_dwordx2 s[0:1], s[0:1], 0x38
	s_mul_i32 s3, s14, s26
	s_mul_i32 s4, s4, s30
	s_add_i32 s2, s3, s2
	s_add_i32 s2, s2, s4
	s_mov_b32 s3, 0
	s_lshl_b64 s[2:3], s[2:3], 2
	s_waitcnt lgkmcnt(0)
	s_add_u32 s0, s0, s2
	s_addc_u32 s1, s1, s3
	global_store_dword v20, v0, s[0:1]
.LBB243_49:
	s_endpgm
	.section	.rodata,"a",@progbits
	.p2align	6, 0x0
	.amdhsa_kernel _ZL13mul_mat_vec_qIL9ggml_type23ELi1ELb1ELb0EEvPKvS2_PKi31ggml_cuda_mm_fusion_args_devicePfj15HIP_vector_typeIjLj3EEjjjS8_jjjS8_jjjj
		.amdhsa_group_segment_fixed_size 512
		.amdhsa_private_segment_fixed_size 0
		.amdhsa_kernarg_size 144
		.amdhsa_user_sgpr_count 2
		.amdhsa_user_sgpr_dispatch_ptr 0
		.amdhsa_user_sgpr_queue_ptr 0
		.amdhsa_user_sgpr_kernarg_segment_ptr 1
		.amdhsa_user_sgpr_dispatch_id 0
		.amdhsa_user_sgpr_kernarg_preload_length 0
		.amdhsa_user_sgpr_kernarg_preload_offset 0
		.amdhsa_user_sgpr_private_segment_size 0
		.amdhsa_uses_dynamic_stack 0
		.amdhsa_enable_private_segment 0
		.amdhsa_system_sgpr_workgroup_id_x 1
		.amdhsa_system_sgpr_workgroup_id_y 1
		.amdhsa_system_sgpr_workgroup_id_z 1
		.amdhsa_system_sgpr_workgroup_info 0
		.amdhsa_system_vgpr_workitem_id 1
		.amdhsa_next_free_vgpr 63
		.amdhsa_next_free_sgpr 44
		.amdhsa_accum_offset 64
		.amdhsa_reserve_vcc 1
		.amdhsa_float_round_mode_32 0
		.amdhsa_float_round_mode_16_64 0
		.amdhsa_float_denorm_mode_32 3
		.amdhsa_float_denorm_mode_16_64 3
		.amdhsa_dx10_clamp 1
		.amdhsa_ieee_mode 1
		.amdhsa_fp16_overflow 0
		.amdhsa_tg_split 0
		.amdhsa_exception_fp_ieee_invalid_op 0
		.amdhsa_exception_fp_denorm_src 0
		.amdhsa_exception_fp_ieee_div_zero 0
		.amdhsa_exception_fp_ieee_overflow 0
		.amdhsa_exception_fp_ieee_underflow 0
		.amdhsa_exception_fp_ieee_inexact 0
		.amdhsa_exception_int_div_zero 0
	.end_amdhsa_kernel
	.section	.text._ZL13mul_mat_vec_qIL9ggml_type23ELi1ELb1ELb0EEvPKvS2_PKi31ggml_cuda_mm_fusion_args_devicePfj15HIP_vector_typeIjLj3EEjjjS8_jjjS8_jjjj,"axG",@progbits,_ZL13mul_mat_vec_qIL9ggml_type23ELi1ELb1ELb0EEvPKvS2_PKi31ggml_cuda_mm_fusion_args_devicePfj15HIP_vector_typeIjLj3EEjjjS8_jjjS8_jjjj,comdat
.Lfunc_end243:
	.size	_ZL13mul_mat_vec_qIL9ggml_type23ELi1ELb1ELb0EEvPKvS2_PKi31ggml_cuda_mm_fusion_args_devicePfj15HIP_vector_typeIjLj3EEjjjS8_jjjS8_jjjj, .Lfunc_end243-_ZL13mul_mat_vec_qIL9ggml_type23ELi1ELb1ELb0EEvPKvS2_PKi31ggml_cuda_mm_fusion_args_devicePfj15HIP_vector_typeIjLj3EEjjjS8_jjjS8_jjjj
                                        ; -- End function
	.section	.AMDGPU.csdata,"",@progbits
; Kernel info:
; codeLenInByte = 3332
; NumSgprs: 50
; NumVgprs: 63
; NumAgprs: 0
; TotalNumVgprs: 63
; ScratchSize: 0
; MemoryBound: 0
; FloatMode: 240
; IeeeMode: 1
; LDSByteSize: 512 bytes/workgroup (compile time only)
; SGPRBlocks: 6
; VGPRBlocks: 7
; NumSGPRsForWavesPerEU: 50
; NumVGPRsForWavesPerEU: 63
; AccumOffset: 64
; Occupancy: 8
; WaveLimiterHint : 0
; COMPUTE_PGM_RSRC2:SCRATCH_EN: 0
; COMPUTE_PGM_RSRC2:USER_SGPR: 2
; COMPUTE_PGM_RSRC2:TRAP_HANDLER: 0
; COMPUTE_PGM_RSRC2:TGID_X_EN: 1
; COMPUTE_PGM_RSRC2:TGID_Y_EN: 1
; COMPUTE_PGM_RSRC2:TGID_Z_EN: 1
; COMPUTE_PGM_RSRC2:TIDIG_COMP_CNT: 1
; COMPUTE_PGM_RSRC3_GFX90A:ACCUM_OFFSET: 15
; COMPUTE_PGM_RSRC3_GFX90A:TG_SPLIT: 0
	.section	.text._ZL13mul_mat_vec_qIL9ggml_type23ELi1ELb0ELb0EEvPKvS2_PKi31ggml_cuda_mm_fusion_args_devicePfj15HIP_vector_typeIjLj3EEjjjS8_jjjS8_jjjj,"axG",@progbits,_ZL13mul_mat_vec_qIL9ggml_type23ELi1ELb0ELb0EEvPKvS2_PKi31ggml_cuda_mm_fusion_args_devicePfj15HIP_vector_typeIjLj3EEjjjS8_jjjS8_jjjj,comdat
	.globl	_ZL13mul_mat_vec_qIL9ggml_type23ELi1ELb0ELb0EEvPKvS2_PKi31ggml_cuda_mm_fusion_args_devicePfj15HIP_vector_typeIjLj3EEjjjS8_jjjS8_jjjj ; -- Begin function _ZL13mul_mat_vec_qIL9ggml_type23ELi1ELb0ELb0EEvPKvS2_PKi31ggml_cuda_mm_fusion_args_devicePfj15HIP_vector_typeIjLj3EEjjjS8_jjjS8_jjjj
	.p2align	8
	.type	_ZL13mul_mat_vec_qIL9ggml_type23ELi1ELb0ELb0EEvPKvS2_PKi31ggml_cuda_mm_fusion_args_devicePfj15HIP_vector_typeIjLj3EEjjjS8_jjjS8_jjjj,@function
_ZL13mul_mat_vec_qIL9ggml_type23ELi1ELb0ELb0EEvPKvS2_PKi31ggml_cuda_mm_fusion_args_devicePfj15HIP_vector_typeIjLj3EEjjjS8_jjjS8_jjjj: ; @_ZL13mul_mat_vec_qIL9ggml_type23ELi1ELb0ELb0EEvPKvS2_PKi31ggml_cuda_mm_fusion_args_devicePfj15HIP_vector_typeIjLj3EEjjjS8_jjjS8_jjjj
; %bb.0:
	s_load_dwordx2 s[8:9], s[0:1], 0x10
	s_load_dwordx4 s[16:19], s[0:1], 0x40
	s_mov_b32 s20, s3
	s_mov_b64 s[12:13], 0
	s_waitcnt lgkmcnt(0)
	s_cmp_lg_u64 s[8:9], 0
	s_cselect_b64 s[6:7], -1, 0
	s_cmp_eq_u64 s[8:9], 0
	s_cbranch_scc1 .LBB244_5
; %bb.1:
	s_mov_b32 s21, 0
	s_lshl_b64 s[10:11], s[20:21], 2
	s_add_u32 s8, s8, s10
	s_addc_u32 s9, s9, s11
	s_load_dword s5, s[8:9], 0x0
	s_nop 0
	s_load_dwordx4 s[8:11], s[0:1], 0x68
	s_load_dword s21, s[0:1], 0x50
	s_andn2_b64 vcc, exec, s[12:13]
	s_cbranch_vccnz .LBB244_3
.LBB244_2:
	s_load_dwordx2 s[12:13], s[0:1], 0x5c
	s_waitcnt lgkmcnt(0)
	s_mul_hi_u32 s3, s12, s20
	s_add_i32 s3, s20, s3
	s_lshr_b32 s5, s3, s13
.LBB244_3:
	s_load_dword s22, s[0:1], 0x78
	s_andn2_b64 vcc, exec, s[6:7]
	s_cbranch_vccnz .LBB244_6
; %bb.4:
	s_mul_hi_u32 s3, s17, s20
	s_add_i32 s3, s20, s3
	s_lshr_b32 s3, s3, s18
	s_mul_i32 s3, s3, s19
	s_sub_i32 s17, s20, s3
	s_branch .LBB244_7
.LBB244_5:
                                        ; implicit-def: $sgpr5
	s_load_dwordx4 s[8:11], s[0:1], 0x68
	s_load_dword s21, s[0:1], 0x50
	s_branch .LBB244_2
.LBB244_6:
	s_mov_b32 s17, s20
.LBB244_7:
	s_load_dwordx4 s[12:15], s[0:1], 0x80
	v_bfe_u32 v10, v0, 10, 10
	v_and_b32_e32 v8, 0x3ff, v0
	v_lshl_add_u32 v2, v10, 6, v8
	s_lshr_b32 s3, s16, 8
	v_lshrrev_b32_e32 v11, 3, v2
	v_cmp_gt_u32_e32 vcc, s3, v11
	v_mov_b32_e32 v12, 0
	v_lshlrev_b32_e32 v9, 2, v8
	s_and_saveexec_b64 s[6:7], vcc
	s_cbranch_execz .LBB244_11
; %bb.8:
	s_waitcnt lgkmcnt(0)
	s_mul_i32 s5, s5, s8
	s_mul_hi_u32 s8, s11, s4
	s_add_i32 s8, s4, s8
	s_lshr_b32 s8, s8, s22
	s_mul_i32 s9, s17, s9
	s_mul_i32 s8, s8, s12
	s_load_dwordx4 s[24:27], s[0:1], 0x0
	s_add_i32 s5, s8, s5
	s_mul_hi_u32 s8, s9, 36
	s_mul_i32 s9, s9, 36
	v_lshrrev_b32_e32 v5, 3, v2
	v_mov_b32_e32 v2, s9
	v_mov_b32_e32 v3, s8
	s_movk_i32 s8, 0x120
	s_mul_i32 s13, s4, s13
	v_mad_u64_u32 v[2:3], s[8:9], v5, s8, v[2:3]
	v_and_b32_e32 v4, 7, v8
	v_mad_u64_u32 v[2:3], s[8:9], s13, 36, v[2:3]
	v_mad_u64_u32 v[2:3], s[8:9], v4, 36, v[2:3]
	s_mul_i32 s15, s2, s21
	v_and_b32_e32 v6, 28, v9
	v_mov_b32_e32 v1, 0
	s_waitcnt lgkmcnt(0)
	v_lshl_add_u64 v[2:3], v[2:3], 0, s[26:27]
	v_bfe_u32 v0, v9, 3, 2
	v_and_b32_e32 v13, 4, v9
	v_lshrrev_b32_e32 v14, 1, v6
	s_add_i32 s5, s5, s15
	v_lshl_add_u64 v[2:3], v[2:3], 0, 16
	s_mov_b64 s[8:9], 0
	s_movk_i32 s11, 0x88
	v_mov_b64_e32 v[4:5], s[24:25]
	v_lshlrev_b32_e32 v6, 2, v6
	v_mov_b32_e32 v7, v1
	s_mov_b32 s15, 0xf6eaddcf
	v_mov_b32_e32 v15, 0xbfad9881
	s_mov_b32 s16, 0x71594535
	v_mov_b32_e32 v16, 0x26190d01
	s_mov_b64 s[12:13], 0x1200
	v_mov_b32_e32 v12, v1
.LBB244_9:                              ; =>This Inner Loop Header: Depth=1
	v_add_u32_e32 v17, s5, v11
	v_mad_i64_i32 v[30:31], s[18:19], v17, s11, v[4:5]
	v_lshl_add_u64 v[32:33], v[30:31], 0, v[6:7]
	global_load_dwordx4 v[18:21], v[2:3], off offset:-16
	global_load_dwordx4 v[22:25], v[2:3], off
	v_lshl_add_u64 v[34:35], v[30:31], 0, v[0:1]
	global_load_dwordx4 v[26:29], v[32:33], off offset:8
	global_load_ubyte v17, v[34:35], off offset:4
	global_load_dword v36, v[30:31], off
	global_load_dword v37, v[2:3], off offset:16
	v_mov_b32_e32 v30, 0
	v_add_u32_e32 v11, 16, v11
	v_cmp_le_u32_e32 vcc, s3, v11
	v_lshl_add_u64 v[2:3], v[2:3], 0, s[12:13]
	s_or_b64 s[8:9], vcc, s[8:9]
	s_waitcnt vmcnt(5)
	v_cvt_f32_f16_e32 v18, v18
	s_waitcnt vmcnt(3)
	v_ashrrev_i32_e32 v31, 4, v26
	v_and_b32_e32 v32, 0x7070707, v26
	v_lshrrev_b32_e32 v26, 1, v26
	v_and_b32_e32 v43, 0x7070707, v31
	v_and_b32_e32 v26, 0x4040404, v26
	v_lshrrev_b32_e32 v31, 1, v31
	v_ashrrev_i32_e32 v33, 4, v27
	v_and_b32_e32 v34, 0x7070707, v27
	v_lshrrev_b32_e32 v27, 1, v27
	v_perm_b32 v42, s15, v15, v32
	v_perm_b32 v32, s16, v16, v32
	v_or_b32_e32 v26, 0x3020100, v26
	v_and_b32_e32 v31, 0x4040404, v31
	v_and_b32_e32 v45, 0x7070707, v33
	;; [unrolled: 1-line block ×3, first 2 shown]
	v_lshrrev_b32_e32 v33, 1, v33
	v_perm_b32 v50, s15, v15, v43
	v_perm_b32 v43, s16, v16, v43
	;; [unrolled: 1-line block ×3, first 2 shown]
	v_or_b32_e32 v31, 0x3020100, v31
	v_ashrrev_i32_e32 v35, 4, v28
	v_and_b32_e32 v38, 0x7070707, v28
	v_lshrrev_b32_e32 v28, 1, v28
	v_perm_b32 v44, s15, v15, v34
	v_perm_b32 v34, s16, v16, v34
	v_or_b32_e32 v27, 0x3020100, v27
	v_and_b32_e32 v33, 0x4040404, v33
	v_perm_b32 v31, v43, v50, v31
	v_dot4c_i32_i8_e32 v30, v26, v19
	v_and_b32_e32 v47, 0x7070707, v35
	v_and_b32_e32 v28, 0x4040404, v28
	v_lshrrev_b32_e32 v35, 1, v35
	v_perm_b32 v51, s15, v15, v45
	v_perm_b32 v45, s16, v16, v45
	;; [unrolled: 1-line block ×3, first 2 shown]
	v_or_b32_e32 v32, 0x3020100, v33
	v_dot4c_i32_i8_e32 v30, v31, v23
	v_ashrrev_i32_e32 v39, 4, v29
	v_and_b32_e32 v40, 0x7070707, v29
	v_lshrrev_b32_e32 v29, 1, v29
	v_perm_b32 v46, s15, v15, v38
	v_perm_b32 v38, s16, v16, v38
	v_or_b32_e32 v28, 0x3020100, v28
	v_and_b32_e32 v35, 0x4040404, v35
	v_perm_b32 v19, v45, v51, v32
	v_dot4c_i32_i8_e32 v30, v27, v20
	v_and_b32_e32 v49, 0x7070707, v39
	v_and_b32_e32 v29, 0x4040404, v29
	v_lshrrev_b32_e32 v39, 1, v39
	v_perm_b32 v52, s15, v15, v47
	v_perm_b32 v47, s16, v16, v47
	;; [unrolled: 1-line block ×3, first 2 shown]
	v_or_b32_e32 v33, 0x3020100, v35
	v_dot4c_i32_i8_e32 v30, v19, v24
	s_waitcnt vmcnt(1)
	v_lshrrev_b32_sdwa v41, v14, v36 dst_sel:DWORD dst_unused:UNUSED_PAD src0_sel:DWORD src1_sel:WORD_1
	v_perm_b32 v48, s15, v15, v40
	v_perm_b32 v40, s16, v16, v40
	v_or_b32_e32 v29, 0x3020100, v29
	v_and_b32_e32 v39, 0x4040404, v39
	v_perm_b32 v26, v47, v52, v33
	v_dot4c_i32_i8_e32 v30, v28, v21
	v_bfe_u32 v17, v17, v13, 4
	v_lshlrev_b32_e32 v41, 4, v41
	v_perm_b32 v53, s15, v15, v49
	v_perm_b32 v49, s16, v16, v49
	;; [unrolled: 1-line block ×3, first 2 shown]
	v_or_b32_e32 v34, 0x3020100, v39
	v_dot4c_i32_i8_e32 v30, v26, v25
	v_and_or_b32 v17, v41, 48, v17
	v_perm_b32 v32, v49, v53, v34
	v_dot4c_i32_i8_e32 v30, v29, v22
	v_subrev_u32_e32 v17, 32, v17
	s_waitcnt vmcnt(0)
	v_dot4c_i32_i8_e32 v30, v32, v37
	v_cvt_f32_f16_e32 v36, v36
	v_mul_f32_e32 v18, v36, v18
	s_nop 0
	v_mul_lo_u32 v17, v17, v30
	v_cvt_f32_i32_e32 v17, v17
	v_fmac_f32_e32 v12, v18, v17
	s_andn2_b64 exec, exec, s[8:9]
	s_cbranch_execnz .LBB244_9
; %bb.10:
	s_or_b64 exec, exec, s[8:9]
.LBB244_11:
	s_or_b64 exec, exec, s[6:7]
	v_cmp_eq_u32_e32 vcc, 0, v10
	v_cmp_ne_u32_e64 s[6:7], 0, v10
	s_waitcnt lgkmcnt(0)
	s_and_saveexec_b64 s[8:9], s[6:7]
	s_cbranch_execz .LBB244_13
; %bb.12:
	v_lshlrev_b32_e32 v0, 8, v10
	s_movk_i32 s3, 0xff00
	v_add3_u32 v0, v0, v9, s3
	ds_write_b32 v0, v12
.LBB244_13:
	s_or_b64 exec, exec, s[8:9]
	s_waitcnt lgkmcnt(0)
	s_barrier
	s_and_saveexec_b64 s[6:7], vcc
	s_cbranch_execz .LBB244_16
; %bb.14:
	v_mbcnt_lo_u32_b32 v1, -1, 0
	ds_read_b32 v0, v9
	v_mbcnt_hi_u32_b32 v1, -1, v1
	v_and_b32_e32 v2, 64, v1
	v_add_u32_e32 v2, 64, v2
	v_xor_b32_e32 v3, 32, v1
	v_cmp_lt_i32_e32 vcc, v3, v2
	s_waitcnt lgkmcnt(0)
	v_add_f32_e32 v0, v12, v0
	s_mov_b32 s3, 0
	v_cndmask_b32_e32 v3, v1, v3, vcc
	v_lshlrev_b32_e32 v3, 2, v3
	ds_bpermute_b32 v3, v3, v0
	s_waitcnt lgkmcnt(0)
	v_add_f32_e32 v0, v0, v3
	v_xor_b32_e32 v3, 16, v1
	v_cmp_lt_i32_e32 vcc, v3, v2
	s_nop 1
	v_cndmask_b32_e32 v3, v1, v3, vcc
	v_lshlrev_b32_e32 v3, 2, v3
	ds_bpermute_b32 v3, v3, v0
	s_waitcnt lgkmcnt(0)
	v_add_f32_e32 v0, v0, v3
	v_xor_b32_e32 v3, 8, v1
	v_cmp_lt_i32_e32 vcc, v3, v2
	s_nop 1
	;; [unrolled: 8-line block ×5, first 2 shown]
	v_cndmask_b32_e32 v1, v1, v3, vcc
	v_lshlrev_b32_e32 v1, 2, v1
	ds_bpermute_b32 v1, v1, v0
	v_cmp_eq_u32_e32 vcc, 0, v8
	s_and_b64 exec, exec, vcc
	s_cbranch_execz .LBB244_16
; %bb.15:
	s_load_dwordx2 s[0:1], s[0:1], 0x38
	s_mul_i32 s5, s20, s10
	s_mul_i32 s4, s4, s14
	s_add_i32 s2, s5, s2
	s_add_i32 s2, s2, s4
	s_lshl_b64 s[2:3], s[2:3], 2
	s_waitcnt lgkmcnt(0)
	s_add_u32 s0, s0, s2
	s_addc_u32 s1, s1, s3
	v_mov_b32_e32 v2, 0
	v_add_f32_e32 v0, v0, v1
	global_store_dword v2, v0, s[0:1]
.LBB244_16:
	s_endpgm
	.section	.rodata,"a",@progbits
	.p2align	6, 0x0
	.amdhsa_kernel _ZL13mul_mat_vec_qIL9ggml_type23ELi1ELb0ELb0EEvPKvS2_PKi31ggml_cuda_mm_fusion_args_devicePfj15HIP_vector_typeIjLj3EEjjjS8_jjjS8_jjjj
		.amdhsa_group_segment_fixed_size 256
		.amdhsa_private_segment_fixed_size 0
		.amdhsa_kernarg_size 144
		.amdhsa_user_sgpr_count 2
		.amdhsa_user_sgpr_dispatch_ptr 0
		.amdhsa_user_sgpr_queue_ptr 0
		.amdhsa_user_sgpr_kernarg_segment_ptr 1
		.amdhsa_user_sgpr_dispatch_id 0
		.amdhsa_user_sgpr_kernarg_preload_length 0
		.amdhsa_user_sgpr_kernarg_preload_offset 0
		.amdhsa_user_sgpr_private_segment_size 0
		.amdhsa_uses_dynamic_stack 0
		.amdhsa_enable_private_segment 0
		.amdhsa_system_sgpr_workgroup_id_x 1
		.amdhsa_system_sgpr_workgroup_id_y 1
		.amdhsa_system_sgpr_workgroup_id_z 1
		.amdhsa_system_sgpr_workgroup_info 0
		.amdhsa_system_vgpr_workitem_id 1
		.amdhsa_next_free_vgpr 54
		.amdhsa_next_free_sgpr 28
		.amdhsa_accum_offset 56
		.amdhsa_reserve_vcc 1
		.amdhsa_float_round_mode_32 0
		.amdhsa_float_round_mode_16_64 0
		.amdhsa_float_denorm_mode_32 3
		.amdhsa_float_denorm_mode_16_64 3
		.amdhsa_dx10_clamp 1
		.amdhsa_ieee_mode 1
		.amdhsa_fp16_overflow 0
		.amdhsa_tg_split 0
		.amdhsa_exception_fp_ieee_invalid_op 0
		.amdhsa_exception_fp_denorm_src 0
		.amdhsa_exception_fp_ieee_div_zero 0
		.amdhsa_exception_fp_ieee_overflow 0
		.amdhsa_exception_fp_ieee_underflow 0
		.amdhsa_exception_fp_ieee_inexact 0
		.amdhsa_exception_int_div_zero 0
	.end_amdhsa_kernel
	.section	.text._ZL13mul_mat_vec_qIL9ggml_type23ELi1ELb0ELb0EEvPKvS2_PKi31ggml_cuda_mm_fusion_args_devicePfj15HIP_vector_typeIjLj3EEjjjS8_jjjS8_jjjj,"axG",@progbits,_ZL13mul_mat_vec_qIL9ggml_type23ELi1ELb0ELb0EEvPKvS2_PKi31ggml_cuda_mm_fusion_args_devicePfj15HIP_vector_typeIjLj3EEjjjS8_jjjS8_jjjj,comdat
.Lfunc_end244:
	.size	_ZL13mul_mat_vec_qIL9ggml_type23ELi1ELb0ELb0EEvPKvS2_PKi31ggml_cuda_mm_fusion_args_devicePfj15HIP_vector_typeIjLj3EEjjjS8_jjjS8_jjjj, .Lfunc_end244-_ZL13mul_mat_vec_qIL9ggml_type23ELi1ELb0ELb0EEvPKvS2_PKi31ggml_cuda_mm_fusion_args_devicePfj15HIP_vector_typeIjLj3EEjjjS8_jjjS8_jjjj
                                        ; -- End function
	.section	.AMDGPU.csdata,"",@progbits
; Kernel info:
; codeLenInByte = 1504
; NumSgprs: 34
; NumVgprs: 54
; NumAgprs: 0
; TotalNumVgprs: 54
; ScratchSize: 0
; MemoryBound: 0
; FloatMode: 240
; IeeeMode: 1
; LDSByteSize: 256 bytes/workgroup (compile time only)
; SGPRBlocks: 4
; VGPRBlocks: 6
; NumSGPRsForWavesPerEU: 34
; NumVGPRsForWavesPerEU: 54
; AccumOffset: 56
; Occupancy: 8
; WaveLimiterHint : 0
; COMPUTE_PGM_RSRC2:SCRATCH_EN: 0
; COMPUTE_PGM_RSRC2:USER_SGPR: 2
; COMPUTE_PGM_RSRC2:TRAP_HANDLER: 0
; COMPUTE_PGM_RSRC2:TGID_X_EN: 1
; COMPUTE_PGM_RSRC2:TGID_Y_EN: 1
; COMPUTE_PGM_RSRC2:TGID_Z_EN: 1
; COMPUTE_PGM_RSRC2:TIDIG_COMP_CNT: 1
; COMPUTE_PGM_RSRC3_GFX90A:ACCUM_OFFSET: 13
; COMPUTE_PGM_RSRC3_GFX90A:TG_SPLIT: 0
	.section	.text._ZL13mul_mat_vec_qIL9ggml_type23ELi2ELb0ELb0EEvPKvS2_PKi31ggml_cuda_mm_fusion_args_devicePfj15HIP_vector_typeIjLj3EEjjjS8_jjjS8_jjjj,"axG",@progbits,_ZL13mul_mat_vec_qIL9ggml_type23ELi2ELb0ELb0EEvPKvS2_PKi31ggml_cuda_mm_fusion_args_devicePfj15HIP_vector_typeIjLj3EEjjjS8_jjjS8_jjjj,comdat
	.globl	_ZL13mul_mat_vec_qIL9ggml_type23ELi2ELb0ELb0EEvPKvS2_PKi31ggml_cuda_mm_fusion_args_devicePfj15HIP_vector_typeIjLj3EEjjjS8_jjjS8_jjjj ; -- Begin function _ZL13mul_mat_vec_qIL9ggml_type23ELi2ELb0ELb0EEvPKvS2_PKi31ggml_cuda_mm_fusion_args_devicePfj15HIP_vector_typeIjLj3EEjjjS8_jjjS8_jjjj
	.p2align	8
	.type	_ZL13mul_mat_vec_qIL9ggml_type23ELi2ELb0ELb0EEvPKvS2_PKi31ggml_cuda_mm_fusion_args_devicePfj15HIP_vector_typeIjLj3EEjjjS8_jjjS8_jjjj,@function
_ZL13mul_mat_vec_qIL9ggml_type23ELi2ELb0ELb0EEvPKvS2_PKi31ggml_cuda_mm_fusion_args_devicePfj15HIP_vector_typeIjLj3EEjjjS8_jjjS8_jjjj: ; @_ZL13mul_mat_vec_qIL9ggml_type23ELi2ELb0ELb0EEvPKvS2_PKi31ggml_cuda_mm_fusion_args_devicePfj15HIP_vector_typeIjLj3EEjjjS8_jjjS8_jjjj
; %bb.0:
	s_load_dwordx2 s[20:21], s[0:1], 0x4
	s_load_dword s7, s[2:3], 0x40
	s_load_dwordx4 s[8:11], s[2:3], 0x50
	s_load_dword s27, s[2:3], 0x60
	s_load_dwordx4 s[12:15], s[2:3], 0x68
	;; [unrolled: 2-line block ×3, first 2 shown]
	s_waitcnt lgkmcnt(0)
	s_lshr_b32 s0, s20, 16
	v_bfe_u32 v24, v0, 10, 10
	v_and_b32_e32 v9, 0x3ff, v0
	s_mul_i32 s0, s0, s21
	v_mul_u32_u24_e32 v1, s21, v24
	v_mad_u32_u24 v1, s0, v9, v1
	v_bfe_u32 v0, v0, 20, 10
	v_lshl_add_u32 v5, v24, 6, v9
	v_add_lshl_u32 v4, v1, v0, 4
	s_lshr_b32 s7, s7, 8
	v_mov_b32_e32 v0, 0
	v_lshrrev_b32_e32 v25, 3, v5
	v_add_u32_e32 v15, 0x400, v4
	s_lshl_b32 s4, s4, 1
	v_mov_b32_e32 v1, v0
	v_mov_b32_e32 v2, v0
	;; [unrolled: 1-line block ×3, first 2 shown]
	v_cmp_gt_u32_e32 vcc, s7, v25
	v_lshlrev_b32_e32 v17, 2, v9
	v_mov_b32_e32 v13, v0
	v_mov_b32_e32 v12, v0
	ds_write_b128 v4, v[0:3] offset:1024
	s_and_saveexec_b64 s[0:1], vcc
	s_cbranch_execz .LBB245_4
; %bb.1:
	s_load_dwordx4 s[20:23], s[2:3], 0x0
	s_mul_i32 s17, s6, s17
	s_mul_i32 s24, s17, 36
	;; [unrolled: 1-line block ×3, first 2 shown]
	s_mul_hi_u32 s19, s17, 36
	s_waitcnt lgkmcnt(0)
	s_add_u32 s24, s22, s24
	s_addc_u32 s19, s23, s19
	s_mul_i32 s28, s13, 36
	s_mul_hi_u32 s29, s13, 36
	s_add_u32 s24, s24, s28
	s_mul_hi_u32 s11, s11, s5
	s_addc_u32 s25, s19, s29
	s_add_i32 s11, s5, s11
	s_lshr_b32 s11, s11, s27
	s_mul_i32 s11, s11, s12
	s_mul_hi_u32 s12, s15, s6
	s_add_i32 s12, s6, s12
	s_lshr_b32 s12, s12, s26
	s_mul_i32 s12, s12, s16
	s_add_i32 s15, s12, s11
	s_add_i32 s12, s4, 1
	s_mul_i32 s13, s4, s8
	s_mul_i32 s8, s8, s12
	s_add_i32 s11, s15, s13
	s_add_i32 s15, s15, s8
	s_movk_i32 s8, 0x120
	v_mov_b64_e32 v[4:5], s[28:29]
	v_lshl_add_u32 v26, v25, 3, s9
	v_mad_u64_u32 v[4:5], s[8:9], v25, s8, v[4:5]
	v_and_b32_e32 v8, 7, v9
	v_mad_u64_u32 v[4:5], s[8:9], s17, 36, v[4:5]
	v_and_b32_e32 v0, 28, v17
	v_mad_u64_u32 v[4:5], s[8:9], v8, 36, v[4:5]
	v_mov_b32_e32 v11, 0
	v_and_b32_e32 v14, 4, v17
	v_lshrrev_b32_e32 v16, 1, v0
	v_lshl_add_u64 v[4:5], v[4:5], 0, s[22:23]
	v_bfe_u32 v10, v17, 3, 2
	v_mov_b32_e32 v1, v14
	v_mov_b32_e32 v3, v16
	v_lshl_add_u64 v[18:19], v[4:5], 0, 16
	s_mov_b64 s[8:9], 0
	s_movk_i32 s16, 0x88
	v_mov_b64_e32 v[20:21], s[20:21]
	v_lshlrev_b32_e32 v22, 2, v0
	v_mov_b32_e32 v23, v11
	s_mov_b32 s17, 0xf6eaddcf
	v_mov_b32_e32 v27, 0xbfad9881
	s_mov_b32 s19, 0x71594535
	v_mov_b32_e32 v28, 0x26190d01
	s_mov_b64 s[12:13], 0x1200
	v_mov_b32_e32 v0, v11
	v_mov_b32_e32 v2, v11
	;; [unrolled: 1-line block ×4, first 2 shown]
.LBB245_2:                              ; =>This Inner Loop Header: Depth=1
	v_add_u32_e32 v29, s11, v25
	v_add_u32_e32 v30, s15, v25
	v_mad_i64_i32 v[38:39], s[20:21], v29, s16, v[20:21]
	v_mad_i64_i32 v[40:41], s[20:21], v30, s16, v[20:21]
	v_lshl_add_u64 v[42:43], v[38:39], 0, v[22:23]
	global_load_dwordx4 v[4:7], v[18:19], off offset:-16
	v_lshl_add_u64 v[44:45], v[38:39], 0, v[10:11]
	v_lshl_add_u64 v[46:47], v[40:41], 0, v[22:23]
	;; [unrolled: 1-line block ×3, first 2 shown]
	global_load_dwordx4 v[30:33], v[42:43], off offset:8
	global_load_dwordx4 v[34:37], v[46:47], off offset:8
	global_load_ubyte v29, v[44:45], off offset:4
	global_load_dword v50, v[40:41], off
	global_load_dword v51, v[38:39], off
	global_load_ubyte v52, v[48:49], off offset:4
	v_mov_b32_e32 v58, 0
	v_mov_b32_e32 v59, 0
	v_add_u32_e32 v25, 16, v25
	v_cmp_le_u32_e32 vcc, s7, v25
	s_or_b64 s[8:9], vcc, s[8:9]
	s_waitcnt vmcnt(5)
	v_ashrrev_i32_e32 v38, 4, v30
	v_and_b32_e32 v39, 0x7070707, v30
	v_lshrrev_b32_e32 v30, 1, v30
	v_ashrrev_i32_e32 v40, 4, v31
	v_and_b32_e32 v41, 0x7070707, v31
	v_lshrrev_b32_e32 v31, 1, v31
	v_and_b32_e32 v30, 0x4040404, v30
	v_lshrrev_b32_e32 v43, 1, v32
	v_perm_b32 v46, s17, v27, v39
	v_perm_b32 v39, s19, v28, v39
	v_or_b32_e32 v30, 0x3020100, v30
	v_and_b32_e32 v31, 0x4040404, v31
	v_and_b32_e32 v42, 0x7070707, v32
	s_waitcnt vmcnt(4)
	v_ashrrev_i32_e32 v44, 4, v34
	v_and_b32_e32 v45, 0x7070707, v34
	v_lshrrev_b32_e32 v34, 1, v34
	v_perm_b32 v46, v39, v46, v30
	v_perm_b32 v39, s17, v27, v41
	;; [unrolled: 1-line block ×3, first 2 shown]
	v_or_b32_e32 v31, 0x3020100, v31
	v_and_b32_e32 v43, 0x4040404, v43
	v_ashrrev_i32_e32 v30, 4, v35
	v_perm_b32 v31, v41, v39, v31
	v_and_b32_e32 v39, 0x7070707, v35
	v_perm_b32 v41, s17, v27, v42
	v_perm_b32 v42, s19, v28, v42
	v_or_b32_e32 v43, 0x3020100, v43
	v_lshrrev_b32_e32 v35, 1, v35
	v_and_b32_e32 v34, 0x4040404, v34
	v_perm_b32 v47, v42, v41, v43
	v_perm_b32 v41, s17, v27, v45
	v_perm_b32 v42, s19, v28, v45
	v_or_b32_e32 v34, 0x3020100, v34
	v_and_b32_e32 v35, 0x4040404, v35
	v_perm_b32 v48, v42, v41, v34
	v_perm_b32 v41, s17, v27, v39
	;; [unrolled: 1-line block ×3, first 2 shown]
	v_or_b32_e32 v35, 0x3020100, v35
	v_perm_b32 v49, v39, v41, v35
	v_lshrrev_b32_e32 v35, 1, v36
	v_and_b32_e32 v34, 0x7070707, v36
	v_and_b32_e32 v35, 0x4040404, v35
	v_perm_b32 v39, s17, v27, v34
	v_perm_b32 v34, s19, v28, v34
	v_or_b32_e32 v35, 0x3020100, v35
	v_perm_b32 v53, v34, v39, v35
	v_lshrrev_b32_e32 v35, 1, v38
	v_and_b32_e32 v34, 0x7070707, v38
	v_and_b32_e32 v35, 0x4040404, v35
	v_perm_b32 v38, s17, v27, v34
	v_perm_b32 v34, s19, v28, v34
	;; [unrolled: 7-line block ×4, first 2 shown]
	v_or_b32_e32 v35, 0x3020100, v35
	v_perm_b32 v56, v34, v38, v35
	global_load_dwordx4 v[38:41], v[18:19], off
	v_and_b32_e32 v34, 0x7070707, v30
	v_lshrrev_b32_e32 v30, 1, v30
	v_and_b32_e32 v30, 0x4040404, v30
	v_dot4c_i32_i8_e32 v58, v46, v5
	v_dot4c_i32_i8_e32 v59, v48, v5
	v_perm_b32 v35, s17, v27, v34
	v_perm_b32 v34, s19, v28, v34
	v_or_b32_e32 v30, 0x3020100, v30
	v_perm_b32 v57, v34, v35, v30
	v_cvt_f32_f16_e32 v30, v4
	v_mad_u64_u32 v[4:5], s[20:21], v26, 36, s[24:25]
	v_mad_u64_u32 v[34:35], s[20:21], v8, 36, v[4:5]
	v_add_u32_e32 v26, 0x80, v26
	s_waitcnt vmcnt(0)
	v_dot4c_i32_i8_e32 v58, v54, v39
	v_dot4c_i32_i8_e32 v59, v56, v39
	;; [unrolled: 1-line block ×8, first 2 shown]
	global_load_dwordx4 v[4:7], v[34:35], off
	global_load_dwordx4 v[42:45], v[34:35], off offset:16
	v_mov_b32_e32 v39, 0
	v_mov_b32_e32 v40, 0
	global_load_dword v34, v[34:35], off offset:32
	s_waitcnt vmcnt(2)
	v_dot4c_i32_i8_e32 v39, v46, v5
	v_dot4c_i32_i8_e32 v40, v48, v5
	s_waitcnt vmcnt(1)
	v_dot4c_i32_i8_e32 v39, v54, v43
	v_dot4c_i32_i8_e32 v40, v56, v43
	;; [unrolled: 1-line block ×4, first 2 shown]
	v_lshrrev_b32_sdwa v46, v16, v50 dst_sel:DWORD dst_unused:UNUSED_PAD src0_sel:DWORD src1_sel:WORD_1
	v_dot4c_i32_i8_e32 v39, v55, v44
	v_dot4c_i32_i8_e32 v40, v57, v44
	v_bfe_u32 v44, v52, v14, 4
	v_lshlrev_b32_e32 v46, 4, v46
	v_and_or_b32 v44, v46, 48, v44
	global_load_dword v46, v[18:19], off offset:16
	v_dot4c_i32_i8_e32 v39, v47, v7
	v_dot4c_i32_i8_e32 v40, v53, v7
	v_lshrrev_b32_e32 v7, 1, v33
	v_cvt_f32_f16_e32 v31, v4
	v_ashrrev_i32_e32 v4, 4, v32
	v_ashrrev_i32_e32 v5, 4, v33
	v_and_b32_e32 v6, 0x7070707, v33
	v_ashrrev_i32_e32 v32, 4, v36
	v_ashrrev_i32_e32 v33, 4, v37
	v_and_b32_e32 v36, 0x7070707, v37
	v_lshrrev_b32_e32 v37, 1, v37
	v_and_b32_e32 v7, 0x4040404, v7
	v_perm_b32 v35, s17, v27, v6
	v_perm_b32 v6, s19, v28, v6
	v_or_b32_e32 v7, 0x3020100, v7
	v_and_b32_e32 v37, 0x4040404, v37
	v_perm_b32 v35, v6, v35, v7
	v_perm_b32 v7, s17, v27, v36
	;; [unrolled: 1-line block ×3, first 2 shown]
	v_or_b32_e32 v37, 0x3020100, v37
	v_perm_b32 v36, v36, v7, v37
	v_and_b32_e32 v7, 0x7070707, v4
	v_lshrrev_b32_e32 v4, 1, v4
	v_and_b32_e32 v4, 0x4040404, v4
	v_perm_b32 v37, s17, v27, v7
	v_perm_b32 v7, s19, v28, v7
	v_or_b32_e32 v4, 0x3020100, v4
	v_perm_b32 v37, v7, v37, v4
	v_and_b32_e32 v4, 0x7070707, v5
	v_lshrrev_b32_e32 v5, 1, v5
	v_and_b32_e32 v5, 0x4040404, v5
	v_perm_b32 v7, s17, v27, v4
	v_perm_b32 v4, s19, v28, v4
	v_or_b32_e32 v5, 0x3020100, v5
	v_perm_b32 v43, v4, v7, v5
	v_lshrrev_b32_e32 v5, 1, v32
	v_and_b32_e32 v4, 0x7070707, v32
	v_and_b32_e32 v5, 0x4040404, v5
	v_perm_b32 v7, s17, v27, v4
	v_perm_b32 v4, s19, v28, v4
	v_or_b32_e32 v5, 0x3020100, v5
	v_perm_b32 v32, v4, v7, v5
	v_lshrrev_b32_e32 v5, 1, v33
	v_and_b32_e32 v4, 0x7070707, v33
	v_and_b32_e32 v5, 0x4040404, v5
	v_perm_b32 v7, s17, v27, v4
	v_perm_b32 v4, s19, v28, v4
	v_or_b32_e32 v5, 0x3020100, v5
	v_perm_b32 v33, v4, v7, v5
	v_lshrrev_b32_sdwa v4, v16, v51 dst_sel:DWORD dst_unused:UNUSED_PAD src0_sel:DWORD src1_sel:WORD_1
	v_bfe_u32 v6, v29, v14, 4
	v_lshlrev_b32_e32 v4, 4, v4
	v_and_or_b32 v6, v4, 48, v6
	v_lshrrev_b32_sdwa v4, v3, v51 dst_sel:DWORD dst_unused:UNUSED_PAD src0_sel:DWORD src1_sel:WORD_1
	v_bfe_u32 v7, v29, v1, 4
	v_lshlrev_b32_e32 v4, 4, v4
	v_and_or_b32 v7, v4, 48, v7
	;; [unrolled: 4-line block ×3, first 2 shown]
	v_cvt_f32_f16_e32 v5, v51
	v_cvt_f32_f16_e32 v4, v50
	v_dot4c_i32_i8_e32 v58, v37, v41
	v_dot4c_i32_i8_e32 v59, v32, v41
	;; [unrolled: 1-line block ×8, first 2 shown]
	v_subrev_u32_e32 v47, 32, v6
	v_subrev_u32_e32 v48, 32, v7
	;; [unrolled: 1-line block ×4, first 2 shown]
	s_waitcnt vmcnt(1)
	v_dot4c_i32_i8_e32 v39, v43, v34
	v_dot4c_i32_i8_e32 v40, v33, v34
	v_mul_f32_e32 v38, v30, v5
	v_pk_mul_f32 v[6:7], v[4:5], v[30:31]
	s_waitcnt vmcnt(0)
	v_dot4c_i32_i8_e32 v58, v43, v46
	v_dot4c_i32_i8_e32 v59, v33, v46
	v_mul_lo_u32 v30, v48, v39
	v_mul_lo_u32 v34, v44, v40
	;; [unrolled: 1-line block ×4, first 2 shown]
	v_cvt_f32_i32_e32 v5, v5
	v_cvt_f32_i32_e32 v33, v30
	;; [unrolled: 1-line block ×4, first 2 shown]
	v_mul_f32_e32 v4, v31, v4
	v_lshl_add_u64 v[18:19], v[18:19], 0, s[12:13]
	v_fmac_f32_e32 v2, v38, v5
	v_pk_fma_f32 v[12:13], v[6:7], v[32:33], v[12:13]
	v_fmac_f32_e32 v0, v4, v29
	s_andn2_b64 exec, exec, s[8:9]
	s_cbranch_execnz .LBB245_2
; %bb.3:
	s_or_b64 exec, exec, s[8:9]
	v_mov_b32_e32 v3, v12
	v_mov_b32_e32 v4, v13
	;; [unrolled: 1-line block ×3, first 2 shown]
	ds_write_b128 v15, v[2:5]
.LBB245_4:
	s_or_b64 exec, exec, s[0:1]
	v_cmp_eq_u32_e32 vcc, 0, v24
	v_cmp_ne_u32_e64 s[0:1], 0, v24
	s_and_saveexec_b64 s[8:9], s[0:1]
	s_cbranch_execz .LBB245_6
; %bb.5:
	v_lshl_or_b32 v1, v24, 10, v17
	v_add_u32_e32 v1, 0xfffffc00, v1
	ds_write2st64_b32 v1, v2, v12 offset1:1
	ds_write2st64_b32 v1, v13, v0 offset0:2 offset1:3
.LBB245_6:
	s_or_b64 exec, exec, s[8:9]
	s_waitcnt lgkmcnt(0)
	s_barrier
	s_and_saveexec_b64 s[0:1], vcc
	s_cbranch_execz .LBB245_11
; %bb.7:
	v_mbcnt_lo_u32_b32 v0, -1, 0
	v_mbcnt_hi_u32_b32 v8, -1, v0
	ds_read2st64_b32 v[2:3], v17 offset1:1
	ds_read_b64 v[4:5], v15
	v_and_b32_e32 v0, 64, v8
	v_add_u32_e32 v12, 64, v0
	v_xor_b32_e32 v0, 32, v8
	v_cmp_lt_i32_e32 vcc, v0, v12
	s_waitcnt lgkmcnt(0)
	v_pk_add_f32 v[2:3], v[2:3], v[4:5]
	v_xor_b32_e32 v1, 16, v8
	v_cndmask_b32_e32 v0, v8, v0, vcc
	v_lshlrev_b32_e32 v0, 2, v0
	ds_bpermute_b32 v4, v0, v2
	ds_bpermute_b32 v5, v0, v3
	v_cmp_lt_i32_e32 vcc, v1, v12
	s_load_dwordx2 s[0:1], s[2:3], 0x38
	s_mul_i32 s2, s5, s14
	v_cndmask_b32_e32 v1, v8, v1, vcc
	v_lshlrev_b32_e32 v1, 2, v1
	s_waitcnt lgkmcnt(0)
	v_pk_add_f32 v[4:5], v[2:3], v[4:5]
	ds_bpermute_b32 v6, v1, v4
	ds_bpermute_b32 v7, v1, v5
	v_xor_b32_e32 v2, 8, v8
	v_cmp_lt_i32_e32 vcc, v2, v12
	v_xor_b32_e32 v3, 4, v8
	s_mul_i32 s6, s6, s18
	v_cndmask_b32_e32 v2, v8, v2, vcc
	v_lshlrev_b32_e32 v2, 2, v2
	s_waitcnt lgkmcnt(0)
	v_pk_add_f32 v[4:5], v[4:5], v[6:7]
	ds_bpermute_b32 v6, v2, v4
	ds_bpermute_b32 v7, v2, v5
	v_cmp_lt_i32_e32 vcc, v3, v12
	s_add_i32 s2, s2, s4
	s_add_i32 s2, s2, s6
	v_cndmask_b32_e32 v3, v8, v3, vcc
	v_lshlrev_b32_e32 v3, 2, v3
	s_waitcnt lgkmcnt(0)
	v_pk_add_f32 v[6:7], v[4:5], v[6:7]
	ds_bpermute_b32 v10, v3, v6
	ds_bpermute_b32 v11, v3, v7
	v_xor_b32_e32 v4, 2, v8
	v_cmp_lt_i32_e32 vcc, v4, v12
	v_xor_b32_e32 v5, 1, v8
	s_mov_b32 s3, 0
	v_cndmask_b32_e32 v4, v8, v4, vcc
	v_lshlrev_b32_e32 v4, 2, v4
	s_waitcnt lgkmcnt(0)
	v_pk_add_f32 v[6:7], v[6:7], v[10:11]
	ds_bpermute_b32 v10, v4, v6
	ds_bpermute_b32 v11, v4, v7
	v_cmp_lt_i32_e32 vcc, v5, v12
	s_lshl_b64 s[2:3], s[2:3], 2
	s_add_u32 s2, s0, s2
	v_cndmask_b32_e32 v5, v8, v5, vcc
	v_lshlrev_b32_e32 v5, 2, v5
	s_waitcnt lgkmcnt(0)
	v_pk_add_f32 v[6:7], v[6:7], v[10:11]
	ds_bpermute_b32 v10, v5, v6
	ds_bpermute_b32 v11, v5, v7
	v_or_b32_e32 v8, s4, v9
	s_addc_u32 s3, s1, s3
	v_cmp_gt_u32_e32 vcc, 2, v9
	v_cmp_gt_u32_e64 s[0:1], s10, v8
	s_and_b64 s[0:1], vcc, s[0:1]
	s_waitcnt lgkmcnt(0)
	v_pk_add_f32 v[6:7], v[6:7], v[10:11]
	ds_write_b64 v15, v[6:7]
	s_and_saveexec_b64 s[4:5], s[0:1]
	s_cbranch_execz .LBB245_9
; %bb.8:
	v_add_u32_e32 v6, v15, v17
	ds_read_b32 v6, v6
	s_waitcnt lgkmcnt(0)
	global_store_dword v17, v6, s[2:3]
.LBB245_9:
	s_or_b64 exec, exec, s[4:5]
	ds_read2st64_b32 v[6:7], v17 offset0:2 offset1:3
	ds_read_b64 v[10:11], v15 offset:8
	s_waitcnt lgkmcnt(0)
	v_pk_add_f32 v[6:7], v[6:7], v[10:11]
	ds_bpermute_b32 v10, v0, v6
	ds_bpermute_b32 v11, v0, v7
	s_waitcnt lgkmcnt(0)
	v_pk_add_f32 v[6:7], v[6:7], v[10:11]
	ds_bpermute_b32 v0, v1, v6
	ds_bpermute_b32 v1, v1, v7
	;; [unrolled: 4-line block ×6, first 2 shown]
	s_waitcnt lgkmcnt(0)
	v_pk_add_f32 v[0:1], v[0:1], v[2:3]
	ds_write_b64 v15, v[0:1] offset:8
	s_and_b64 exec, exec, s[0:1]
	s_cbranch_execz .LBB245_11
; %bb.10:
	v_lshl_add_u32 v0, v9, 2, v15
	ds_read_b32 v2, v0 offset:8
	v_add_u32_e32 v0, s10, v9
	v_mov_b32_e32 v1, 0
	v_lshl_add_u64 v[0:1], v[0:1], 2, s[2:3]
	s_waitcnt lgkmcnt(0)
	global_store_dword v[0:1], v2, off
.LBB245_11:
	s_endpgm
	.section	.rodata,"a",@progbits
	.p2align	6, 0x0
	.amdhsa_kernel _ZL13mul_mat_vec_qIL9ggml_type23ELi2ELb0ELb0EEvPKvS2_PKi31ggml_cuda_mm_fusion_args_devicePfj15HIP_vector_typeIjLj3EEjjjS8_jjjS8_jjjj
		.amdhsa_group_segment_fixed_size 3072
		.amdhsa_private_segment_fixed_size 0
		.amdhsa_kernarg_size 144
		.amdhsa_user_sgpr_count 4
		.amdhsa_user_sgpr_dispatch_ptr 1
		.amdhsa_user_sgpr_queue_ptr 0
		.amdhsa_user_sgpr_kernarg_segment_ptr 1
		.amdhsa_user_sgpr_dispatch_id 0
		.amdhsa_user_sgpr_kernarg_preload_length 0
		.amdhsa_user_sgpr_kernarg_preload_offset 0
		.amdhsa_user_sgpr_private_segment_size 0
		.amdhsa_uses_dynamic_stack 0
		.amdhsa_enable_private_segment 0
		.amdhsa_system_sgpr_workgroup_id_x 1
		.amdhsa_system_sgpr_workgroup_id_y 1
		.amdhsa_system_sgpr_workgroup_id_z 1
		.amdhsa_system_sgpr_workgroup_info 0
		.amdhsa_system_vgpr_workitem_id 2
		.amdhsa_next_free_vgpr 60
		.amdhsa_next_free_sgpr 30
		.amdhsa_accum_offset 60
		.amdhsa_reserve_vcc 1
		.amdhsa_float_round_mode_32 0
		.amdhsa_float_round_mode_16_64 0
		.amdhsa_float_denorm_mode_32 3
		.amdhsa_float_denorm_mode_16_64 3
		.amdhsa_dx10_clamp 1
		.amdhsa_ieee_mode 1
		.amdhsa_fp16_overflow 0
		.amdhsa_tg_split 0
		.amdhsa_exception_fp_ieee_invalid_op 0
		.amdhsa_exception_fp_denorm_src 0
		.amdhsa_exception_fp_ieee_div_zero 0
		.amdhsa_exception_fp_ieee_overflow 0
		.amdhsa_exception_fp_ieee_underflow 0
		.amdhsa_exception_fp_ieee_inexact 0
		.amdhsa_exception_int_div_zero 0
	.end_amdhsa_kernel
	.section	.text._ZL13mul_mat_vec_qIL9ggml_type23ELi2ELb0ELb0EEvPKvS2_PKi31ggml_cuda_mm_fusion_args_devicePfj15HIP_vector_typeIjLj3EEjjjS8_jjjS8_jjjj,"axG",@progbits,_ZL13mul_mat_vec_qIL9ggml_type23ELi2ELb0ELb0EEvPKvS2_PKi31ggml_cuda_mm_fusion_args_devicePfj15HIP_vector_typeIjLj3EEjjjS8_jjjS8_jjjj,comdat
.Lfunc_end245:
	.size	_ZL13mul_mat_vec_qIL9ggml_type23ELi2ELb0ELb0EEvPKvS2_PKi31ggml_cuda_mm_fusion_args_devicePfj15HIP_vector_typeIjLj3EEjjjS8_jjjS8_jjjj, .Lfunc_end245-_ZL13mul_mat_vec_qIL9ggml_type23ELi2ELb0ELb0EEvPKvS2_PKi31ggml_cuda_mm_fusion_args_devicePfj15HIP_vector_typeIjLj3EEjjjS8_jjjS8_jjjj
                                        ; -- End function
	.section	.AMDGPU.csdata,"",@progbits
; Kernel info:
; codeLenInByte = 2708
; NumSgprs: 36
; NumVgprs: 60
; NumAgprs: 0
; TotalNumVgprs: 60
; ScratchSize: 0
; MemoryBound: 0
; FloatMode: 240
; IeeeMode: 1
; LDSByteSize: 3072 bytes/workgroup (compile time only)
; SGPRBlocks: 4
; VGPRBlocks: 7
; NumSGPRsForWavesPerEU: 36
; NumVGPRsForWavesPerEU: 60
; AccumOffset: 60
; Occupancy: 8
; WaveLimiterHint : 0
; COMPUTE_PGM_RSRC2:SCRATCH_EN: 0
; COMPUTE_PGM_RSRC2:USER_SGPR: 4
; COMPUTE_PGM_RSRC2:TRAP_HANDLER: 0
; COMPUTE_PGM_RSRC2:TGID_X_EN: 1
; COMPUTE_PGM_RSRC2:TGID_Y_EN: 1
; COMPUTE_PGM_RSRC2:TGID_Z_EN: 1
; COMPUTE_PGM_RSRC2:TIDIG_COMP_CNT: 2
; COMPUTE_PGM_RSRC3_GFX90A:ACCUM_OFFSET: 14
; COMPUTE_PGM_RSRC3_GFX90A:TG_SPLIT: 0
	.section	.text._ZL13mul_mat_vec_qIL9ggml_type23ELi3ELb0ELb0EEvPKvS2_PKi31ggml_cuda_mm_fusion_args_devicePfj15HIP_vector_typeIjLj3EEjjjS8_jjjS8_jjjj,"axG",@progbits,_ZL13mul_mat_vec_qIL9ggml_type23ELi3ELb0ELb0EEvPKvS2_PKi31ggml_cuda_mm_fusion_args_devicePfj15HIP_vector_typeIjLj3EEjjjS8_jjjS8_jjjj,comdat
	.globl	_ZL13mul_mat_vec_qIL9ggml_type23ELi3ELb0ELb0EEvPKvS2_PKi31ggml_cuda_mm_fusion_args_devicePfj15HIP_vector_typeIjLj3EEjjjS8_jjjS8_jjjj ; -- Begin function _ZL13mul_mat_vec_qIL9ggml_type23ELi3ELb0ELb0EEvPKvS2_PKi31ggml_cuda_mm_fusion_args_devicePfj15HIP_vector_typeIjLj3EEjjjS8_jjjS8_jjjj
	.p2align	8
	.type	_ZL13mul_mat_vec_qIL9ggml_type23ELi3ELb0ELb0EEvPKvS2_PKi31ggml_cuda_mm_fusion_args_devicePfj15HIP_vector_typeIjLj3EEjjjS8_jjjS8_jjjj,@function
_ZL13mul_mat_vec_qIL9ggml_type23ELi3ELb0ELb0EEvPKvS2_PKi31ggml_cuda_mm_fusion_args_devicePfj15HIP_vector_typeIjLj3EEjjjS8_jjjS8_jjjj: ; @_ZL13mul_mat_vec_qIL9ggml_type23ELi3ELb0ELb0EEvPKvS2_PKi31ggml_cuda_mm_fusion_args_devicePfj15HIP_vector_typeIjLj3EEjjjS8_jjjS8_jjjj
; %bb.0:
	v_bfe_u32 v29, v0, 10, 10
	v_and_b32_e32 v21, 0x3ff, v0
	v_lshl_add_u32 v4, v29, 6, v21
	s_load_dword s6, s[0:1], 0x40
	s_load_dwordx4 s[8:11], s[0:1], 0x50
	s_load_dword s27, s[0:1], 0x60
	s_load_dwordx4 s[12:15], s[0:1], 0x68
	;; [unrolled: 2-line block ×3, first 2 shown]
	s_lshl_b32 s5, s2, 1
	s_waitcnt lgkmcnt(0)
	s_lshr_b32 s2, s6, 8
	v_mov_b32_e32 v0, 0
	v_lshrrev_b32_e32 v30, 3, v4
	v_mov_b32_e32 v1, v0
	v_mov_b32_e32 v2, v0
	;; [unrolled: 1-line block ×3, first 2 shown]
	v_cmp_gt_u32_e32 vcc, s2, v30
	v_lshlrev_b32_e32 v28, 2, v21
	v_mov_b32_e32 v14, v0
	v_mov_b32_e32 v15, v0
	;; [unrolled: 1-line block ×3, first 2 shown]
	scratch_store_dwordx2 off, v[0:1], off offset:16
	scratch_store_dwordx4 off, v[0:3], off
	s_and_saveexec_b64 s[6:7], vcc
	s_cbranch_execz .LBB246_4
; %bb.1:
	s_load_dwordx4 s[20:23], s[0:1], 0x0
	s_mul_i32 s17, s4, s17
	s_mul_i32 s24, s17, 36
	;; [unrolled: 1-line block ×3, first 2 shown]
	s_mul_hi_u32 s19, s17, 36
	s_waitcnt lgkmcnt(0)
	s_add_u32 s24, s22, s24
	s_addc_u32 s19, s23, s19
	s_mul_i32 s28, s13, 36
	s_mul_hi_u32 s29, s13, 36
	s_add_u32 s24, s24, s28
	s_mul_hi_u32 s11, s11, s3
	s_addc_u32 s25, s19, s29
	s_add_i32 s11, s3, s11
	s_lshr_b32 s11, s11, s27
	s_mul_i32 s11, s11, s12
	s_mul_hi_u32 s12, s15, s4
	s_add_i32 s12, s4, s12
	s_lshr_b32 s12, s12, s26
	s_mul_i32 s12, s12, s16
	s_add_i32 s15, s12, s11
	s_add_i32 s12, s5, 1
	s_mul_i32 s13, s5, s8
	s_mul_i32 s8, s8, s12
	s_add_i32 s11, s15, s13
	s_add_i32 s15, s15, s8
	v_lshlrev_b32_e32 v1, 3, v30
	s_movk_i32 s8, 0x120
	v_mov_b64_e32 v[6:7], s[28:29]
	v_add_u32_e32 v31, s9, v1
	v_lshl_add_u32 v32, s9, 1, v1
	v_mad_u64_u32 v[6:7], s[8:9], v30, s8, v[6:7]
	v_and_b32_e32 v4, 7, v21
	v_mad_u64_u32 v[6:7], s[8:9], s17, 36, v[6:7]
	v_and_b32_e32 v0, 28, v28
	v_mad_u64_u32 v[6:7], s[8:9], v4, 36, v[6:7]
	v_mov_b32_e32 v17, 0
	v_and_b32_e32 v18, 4, v28
	v_lshrrev_b32_e32 v20, 1, v0
	v_lshl_add_u64 v[6:7], v[6:7], 0, s[22:23]
	v_bfe_u32 v16, v28, 3, 2
	v_mov_b32_e32 v3, v18
	v_mov_b32_e32 v19, v20
	v_lshl_add_u64 v[22:23], v[6:7], 0, 32
	s_mov_b64 s[8:9], 0
	s_movk_i32 s16, 0x88
	v_mov_b64_e32 v[24:25], s[20:21]
	v_lshlrev_b32_e32 v26, 2, v0
	v_mov_b32_e32 v27, v17
	s_mov_b32 s17, 0xf6eaddcf
	v_mov_b32_e32 v33, 0xbfad9881
	s_mov_b32 s19, 0x71594535
	v_mov_b32_e32 v34, 0x26190d01
	s_mov_b64 s[12:13], 0x1200
	v_mov_b32_e32 v1, v17
	v_mov_b32_e32 v0, v17
	;; [unrolled: 1-line block ×6, first 2 shown]
.LBB246_2:                              ; =>This Inner Loop Header: Depth=1
	v_add_u32_e32 v6, s11, v30
	v_add_u32_e32 v7, s15, v30
	v_mad_i64_i32 v[36:37], s[20:21], v6, s16, v[24:25]
	v_mad_i64_i32 v[38:39], s[20:21], v7, s16, v[24:25]
	v_lshl_add_u64 v[40:41], v[36:37], 0, v[26:27]
	v_lshl_add_u64 v[42:43], v[36:37], 0, v[16:17]
	;; [unrolled: 1-line block ×4, first 2 shown]
	global_load_dwordx4 v[6:9], v[40:41], off offset:8
	global_load_dwordx4 v[10:13], v[44:45], off offset:8
	global_load_ubyte v35, v[42:43], off offset:4
	global_load_dword v48, v[38:39], off
	global_load_dword v49, v[36:37], off
	global_load_ubyte v50, v[46:47], off offset:4
	v_mov_b32_e32 v61, 0
	v_mov_b32_e32 v62, 0
	;; [unrolled: 1-line block ×4, first 2 shown]
	v_add_u32_e32 v30, 16, v30
	v_cmp_le_u32_e32 vcc, s2, v30
	s_or_b64 s[8:9], vcc, s[8:9]
	s_waitcnt vmcnt(5)
	v_ashrrev_i32_e32 v36, 4, v6
	v_and_b32_e32 v37, 0x7070707, v6
	v_lshrrev_b32_e32 v6, 1, v6
	v_ashrrev_i32_e32 v38, 4, v7
	v_and_b32_e32 v39, 0x7070707, v7
	v_lshrrev_b32_e32 v7, 1, v7
	v_and_b32_e32 v6, 0x4040404, v6
	v_perm_b32 v46, s17, v33, v37
	v_perm_b32 v37, s19, v34, v37
	v_or_b32_e32 v6, 0x3020100, v6
	v_and_b32_e32 v7, 0x4040404, v7
	v_and_b32_e32 v40, 0x7070707, v8
	v_lshrrev_b32_e32 v41, 1, v8
	v_perm_b32 v51, v37, v46, v6
	v_perm_b32 v37, s17, v33, v39
	;; [unrolled: 1-line block ×3, first 2 shown]
	v_or_b32_e32 v7, 0x3020100, v7
	s_waitcnt vmcnt(4)
	v_ashrrev_i32_e32 v42, 4, v10
	v_and_b32_e32 v43, 0x7070707, v10
	v_lshrrev_b32_e32 v10, 1, v10
	v_perm_b32 v52, v39, v37, v7
	v_perm_b32 v37, s17, v33, v40
	;; [unrolled: 1-line block ×3, first 2 shown]
	v_and_b32_e32 v40, 0x4040404, v41
	v_ashrrev_i32_e32 v44, 4, v11
	v_and_b32_e32 v45, 0x7070707, v11
	v_lshrrev_b32_e32 v11, 1, v11
	v_or_b32_e32 v40, 0x3020100, v40
	v_and_b32_e32 v10, 0x4040404, v10
	v_lshrrev_b32_e32 v7, 1, v12
	v_perm_b32 v53, v39, v37, v40
	v_perm_b32 v39, s17, v33, v43
	;; [unrolled: 1-line block ×3, first 2 shown]
	v_or_b32_e32 v10, 0x3020100, v10
	v_and_b32_e32 v11, 0x4040404, v11
	v_and_b32_e32 v6, 0x7070707, v12
	;; [unrolled: 1-line block ×3, first 2 shown]
	v_lshrrev_b32_e32 v36, 1, v36
	v_perm_b32 v54, v40, v39, v10
	v_perm_b32 v39, s17, v33, v45
	;; [unrolled: 1-line block ×3, first 2 shown]
	v_or_b32_e32 v11, 0x3020100, v11
	v_and_b32_e32 v7, 0x4040404, v7
	v_perm_b32 v55, v40, v39, v11
	v_perm_b32 v40, s17, v33, v6
	;; [unrolled: 1-line block ×3, first 2 shown]
	v_or_b32_e32 v7, 0x3020100, v7
	v_and_b32_e32 v36, 0x4040404, v36
	v_and_b32_e32 v10, 0x7070707, v38
	v_lshrrev_b32_e32 v38, 1, v38
	v_perm_b32 v56, v6, v40, v7
	v_perm_b32 v40, s17, v33, v37
	;; [unrolled: 1-line block ×3, first 2 shown]
	v_or_b32_e32 v36, 0x3020100, v36
	v_lshrrev_b32_e32 v39, 1, v42
	v_perm_b32 v57, v37, v40, v36
	v_and_b32_e32 v37, 0x4040404, v38
	v_and_b32_e32 v11, 0x7070707, v42
	v_perm_b32 v36, s17, v33, v10
	v_perm_b32 v10, s19, v34, v10
	v_and_b32_e32 v39, 0x4040404, v39
	v_or_b32_e32 v37, 0x3020100, v37
	v_perm_b32 v38, s17, v33, v11
	v_perm_b32 v11, s19, v34, v11
	;; [unrolled: 1-line block ×3, first 2 shown]
	v_or_b32_e32 v36, 0x3020100, v39
	v_perm_b32 v59, v11, v38, v36
	global_load_dwordx4 v[36:39], v[22:23], off offset:-32
	global_load_dwordx4 v[40:43], v[22:23], off offset:-16
	v_lshrrev_b32_e32 v7, 1, v44
	v_and_b32_e32 v6, 0x7070707, v44
	v_and_b32_e32 v7, 0x4040404, v7
	v_perm_b32 v10, s17, v33, v6
	v_perm_b32 v6, s19, v34, v6
	v_or_b32_e32 v7, 0x3020100, v7
	v_perm_b32 v60, v6, v10, v7
	v_mad_u64_u32 v[10:11], s[20:21], v31, 36, s[24:25]
	v_mad_u64_u32 v[10:11], s[20:21], v4, 36, v[10:11]
	v_ashrrev_i32_e32 v8, 4, v8
	v_add_u32_e32 v31, 0x80, v31
	s_waitcnt vmcnt(1)
	v_dot4c_i32_i8_e32 v61, v51, v37
	v_dot4c_i32_i8_e32 v62, v54, v37
	s_waitcnt vmcnt(0)
	v_dot4c_i32_i8_e32 v61, v57, v41
	v_dot4c_i32_i8_e32 v62, v59, v41
	v_dot4c_i32_i8_e32 v61, v52, v38
	v_dot4c_i32_i8_e32 v62, v55, v38
	v_dot4c_i32_i8_e32 v61, v58, v42
	v_dot4c_i32_i8_e32 v62, v60, v42
	v_dot4c_i32_i8_e32 v61, v53, v39
	v_dot4c_i32_i8_e32 v62, v56, v39
	v_cvt_f32_f16_e32 v6, v36
	global_load_dwordx4 v[36:39], v[10:11], off
	global_load_dwordx4 v[44:47], v[10:11], off offset:16
	s_waitcnt vmcnt(1)
	v_dot4c_i32_i8_e32 v63, v51, v37
	v_dot4c_i32_i8_e32 v64, v54, v37
	s_waitcnt vmcnt(0)
	v_dot4c_i32_i8_e32 v63, v57, v45
	v_dot4c_i32_i8_e32 v64, v59, v45
	;; [unrolled: 1-line block ×4, first 2 shown]
	v_lshrrev_b32_e32 v38, 1, v9
	v_cvt_f32_f16_e32 v7, v36
	v_and_b32_e32 v36, 0x7070707, v9
	v_and_b32_e32 v38, 0x4040404, v38
	v_perm_b32 v37, s17, v33, v36
	v_perm_b32 v36, s19, v34, v36
	v_or_b32_e32 v38, 0x3020100, v38
	v_dot4c_i32_i8_e32 v63, v58, v46
	v_dot4c_i32_i8_e32 v64, v60, v46
	v_perm_b32 v46, v36, v37, v38
	v_lshrrev_b32_e32 v38, 1, v13
	v_and_b32_e32 v36, 0x7070707, v13
	v_and_b32_e32 v38, 0x4040404, v38
	v_perm_b32 v37, s17, v33, v36
	v_perm_b32 v36, s19, v34, v36
	v_or_b32_e32 v38, 0x3020100, v38
	v_perm_b32 v65, v36, v37, v38
	v_and_b32_e32 v36, 0x7070707, v8
	v_lshrrev_b32_e32 v8, 1, v8
	v_and_b32_e32 v8, 0x4040404, v8
	v_perm_b32 v37, s17, v33, v36
	v_perm_b32 v36, s19, v34, v36
	v_or_b32_e32 v8, 0x3020100, v8
	v_perm_b32 v66, v36, v37, v8
	v_ashrrev_i32_e32 v8, 4, v12
	v_and_b32_e32 v12, 0x7070707, v8
	v_lshrrev_b32_e32 v8, 1, v8
	v_and_b32_e32 v8, 0x4040404, v8
	v_perm_b32 v36, s17, v33, v12
	v_perm_b32 v12, s19, v34, v12
	v_or_b32_e32 v8, 0x3020100, v8
	v_dot4c_i32_i8_e32 v63, v53, v39
	v_dot4c_i32_i8_e32 v64, v56, v39
	v_perm_b32 v12, v12, v36, v8
	v_dot4c_i32_i8_e32 v63, v66, v47
	v_dot4c_i32_i8_e32 v64, v12, v47
	v_mad_u64_u32 v[36:37], s[20:21], v32, 36, s[24:25]
	v_dot4c_i32_i8_e32 v63, v46, v44
	v_dot4c_i32_i8_e32 v64, v65, v44
	v_mad_u64_u32 v[44:45], s[20:21], v4, 36, v[36:37]
	global_load_dwordx4 v[36:39], v[44:45], off
	v_dot4c_i32_i8_e32 v61, v66, v43
	v_dot4c_i32_i8_e32 v62, v12, v43
	;; [unrolled: 1-line block ×4, first 2 shown]
	global_load_dwordx4 v[40:43], v[44:45], off offset:16
	v_ashrrev_i32_e32 v8, 4, v9
	v_mov_b32_e32 v47, 0
	v_ashrrev_i32_e32 v9, 4, v13
	v_and_b32_e32 v13, 0x7070707, v8
	v_lshrrev_b32_e32 v8, 1, v8
	v_and_b32_e32 v8, 0x4040404, v8
	v_or_b32_e32 v8, 0x3020100, v8
	v_add_u32_e32 v32, 0x80, v32
	s_waitcnt vmcnt(1)
	v_dot4c_i32_i8_e32 v47, v51, v37
	v_mov_b32_e32 v51, 0
	v_dot4c_i32_i8_e32 v51, v54, v37
	v_perm_b32 v37, s17, v33, v13
	v_perm_b32 v13, s19, v34, v13
	;; [unrolled: 1-line block ×3, first 2 shown]
	v_and_b32_e32 v8, 0x7070707, v9
	v_lshrrev_b32_e32 v9, 1, v9
	v_and_b32_e32 v9, 0x4040404, v9
	v_perm_b32 v37, s17, v33, v8
	v_perm_b32 v8, s19, v34, v8
	v_or_b32_e32 v9, 0x3020100, v9
	s_waitcnt vmcnt(0)
	v_dot4c_i32_i8_e32 v51, v59, v41
	v_cvt_f32_f16_e32 v36, v36
	v_perm_b32 v37, v8, v37, v9
	v_cvt_f32_f16_e32 v9, v49
	v_cvt_f32_f16_e32 v8, v48
	v_dot4c_i32_i8_e32 v47, v57, v41
	v_dot4c_i32_i8_e32 v51, v55, v38
	;; [unrolled: 1-line block ×7, first 2 shown]
	v_mul_f32_e32 v38, v6, v9
	v_mul_f32_e32 v39, v7, v8
	v_pk_mul_f32 v[6:7], v[8:9], v[6:7]
	v_mul_f32_e32 v41, v9, v36
	v_mul_f32_e32 v36, v8, v36
	global_load_dword v8, v[10:11], off offset:32
	global_load_dword v9, v[44:45], off offset:32
	v_dot4c_i32_i8_e32 v51, v12, v43
	global_load_dword v12, v[22:23], off
	v_lshrrev_b32_sdwa v10, v20, v49 dst_sel:DWORD dst_unused:UNUSED_PAD src0_sel:DWORD src1_sel:WORD_1
	v_lshlrev_b32_e32 v10, 4, v10
	v_bfe_u32 v11, v35, v18, 4
	v_and_or_b32 v10, v10, 48, v11
	v_bfe_u32 v11, v35, v3, 4
	v_lshrrev_b32_sdwa v35, v19, v49 dst_sel:DWORD dst_unused:UNUSED_PAD src0_sel:DWORD src1_sel:WORD_1
	v_lshlrev_b32_e32 v35, 4, v35
	v_and_or_b32 v11, v35, 48, v11
	v_lshrrev_b32_sdwa v35, v20, v48 dst_sel:DWORD dst_unused:UNUSED_PAD src0_sel:DWORD src1_sel:WORD_1
	v_lshlrev_b32_e32 v35, 4, v35
	v_bfe_u32 v42, v50, v18, 4
	v_lshrrev_b32_sdwa v44, v20, v48 dst_sel:DWORD dst_unused:UNUSED_PAD src0_sel:DWORD src1_sel:WORD_1
	v_and_or_b32 v35, v35, 48, v42
	v_bfe_u32 v42, v50, v18, 4
	v_lshlrev_b32_e32 v44, 4, v44
	v_dot4c_i32_i8_e32 v47, v66, v43
	v_and_or_b32 v42, v44, 48, v42
	v_dot4c_i32_i8_e32 v47, v46, v40
	v_dot4c_i32_i8_e32 v51, v65, v40
	v_subrev_u32_e32 v10, 32, v10
	v_subrev_u32_e32 v11, 32, v11
	;; [unrolled: 1-line block ×4, first 2 shown]
	v_lshl_add_u64 v[22:23], v[22:23], 0, s[12:13]
	s_waitcnt vmcnt(2)
	v_dot4c_i32_i8_e32 v63, v13, v8
	v_dot4c_i32_i8_e32 v64, v37, v8
	s_waitcnt vmcnt(1)
	v_dot4c_i32_i8_e32 v47, v13, v9
	s_waitcnt vmcnt(0)
	v_dot4c_i32_i8_e32 v61, v13, v12
	v_dot4c_i32_i8_e32 v62, v37, v12
	;; [unrolled: 1-line block ×3, first 2 shown]
	v_mul_lo_u32 v9, v11, v63
	v_mul_lo_u32 v8, v10, v61
	;; [unrolled: 1-line block ×6, first 2 shown]
	v_cvt_f32_i32_e32 v35, v8
	v_cvt_f32_i32_e32 v9, v9
	;; [unrolled: 1-line block ×6, first 2 shown]
	v_fmac_f32_e32 v2, v38, v35
	v_pk_fma_f32 v[14:15], v[6:7], v[8:9], v[14:15]
	v_fmac_f32_e32 v5, v39, v11
	v_fmac_f32_e32 v0, v41, v10
	;; [unrolled: 1-line block ×3, first 2 shown]
	s_andn2_b64 exec, exec, s[8:9]
	s_cbranch_execnz .LBB246_2
; %bb.3:
	s_or_b64 exec, exec, s[8:9]
	v_mov_b32_e32 v3, v14
	v_mov_b32_e32 v4, v15
	scratch_store_dwordx4 off, v[2:5], off
	scratch_store_dwordx2 off, v[0:1], off offset:16
.LBB246_4:
	s_or_b64 exec, exec, s[6:7]
	v_cmp_eq_u32_e32 vcc, 0, v29
	v_cmp_ne_u32_e64 s[6:7], 0, v29
	s_and_saveexec_b64 s[8:9], s[6:7]
	s_cbranch_execz .LBB246_6
; %bb.5:
	v_mul_u32_u24_e32 v3, 0x600, v29
	s_movk_i32 s2, 0xfa00
	v_add3_u32 v3, v3, v28, s2
	ds_write2st64_b32 v3, v2, v14 offset1:1
	ds_write2st64_b32 v3, v15, v5 offset0:2 offset1:3
	ds_write2st64_b32 v3, v0, v1 offset0:4 offset1:5
.LBB246_6:
	s_or_b64 exec, exec, s[8:9]
	s_waitcnt lgkmcnt(0)
	s_barrier
	s_and_saveexec_b64 s[6:7], vcc
	s_cbranch_execz .LBB246_13
; %bb.7:
	scratch_load_dwordx2 v[2:3], off, off
	v_mbcnt_lo_u32_b32 v0, -1, 0
	ds_read2st64_b32 v[4:5], v28 offset1:1
	v_mbcnt_hi_u32_b32 v10, -1, v0
	v_and_b32_e32 v0, 64, v10
	v_xor_b32_e32 v1, 32, v10
	v_add_u32_e32 v11, 64, v0
	v_cmp_lt_i32_e32 vcc, v1, v11
	v_xor_b32_e32 v6, 16, v10
	v_xor_b32_e32 v8, 8, v10
	v_cndmask_b32_e32 v0, v10, v1, vcc
	v_lshlrev_b32_e32 v0, 2, v0
	v_cmp_lt_i32_e32 vcc, v6, v11
	v_xor_b32_e32 v9, 4, v10
	v_xor_b32_e32 v12, 2, v10
	v_cndmask_b32_e32 v1, v10, v6, vcc
	v_lshlrev_b32_e32 v1, 2, v1
	v_cmp_lt_i32_e32 vcc, v8, v11
	v_xor_b32_e32 v13, 1, v10
	s_load_dwordx2 s[0:1], s[0:1], 0x38
	s_mul_i32 s2, s3, s14
	s_mul_i32 s4, s4, s18
	s_add_i32 s2, s2, s5
	s_mov_b32 s3, 0
	s_add_i32 s2, s2, s4
	s_lshl_b64 s[2:3], s[2:3], 2
	s_waitcnt lgkmcnt(0)
	s_add_u32 s2, s0, s2
	s_addc_u32 s3, s1, s3
	s_waitcnt vmcnt(0)
	v_pk_add_f32 v[2:3], v[4:5], v[2:3]
	ds_bpermute_b32 v4, v0, v2
	ds_bpermute_b32 v5, v0, v3
	s_waitcnt lgkmcnt(0)
	v_pk_add_f32 v[4:5], v[2:3], v[4:5]
	ds_bpermute_b32 v6, v1, v4
	ds_bpermute_b32 v7, v1, v5
	v_cndmask_b32_e32 v2, v10, v8, vcc
	v_lshlrev_b32_e32 v2, 2, v2
	v_cmp_lt_i32_e32 vcc, v9, v11
	s_waitcnt lgkmcnt(0)
	v_pk_add_f32 v[4:5], v[4:5], v[6:7]
	ds_bpermute_b32 v6, v2, v4
	ds_bpermute_b32 v7, v2, v5
	v_cndmask_b32_e32 v3, v10, v9, vcc
	v_lshlrev_b32_e32 v3, 2, v3
	v_cmp_lt_i32_e32 vcc, v12, v11
	s_waitcnt lgkmcnt(0)
	v_pk_add_f32 v[6:7], v[4:5], v[6:7]
	ds_bpermute_b32 v8, v3, v6
	ds_bpermute_b32 v9, v3, v7
	v_cndmask_b32_e32 v4, v10, v12, vcc
	v_lshlrev_b32_e32 v4, 2, v4
	v_cmp_lt_i32_e32 vcc, v13, v11
	s_waitcnt lgkmcnt(0)
	v_pk_add_f32 v[6:7], v[6:7], v[8:9]
	ds_bpermute_b32 v8, v4, v6
	ds_bpermute_b32 v9, v4, v7
	v_cndmask_b32_e32 v5, v10, v13, vcc
	v_lshlrev_b32_e32 v5, 2, v5
	v_or_b32_e32 v10, s5, v21
	v_cmp_gt_u32_e32 vcc, 2, v21
	s_waitcnt lgkmcnt(0)
	v_pk_add_f32 v[6:7], v[6:7], v[8:9]
	ds_bpermute_b32 v8, v5, v6
	ds_bpermute_b32 v9, v5, v7
	v_cmp_gt_u32_e64 s[0:1], s10, v10
	s_and_b64 s[0:1], vcc, s[0:1]
	s_waitcnt lgkmcnt(0)
	v_pk_add_f32 v[6:7], v[6:7], v[8:9]
	scratch_store_dwordx2 off, v[6:7], off
	s_and_saveexec_b64 s[4:5], s[0:1]
	s_cbranch_execz .LBB246_9
; %bb.8:
	scratch_load_dword v6, v28, off
	s_waitcnt vmcnt(0)
	global_store_dword v28, v6, s[2:3]
.LBB246_9:
	s_or_b64 exec, exec, s[4:5]
	scratch_load_dwordx2 v[6:7], off, off offset:8
	ds_read2st64_b32 v[8:9], v28 offset0:2 offset1:3
	s_waitcnt vmcnt(0) lgkmcnt(0)
	v_pk_add_f32 v[6:7], v[8:9], v[6:7]
	ds_bpermute_b32 v8, v0, v6
	ds_bpermute_b32 v9, v0, v7
	s_waitcnt lgkmcnt(0)
	v_pk_add_f32 v[6:7], v[6:7], v[8:9]
	ds_bpermute_b32 v8, v1, v6
	ds_bpermute_b32 v9, v1, v7
	s_waitcnt lgkmcnt(0)
	;; [unrolled: 4-line block ×6, first 2 shown]
	v_pk_add_f32 v[6:7], v[6:7], v[8:9]
	scratch_store_dwordx2 off, v[6:7], off offset:8
	s_and_saveexec_b64 s[4:5], s[0:1]
	s_cbranch_execz .LBB246_11
; %bb.10:
	scratch_load_dword v8, v28, off offset:8
	v_add_u32_e32 v6, s10, v21
	v_mov_b32_e32 v7, 0
	v_lshl_add_u64 v[6:7], v[6:7], 2, s[2:3]
	s_waitcnt vmcnt(0)
	global_store_dword v[6:7], v8, off
.LBB246_11:
	s_or_b64 exec, exec, s[4:5]
	scratch_load_dwordx2 v[6:7], off, off offset:16
	ds_read2st64_b32 v[8:9], v28 offset0:4 offset1:5
	s_waitcnt vmcnt(0) lgkmcnt(0)
	v_pk_add_f32 v[6:7], v[8:9], v[6:7]
	ds_bpermute_b32 v8, v0, v6
	ds_bpermute_b32 v9, v0, v7
	s_waitcnt lgkmcnt(0)
	v_pk_add_f32 v[6:7], v[6:7], v[8:9]
	ds_bpermute_b32 v0, v1, v6
	ds_bpermute_b32 v1, v1, v7
	s_waitcnt lgkmcnt(0)
	v_pk_add_f32 v[0:1], v[6:7], v[0:1]
	ds_bpermute_b32 v6, v2, v0
	ds_bpermute_b32 v7, v2, v1
	s_waitcnt lgkmcnt(0)
	v_pk_add_f32 v[0:1], v[0:1], v[6:7]
	ds_bpermute_b32 v2, v3, v0
	ds_bpermute_b32 v3, v3, v1
	s_waitcnt lgkmcnt(0)
	v_pk_add_f32 v[0:1], v[0:1], v[2:3]
	ds_bpermute_b32 v2, v4, v0
	ds_bpermute_b32 v3, v4, v1
	s_waitcnt lgkmcnt(0)
	v_pk_add_f32 v[0:1], v[0:1], v[2:3]
	ds_bpermute_b32 v2, v5, v0
	ds_bpermute_b32 v3, v5, v1
	s_waitcnt lgkmcnt(0)
	v_pk_add_f32 v[0:1], v[0:1], v[2:3]
	scratch_store_dwordx2 off, v[0:1], off offset:16
	s_and_b64 exec, exec, s[0:1]
	s_cbranch_execz .LBB246_13
; %bb.12:
	scratch_load_dword v2, v28, off offset:16
	v_lshl_or_b32 v0, s10, 1, v21
	v_mov_b32_e32 v1, 0
	v_lshl_add_u64 v[0:1], v[0:1], 2, s[2:3]
	s_waitcnt vmcnt(0)
	global_store_dword v[0:1], v2, off
.LBB246_13:
	s_endpgm
	.section	.rodata,"a",@progbits
	.p2align	6, 0x0
	.amdhsa_kernel _ZL13mul_mat_vec_qIL9ggml_type23ELi3ELb0ELb0EEvPKvS2_PKi31ggml_cuda_mm_fusion_args_devicePfj15HIP_vector_typeIjLj3EEjjjS8_jjjS8_jjjj
		.amdhsa_group_segment_fixed_size 1536
		.amdhsa_private_segment_fixed_size 32
		.amdhsa_kernarg_size 144
		.amdhsa_user_sgpr_count 2
		.amdhsa_user_sgpr_dispatch_ptr 0
		.amdhsa_user_sgpr_queue_ptr 0
		.amdhsa_user_sgpr_kernarg_segment_ptr 1
		.amdhsa_user_sgpr_dispatch_id 0
		.amdhsa_user_sgpr_kernarg_preload_length 0
		.amdhsa_user_sgpr_kernarg_preload_offset 0
		.amdhsa_user_sgpr_private_segment_size 0
		.amdhsa_uses_dynamic_stack 0
		.amdhsa_enable_private_segment 1
		.amdhsa_system_sgpr_workgroup_id_x 1
		.amdhsa_system_sgpr_workgroup_id_y 1
		.amdhsa_system_sgpr_workgroup_id_z 1
		.amdhsa_system_sgpr_workgroup_info 0
		.amdhsa_system_vgpr_workitem_id 1
		.amdhsa_next_free_vgpr 67
		.amdhsa_next_free_sgpr 30
		.amdhsa_accum_offset 68
		.amdhsa_reserve_vcc 1
		.amdhsa_float_round_mode_32 0
		.amdhsa_float_round_mode_16_64 0
		.amdhsa_float_denorm_mode_32 3
		.amdhsa_float_denorm_mode_16_64 3
		.amdhsa_dx10_clamp 1
		.amdhsa_ieee_mode 1
		.amdhsa_fp16_overflow 0
		.amdhsa_tg_split 0
		.amdhsa_exception_fp_ieee_invalid_op 0
		.amdhsa_exception_fp_denorm_src 0
		.amdhsa_exception_fp_ieee_div_zero 0
		.amdhsa_exception_fp_ieee_overflow 0
		.amdhsa_exception_fp_ieee_underflow 0
		.amdhsa_exception_fp_ieee_inexact 0
		.amdhsa_exception_int_div_zero 0
	.end_amdhsa_kernel
	.section	.text._ZL13mul_mat_vec_qIL9ggml_type23ELi3ELb0ELb0EEvPKvS2_PKi31ggml_cuda_mm_fusion_args_devicePfj15HIP_vector_typeIjLj3EEjjjS8_jjjS8_jjjj,"axG",@progbits,_ZL13mul_mat_vec_qIL9ggml_type23ELi3ELb0ELb0EEvPKvS2_PKi31ggml_cuda_mm_fusion_args_devicePfj15HIP_vector_typeIjLj3EEjjjS8_jjjS8_jjjj,comdat
.Lfunc_end246:
	.size	_ZL13mul_mat_vec_qIL9ggml_type23ELi3ELb0ELb0EEvPKvS2_PKi31ggml_cuda_mm_fusion_args_devicePfj15HIP_vector_typeIjLj3EEjjjS8_jjjS8_jjjj, .Lfunc_end246-_ZL13mul_mat_vec_qIL9ggml_type23ELi3ELb0ELb0EEvPKvS2_PKi31ggml_cuda_mm_fusion_args_devicePfj15HIP_vector_typeIjLj3EEjjjS8_jjjS8_jjjj
                                        ; -- End function
	.section	.AMDGPU.csdata,"",@progbits
; Kernel info:
; codeLenInByte = 3128
; NumSgprs: 36
; NumVgprs: 67
; NumAgprs: 0
; TotalNumVgprs: 67
; ScratchSize: 32
; MemoryBound: 0
; FloatMode: 240
; IeeeMode: 1
; LDSByteSize: 1536 bytes/workgroup (compile time only)
; SGPRBlocks: 4
; VGPRBlocks: 8
; NumSGPRsForWavesPerEU: 36
; NumVGPRsForWavesPerEU: 67
; AccumOffset: 68
; Occupancy: 7
; WaveLimiterHint : 0
; COMPUTE_PGM_RSRC2:SCRATCH_EN: 1
; COMPUTE_PGM_RSRC2:USER_SGPR: 2
; COMPUTE_PGM_RSRC2:TRAP_HANDLER: 0
; COMPUTE_PGM_RSRC2:TGID_X_EN: 1
; COMPUTE_PGM_RSRC2:TGID_Y_EN: 1
; COMPUTE_PGM_RSRC2:TGID_Z_EN: 1
; COMPUTE_PGM_RSRC2:TIDIG_COMP_CNT: 1
; COMPUTE_PGM_RSRC3_GFX90A:ACCUM_OFFSET: 16
; COMPUTE_PGM_RSRC3_GFX90A:TG_SPLIT: 0
	.section	.text._ZL13mul_mat_vec_qIL9ggml_type23ELi4ELb0ELb0EEvPKvS2_PKi31ggml_cuda_mm_fusion_args_devicePfj15HIP_vector_typeIjLj3EEjjjS8_jjjS8_jjjj,"axG",@progbits,_ZL13mul_mat_vec_qIL9ggml_type23ELi4ELb0ELb0EEvPKvS2_PKi31ggml_cuda_mm_fusion_args_devicePfj15HIP_vector_typeIjLj3EEjjjS8_jjjS8_jjjj,comdat
	.globl	_ZL13mul_mat_vec_qIL9ggml_type23ELi4ELb0ELb0EEvPKvS2_PKi31ggml_cuda_mm_fusion_args_devicePfj15HIP_vector_typeIjLj3EEjjjS8_jjjS8_jjjj ; -- Begin function _ZL13mul_mat_vec_qIL9ggml_type23ELi4ELb0ELb0EEvPKvS2_PKi31ggml_cuda_mm_fusion_args_devicePfj15HIP_vector_typeIjLj3EEjjjS8_jjjS8_jjjj
	.p2align	8
	.type	_ZL13mul_mat_vec_qIL9ggml_type23ELi4ELb0ELb0EEvPKvS2_PKi31ggml_cuda_mm_fusion_args_devicePfj15HIP_vector_typeIjLj3EEjjjS8_jjjS8_jjjj,@function
_ZL13mul_mat_vec_qIL9ggml_type23ELi4ELb0ELb0EEvPKvS2_PKi31ggml_cuda_mm_fusion_args_devicePfj15HIP_vector_typeIjLj3EEjjjS8_jjjS8_jjjj: ; @_ZL13mul_mat_vec_qIL9ggml_type23ELi4ELb0ELb0EEvPKvS2_PKi31ggml_cuda_mm_fusion_args_devicePfj15HIP_vector_typeIjLj3EEjjjS8_jjjS8_jjjj
; %bb.0:
	s_mov_b32 s20, 0
	v_bfe_u32 v25, v0, 10, 10
	v_and_b32_e32 v16, 0x3ff, v0
	s_mov_b32 s21, s20
	v_lshl_add_u32 v4, v25, 6, v16
	s_mov_b32 s22, s20
	s_mov_b32 s23, s20
	v_mov_b64_e32 v[0:1], s[20:21]
	s_load_dword s6, s[0:1], 0x40
	s_load_dwordx4 s[8:11], s[0:1], 0x50
	s_load_dword s27, s[0:1], 0x60
	s_load_dwordx4 s[12:15], s[0:1], 0x68
	;; [unrolled: 2-line block ×3, first 2 shown]
	s_lshl_b32 s5, s2, 1
	s_waitcnt lgkmcnt(0)
	s_lshr_b32 s2, s6, 8
	v_mov_b64_e32 v[2:3], s[22:23]
	v_lshrrev_b32_e32 v38, 3, v4
	scratch_store_dwordx4 off, v[0:3], off offset:16
	scratch_store_dwordx4 off, v[0:3], off
	v_cmp_gt_u32_e32 vcc, s2, v38
	v_mov_b32_e32 v19, 0
	v_mov_b32_e32 v20, 0
	v_lshlrev_b32_e32 v17, 2, v16
	v_mov_b32_e32 v3, 0
	v_mov_b32_e32 v4, 0
	;; [unrolled: 1-line block ×6, first 2 shown]
	s_and_saveexec_b64 s[6:7], vcc
	s_cbranch_execz .LBB247_4
; %bb.1:
	s_load_dwordx4 s[20:23], s[0:1], 0x0
	s_mul_i32 s17, s4, s17
	s_mul_i32 s24, s17, 36
	;; [unrolled: 1-line block ×3, first 2 shown]
	s_mul_hi_u32 s19, s17, 36
	s_waitcnt lgkmcnt(0)
	s_add_u32 s24, s22, s24
	s_addc_u32 s19, s23, s19
	s_mul_i32 s28, s13, 36
	s_mul_hi_u32 s29, s13, 36
	s_add_u32 s24, s24, s28
	s_mul_hi_u32 s11, s11, s3
	s_addc_u32 s25, s19, s29
	s_add_i32 s11, s3, s11
	s_lshr_b32 s11, s11, s27
	s_mul_i32 s11, s11, s12
	s_mul_hi_u32 s12, s15, s4
	s_add_i32 s12, s4, s12
	s_lshr_b32 s12, s12, s26
	s_mul_i32 s12, s12, s16
	v_and_b32_e32 v0, 28, v17
	v_lshrrev_b32_e32 v24, 1, v0
	s_add_i32 s15, s12, s11
	s_add_i32 s12, s5, 1
	s_mul_i32 s13, s5, s8
	v_mov_b32_e32 v5, v24
	s_mul_i32 s8, s8, s12
	v_lshlrev_b32_e32 v4, 3, v38
	s_add_i32 s11, s15, s13
	s_add_i32 s15, s15, s8
	v_mad_u64_u32 v[26:27], s[12:13], s9, 3, v[4:5]
	s_movk_i32 s8, 0x120
	v_mov_b64_e32 v[8:9], s[28:29]
	v_add_u32_e32 v39, s9, v4
	v_lshl_add_u32 v27, s9, 1, v4
	v_mad_u64_u32 v[8:9], s[8:9], v38, s8, v[8:9]
	v_and_b32_e32 v2, 7, v16
	v_mad_u64_u32 v[8:9], s[8:9], s17, 36, v[8:9]
	v_mad_u64_u32 v[8:9], s[8:9], v2, 36, v[8:9]
	v_mov_b32_e32 v23, 0
	v_and_b32_e32 v6, 4, v17
	v_lshl_add_u64 v[8:9], v[8:9], 0, s[22:23]
	v_bfe_u32 v22, v17, 3, 2
	v_mov_b32_e32 v1, v6
	v_lshl_add_u64 v[28:29], v[8:9], 0, 32
	s_mov_b64 s[8:9], 0
	s_movk_i32 s16, 0x88
	v_mov_b64_e32 v[30:31], s[20:21]
	v_lshlrev_b32_e32 v32, 2, v0
	v_mov_b32_e32 v33, v23
	s_mov_b32 s17, 0xf6eaddcf
	v_mov_b32_e32 v40, 0xbfad9881
	s_mov_b32 s19, 0x71594535
	v_mov_b32_e32 v41, 0x26190d01
	s_mov_b64 s[12:13], 0x1200
	v_mov_b32_e32 v3, v23
	v_mov_b32_e32 v0, v23
	;; [unrolled: 1-line block ×8, first 2 shown]
.LBB247_2:                              ; =>This Inner Loop Header: Depth=1
	v_add_u32_e32 v8, s11, v38
	v_add_u32_e32 v9, s15, v38
	v_mad_i64_i32 v[36:37], s[20:21], v8, s16, v[30:31]
	v_mad_i64_i32 v[34:35], s[20:21], v9, s16, v[30:31]
	v_lshl_add_u64 v[8:9], v[36:37], 0, v[32:33]
	global_load_dwordx4 v[8:11], v[8:9], off offset:8
	v_lshl_add_u64 v[12:13], v[34:35], 0, v[32:33]
	global_load_dwordx4 v[50:53], v[28:29], off offset:-32
	v_add_u32_e32 v38, 16, v38
	v_cmp_le_u32_e32 vcc, s2, v38
	s_or_b64 s[8:9], vcc, s[8:9]
	s_waitcnt vmcnt(1)
	v_lshrrev_b32_e32 v15, 1, v8
	v_and_b32_e32 v14, 0x7070707, v8
	v_and_b32_e32 v15, 0x4040404, v15
	v_lshrrev_b32_e32 v43, 1, v9
	v_perm_b32 v45, s17, v40, v14
	v_perm_b32 v14, s19, v41, v14
	v_or_b32_e32 v15, 0x3020100, v15
	v_and_b32_e32 v42, 0x7070707, v9
	v_perm_b32 v62, v14, v45, v15
	v_lshrrev_b32_e32 v14, 1, v10
	v_and_b32_e32 v43, 0x4040404, v43
	v_and_b32_e32 v44, 0x7070707, v10
	v_perm_b32 v15, s17, v40, v42
	v_perm_b32 v42, s19, v41, v42
	v_or_b32_e32 v43, 0x3020100, v43
	v_and_b32_e32 v14, 0x4040404, v14
	v_perm_b32 v42, v42, v15, v43
	v_perm_b32 v43, s17, v40, v44
	;; [unrolled: 1-line block ×3, first 2 shown]
	v_or_b32_e32 v14, 0x3020100, v14
	v_perm_b32 v70, v44, v43, v14
	v_lshrrev_b32_e32 v14, 1, v11
	v_and_b32_e32 v15, 0x7070707, v11
	v_and_b32_e32 v14, 0x4040404, v14
	v_perm_b32 v43, s17, v40, v15
	v_perm_b32 v15, s19, v41, v15
	v_or_b32_e32 v14, 0x3020100, v14
	v_perm_b32 v71, v15, v43, v14
	global_load_dwordx4 v[12:15], v[12:13], off offset:8
	v_ashrrev_i32_e32 v8, 4, v8
	s_waitcnt vmcnt(0)
	v_lshrrev_b32_e32 v45, 1, v12
	v_and_b32_e32 v43, 0x7070707, v12
	v_and_b32_e32 v45, 0x4040404, v45
	v_perm_b32 v44, s17, v40, v43
	v_perm_b32 v43, s19, v41, v43
	v_or_b32_e32 v45, 0x3020100, v45
	v_perm_b32 v63, v43, v44, v45
	v_lshrrev_b32_e32 v45, 1, v13
	v_and_b32_e32 v43, 0x7070707, v13
	v_and_b32_e32 v45, 0x4040404, v45
	v_perm_b32 v44, s17, v40, v43
	v_perm_b32 v43, s19, v41, v43
	v_or_b32_e32 v45, 0x3020100, v45
	v_perm_b32 v72, v43, v44, v45
	;; [unrolled: 7-line block ×4, first 2 shown]
	v_and_b32_e32 v43, 0x7070707, v8
	v_lshrrev_b32_e32 v8, 1, v8
	v_and_b32_e32 v8, 0x4040404, v8
	v_perm_b32 v44, s17, v40, v43
	v_perm_b32 v43, s19, v41, v43
	v_or_b32_e32 v8, 0x3020100, v8
	v_perm_b32 v75, v43, v44, v8
	global_load_dwordx4 v[44:47], v[28:29], off offset:-16
	v_ashrrev_i32_e32 v8, 4, v9
	v_and_b32_e32 v9, 0x7070707, v8
	v_lshrrev_b32_e32 v8, 1, v8
	v_and_b32_e32 v8, 0x4040404, v8
	v_perm_b32 v43, s17, v40, v9
	v_perm_b32 v9, s19, v41, v9
	v_or_b32_e32 v8, 0x3020100, v8
	v_perm_b32 v76, v9, v43, v8
	v_ashrrev_i32_e32 v8, 4, v10
	v_and_b32_e32 v9, 0x7070707, v8
	v_lshrrev_b32_e32 v8, 1, v8
	v_and_b32_e32 v8, 0x4040404, v8
	v_perm_b32 v10, s17, v40, v9
	v_perm_b32 v9, s19, v41, v9
	v_or_b32_e32 v8, 0x3020100, v8
	v_perm_b32 v10, v9, v10, v8
	;; [unrolled: 8-line block ×5, first 2 shown]
	v_mov_b32_e32 v12, 0
	v_mov_b32_e32 v43, 0
	v_dot4c_i32_i8_e32 v12, v62, v51
	v_dot4c_i32_i8_e32 v43, v63, v51
	v_mad_u64_u32 v[8:9], s[20:21], v39, 36, s[24:25]
	v_mad_u64_u32 v[64:65], s[20:21], v2, 36, v[8:9]
	;; [unrolled: 1-line block ×6, first 2 shown]
	v_cvt_f32_f16_e32 v8, v50
	v_add_u32_e32 v39, 0x80, v39
	v_add_u32_e32 v26, 0x80, v26
	;; [unrolled: 1-line block ×3, first 2 shown]
	global_load_dwordx4 v[58:61], v[66:67], off offset:16
	s_waitcnt vmcnt(1)
	v_dot4c_i32_i8_e32 v12, v75, v45
	v_dot4c_i32_i8_e32 v43, v77, v45
	;; [unrolled: 1-line block ×8, first 2 shown]
	global_load_dwordx4 v[52:55], v[64:65], off
	v_dot4c_i32_i8_e32 v12, v10, v47
	v_dot4c_i32_i8_e32 v43, v14, v47
	global_load_dwordx4 v[46:49], v[64:65], off offset:16
	v_dot4c_i32_i8_e32 v12, v71, v44
	v_dot4c_i32_i8_e32 v43, v74, v44
	v_mov_b32_e32 v44, 0
	v_mov_b32_e32 v45, 0
	s_waitcnt vmcnt(1)
	v_dot4c_i32_i8_e32 v44, v62, v53
	v_dot4c_i32_i8_e32 v45, v63, v53
	v_cvt_f32_f16_e32 v9, v52
	s_waitcnt vmcnt(0)
	v_dot4c_i32_i8_e32 v44, v75, v47
	v_dot4c_i32_i8_e32 v45, v77, v47
	v_dot4c_i32_i8_e32 v44, v42, v54
	v_dot4c_i32_i8_e32 v45, v72, v54
	v_dot4c_i32_i8_e32 v44, v76, v48
	v_dot4c_i32_i8_e32 v45, v13, v48
	v_dot4c_i32_i8_e32 v44, v70, v55
	v_dot4c_i32_i8_e32 v45, v73, v55
	global_load_dwordx4 v[54:57], v[66:67], off
	v_dot4c_i32_i8_e32 v44, v10, v49
	v_dot4c_i32_i8_e32 v45, v14, v49
	v_dot4c_i32_i8_e32 v44, v71, v46
	v_dot4c_i32_i8_e32 v45, v74, v46
	v_mov_b32_e32 v46, 0
	v_mov_b32_e32 v47, 0
	;; [unrolled: 1-line block ×4, first 2 shown]
	s_waitcnt vmcnt(0)
	v_dot4c_i32_i8_e32 v46, v62, v55
	v_dot4c_i32_i8_e32 v47, v63, v55
	;; [unrolled: 1-line block ×14, first 2 shown]
	global_load_dwordx4 v[56:59], v[68:69], off
	v_cvt_f32_f16_e32 v52, v54
	v_ashrrev_i32_e32 v54, 4, v11
	v_ashrrev_i32_e32 v55, 4, v15
	s_waitcnt vmcnt(0)
	v_dot4c_i32_i8_e32 v48, v62, v57
	v_dot4c_i32_i8_e32 v49, v63, v57
	global_load_dwordx4 v[60:63], v[68:69], off offset:16
	global_load_dword v51, v[36:37], off
	global_load_dword v50, v[34:35], off
	v_cvt_f32_f16_e32 v53, v56
	v_lshl_add_u64 v[36:37], v[36:37], 0, v[22:23]
	v_lshl_add_u64 v[34:35], v[34:35], 0, v[22:23]
	s_waitcnt vmcnt(1)
	v_cvt_f32_f16_e32 v11, v51
	v_dot4c_i32_i8_e32 v48, v75, v61
	v_dot4c_i32_i8_e32 v48, v42, v58
	;; [unrolled: 1-line block ×6, first 2 shown]
	s_waitcnt vmcnt(0)
	v_cvt_f32_f16_e32 v10, v50
	v_dot4c_i32_i8_e32 v49, v72, v58
	v_dot4c_i32_i8_e32 v49, v13, v62
	;; [unrolled: 1-line block ×4, first 2 shown]
	v_mul_f32_e32 v15, v8, v11
	v_mul_f32_e32 v13, v9, v10
	v_pk_mul_f32 v[8:9], v[10:11], v[8:9]
	v_mul_f32_e32 v42, v52, v11
	v_mul_f32_e32 v14, v53, v10
	v_pk_mul_f32 v[10:11], v[10:11], v[52:53]
	v_lshrrev_b32_e32 v53, 1, v54
	v_and_b32_e32 v52, 0x7070707, v54
	v_and_b32_e32 v53, 0x4040404, v53
	v_perm_b32 v54, s17, v40, v52
	v_perm_b32 v52, s19, v41, v52
	v_or_b32_e32 v53, 0x3020100, v53
	v_perm_b32 v52, v52, v54, v53
	v_lshrrev_b32_e32 v54, 1, v55
	v_and_b32_e32 v53, 0x7070707, v55
	v_and_b32_e32 v54, 0x4040404, v54
	v_perm_b32 v55, s17, v40, v53
	v_perm_b32 v53, s19, v41, v53
	v_or_b32_e32 v54, 0x3020100, v54
	v_perm_b32 v53, v53, v55, v54
	global_load_dword v54, v[64:65], off offset:32
	global_load_dword v55, v[66:67], off offset:32
	;; [unrolled: 1-line block ×3, first 2 shown]
	global_load_dword v57, v[28:29], off
	v_dot4c_i32_i8_e32 v48, v71, v60
	global_load_ubyte v36, v[36:37], off offset:4
	v_dot4c_i32_i8_e32 v49, v74, v60
	global_load_ubyte v34, v[34:35], off offset:4
	v_lshrrev_b32_sdwa v35, v24, v51 dst_sel:DWORD dst_unused:UNUSED_PAD src0_sel:DWORD src1_sel:WORD_1
	v_lshlrev_b32_e32 v35, 4, v35
	v_lshl_add_u64 v[28:29], v[28:29], 0, s[12:13]
	s_waitcnt vmcnt(5)
	v_dot4c_i32_i8_e32 v44, v52, v54
	s_waitcnt vmcnt(4)
	v_dot4c_i32_i8_e32 v46, v52, v55
	v_dot4c_i32_i8_e32 v47, v53, v55
	s_waitcnt vmcnt(2)
	v_dot4c_i32_i8_e32 v12, v52, v57
	v_dot4c_i32_i8_e32 v43, v53, v57
	s_waitcnt vmcnt(1)
	v_bfe_u32 v37, v36, v6, 4
	v_and_or_b32 v35, v35, 48, v37
	v_lshrrev_b32_sdwa v37, v5, v51 dst_sel:DWORD dst_unused:UNUSED_PAD src0_sel:DWORD src1_sel:WORD_1
	v_bfe_u32 v36, v36, v1, 4
	v_lshlrev_b32_e32 v37, 4, v37
	v_and_or_b32 v36, v37, 48, v36
	v_lshrrev_b32_sdwa v37, v24, v50 dst_sel:DWORD dst_unused:UNUSED_PAD src0_sel:DWORD src1_sel:WORD_1
	v_lshlrev_b32_e32 v37, 4, v37
	s_waitcnt vmcnt(0)
	v_bfe_u32 v51, v34, v6, 4
	v_lshrrev_b32_sdwa v50, v24, v50 dst_sel:DWORD dst_unused:UNUSED_PAD src0_sel:DWORD src1_sel:WORD_1
	v_and_or_b32 v37, v37, 48, v51
	v_bfe_u32 v34, v34, v6, 4
	v_lshlrev_b32_e32 v50, 4, v50
	v_subrev_u32_e32 v35, 32, v35
	v_and_or_b32 v34, v50, 48, v34
	v_mul_lo_u32 v12, v35, v12
	v_mul_lo_u32 v46, v35, v46
	v_subrev_u32_e32 v35, 32, v37
	v_dot4c_i32_i8_e32 v45, v53, v54
	v_dot4c_i32_i8_e32 v48, v52, v56
	;; [unrolled: 1-line block ×3, first 2 shown]
	v_mul_lo_u32 v37, v35, v43
	v_mul_lo_u32 v43, v35, v47
	v_subrev_u32_e32 v35, 32, v36
	v_subrev_u32_e32 v34, 32, v34
	v_mul_lo_u32 v36, v35, v44
	v_mul_lo_u32 v44, v35, v48
	;; [unrolled: 1-line block ×4, first 2 shown]
	v_cvt_f32_i32_e32 v35, v36
	v_cvt_f32_i32_e32 v34, v37
	;; [unrolled: 1-line block ×8, first 2 shown]
	v_fmac_f32_e32 v4, v15, v12
	v_pk_fma_f32 v[20:21], v[8:9], v[34:35], v[20:21]
	v_fmac_f32_e32 v7, v13, v43
	v_fmac_f32_e32 v0, v42, v44
	v_pk_fma_f32 v[18:19], v[10:11], v[36:37], v[18:19]
	v_fmac_f32_e32 v3, v14, v45
	s_andn2_b64 exec, exec, s[8:9]
	s_cbranch_execnz .LBB247_2
; %bb.3:
	s_or_b64 exec, exec, s[8:9]
	v_mov_b32_e32 v5, v20
	v_mov_b32_e32 v6, v21
	;; [unrolled: 1-line block ×4, first 2 shown]
	scratch_store_dwordx4 off, v[4:7], off
	scratch_store_dwordx4 off, v[0:3], off offset:16
.LBB247_4:
	s_or_b64 exec, exec, s[6:7]
	v_cmp_eq_u32_e32 vcc, 0, v25
	v_cmp_ne_u32_e64 s[6:7], 0, v25
	s_and_saveexec_b64 s[8:9], s[6:7]
	s_cbranch_execz .LBB247_6
; %bb.5:
	v_lshlrev_b32_e32 v1, 11, v25
	s_movk_i32 s2, 0xf800
	v_add3_u32 v1, v1, v17, s2
	ds_write2st64_b32 v1, v4, v20 offset1:1
	ds_write2st64_b32 v1, v21, v7 offset0:2 offset1:3
	ds_write2st64_b32 v1, v0, v18 offset0:4 offset1:5
	;; [unrolled: 1-line block ×3, first 2 shown]
.LBB247_6:
	s_or_b64 exec, exec, s[8:9]
	s_waitcnt lgkmcnt(0)
	s_barrier
	s_and_saveexec_b64 s[6:7], vcc
	s_cbranch_execz .LBB247_15
; %bb.7:
	scratch_load_dwordx2 v[2:3], off, off
	v_mbcnt_lo_u32_b32 v0, -1, 0
	ds_read2st64_b32 v[4:5], v17 offset1:1
	v_mbcnt_hi_u32_b32 v10, -1, v0
	v_and_b32_e32 v0, 64, v10
	v_xor_b32_e32 v1, 32, v10
	v_add_u32_e32 v11, 64, v0
	v_cmp_lt_i32_e32 vcc, v1, v11
	v_xor_b32_e32 v6, 16, v10
	v_xor_b32_e32 v8, 8, v10
	v_cndmask_b32_e32 v0, v10, v1, vcc
	v_lshlrev_b32_e32 v0, 2, v0
	v_cmp_lt_i32_e32 vcc, v6, v11
	v_xor_b32_e32 v9, 4, v10
	v_xor_b32_e32 v12, 2, v10
	v_cndmask_b32_e32 v1, v10, v6, vcc
	v_lshlrev_b32_e32 v1, 2, v1
	v_cmp_lt_i32_e32 vcc, v8, v11
	v_xor_b32_e32 v13, 1, v10
	s_load_dwordx2 s[0:1], s[0:1], 0x38
	s_mul_i32 s2, s3, s14
	s_mul_i32 s4, s4, s18
	s_add_i32 s2, s2, s5
	s_mov_b32 s3, 0
	s_add_i32 s2, s2, s4
	s_lshl_b64 s[2:3], s[2:3], 2
	s_waitcnt lgkmcnt(0)
	s_add_u32 s2, s0, s2
	s_addc_u32 s3, s1, s3
	s_waitcnt vmcnt(0)
	v_pk_add_f32 v[2:3], v[4:5], v[2:3]
	ds_bpermute_b32 v4, v0, v2
	ds_bpermute_b32 v5, v0, v3
	s_waitcnt lgkmcnt(0)
	v_pk_add_f32 v[4:5], v[2:3], v[4:5]
	ds_bpermute_b32 v6, v1, v4
	ds_bpermute_b32 v7, v1, v5
	v_cndmask_b32_e32 v2, v10, v8, vcc
	v_lshlrev_b32_e32 v2, 2, v2
	v_cmp_lt_i32_e32 vcc, v9, v11
	s_waitcnt lgkmcnt(0)
	v_pk_add_f32 v[4:5], v[4:5], v[6:7]
	ds_bpermute_b32 v6, v2, v4
	ds_bpermute_b32 v7, v2, v5
	v_cndmask_b32_e32 v3, v10, v9, vcc
	v_lshlrev_b32_e32 v3, 2, v3
	v_cmp_lt_i32_e32 vcc, v12, v11
	;; [unrolled: 7-line block ×3, first 2 shown]
	s_waitcnt lgkmcnt(0)
	v_pk_add_f32 v[6:7], v[6:7], v[8:9]
	ds_bpermute_b32 v8, v4, v6
	ds_bpermute_b32 v9, v4, v7
	v_cndmask_b32_e32 v5, v10, v13, vcc
	v_lshlrev_b32_e32 v5, 2, v5
	v_or_b32_e32 v10, s5, v16
	v_cmp_gt_u32_e32 vcc, 2, v16
	s_waitcnt lgkmcnt(0)
	v_pk_add_f32 v[6:7], v[6:7], v[8:9]
	ds_bpermute_b32 v8, v5, v6
	ds_bpermute_b32 v9, v5, v7
	v_cmp_gt_u32_e64 s[0:1], s10, v10
	s_and_b64 s[0:1], vcc, s[0:1]
	s_waitcnt lgkmcnt(0)
	v_pk_add_f32 v[6:7], v[6:7], v[8:9]
	scratch_store_dwordx2 off, v[6:7], off
	s_and_saveexec_b64 s[4:5], s[0:1]
	s_cbranch_execz .LBB247_9
; %bb.8:
	scratch_load_dword v6, v17, off
	s_waitcnt vmcnt(0)
	global_store_dword v17, v6, s[2:3]
.LBB247_9:
	s_or_b64 exec, exec, s[4:5]
	scratch_load_dwordx2 v[6:7], off, off offset:8
	ds_read2st64_b32 v[8:9], v17 offset0:2 offset1:3
	s_waitcnt vmcnt(0) lgkmcnt(0)
	v_pk_add_f32 v[6:7], v[8:9], v[6:7]
	ds_bpermute_b32 v8, v0, v6
	ds_bpermute_b32 v9, v0, v7
	s_waitcnt lgkmcnt(0)
	v_pk_add_f32 v[6:7], v[6:7], v[8:9]
	ds_bpermute_b32 v8, v1, v6
	ds_bpermute_b32 v9, v1, v7
	s_waitcnt lgkmcnt(0)
	;; [unrolled: 4-line block ×6, first 2 shown]
	v_pk_add_f32 v[6:7], v[6:7], v[8:9]
	scratch_store_dwordx2 off, v[6:7], off offset:8
	s_and_saveexec_b64 s[4:5], s[0:1]
	s_cbranch_execz .LBB247_11
; %bb.10:
	scratch_load_dword v8, v17, off offset:8
	v_add_u32_e32 v6, s10, v16
	v_mov_b32_e32 v7, 0
	v_lshl_add_u64 v[6:7], v[6:7], 2, s[2:3]
	s_waitcnt vmcnt(0)
	global_store_dword v[6:7], v8, off
.LBB247_11:
	s_or_b64 exec, exec, s[4:5]
	scratch_load_dwordx2 v[6:7], off, off offset:16
	ds_read2st64_b32 v[8:9], v17 offset0:4 offset1:5
	s_waitcnt vmcnt(0) lgkmcnt(0)
	v_pk_add_f32 v[6:7], v[8:9], v[6:7]
	ds_bpermute_b32 v8, v0, v6
	ds_bpermute_b32 v9, v0, v7
	s_waitcnt lgkmcnt(0)
	v_pk_add_f32 v[6:7], v[6:7], v[8:9]
	ds_bpermute_b32 v8, v1, v6
	ds_bpermute_b32 v9, v1, v7
	s_waitcnt lgkmcnt(0)
	;; [unrolled: 4-line block ×6, first 2 shown]
	v_pk_add_f32 v[6:7], v[6:7], v[8:9]
	scratch_store_dwordx2 off, v[6:7], off offset:16
	s_and_saveexec_b64 s[4:5], s[0:1]
	s_cbranch_execz .LBB247_13
; %bb.12:
	scratch_load_dword v8, v17, off offset:16
	v_lshl_or_b32 v6, s10, 1, v16
	v_mov_b32_e32 v7, 0
	v_lshl_add_u64 v[6:7], v[6:7], 2, s[2:3]
	s_waitcnt vmcnt(0)
	global_store_dword v[6:7], v8, off
.LBB247_13:
	s_or_b64 exec, exec, s[4:5]
	scratch_load_dwordx2 v[6:7], off, off offset:24
	ds_read2st64_b32 v[8:9], v17 offset0:6 offset1:7
	s_waitcnt vmcnt(0) lgkmcnt(0)
	v_pk_add_f32 v[6:7], v[8:9], v[6:7]
	ds_bpermute_b32 v8, v0, v6
	ds_bpermute_b32 v9, v0, v7
	s_waitcnt lgkmcnt(0)
	v_pk_add_f32 v[6:7], v[6:7], v[8:9]
	ds_bpermute_b32 v0, v1, v6
	ds_bpermute_b32 v1, v1, v7
	s_waitcnt lgkmcnt(0)
	;; [unrolled: 4-line block ×6, first 2 shown]
	v_pk_add_f32 v[0:1], v[0:1], v[2:3]
	scratch_store_dwordx2 off, v[0:1], off offset:24
	s_and_b64 exec, exec, s[0:1]
	s_cbranch_execz .LBB247_15
; %bb.14:
	scratch_load_dword v2, v17, off offset:24
	v_mad_u64_u32 v[0:1], s[0:1], s10, 3, v[16:17]
	v_mov_b32_e32 v1, 0
	v_lshl_add_u64 v[0:1], v[0:1], 2, s[2:3]
	s_waitcnt vmcnt(0)
	global_store_dword v[0:1], v2, off
.LBB247_15:
	s_endpgm
	.section	.rodata,"a",@progbits
	.p2align	6, 0x0
	.amdhsa_kernel _ZL13mul_mat_vec_qIL9ggml_type23ELi4ELb0ELb0EEvPKvS2_PKi31ggml_cuda_mm_fusion_args_devicePfj15HIP_vector_typeIjLj3EEjjjS8_jjjS8_jjjj
		.amdhsa_group_segment_fixed_size 2048
		.amdhsa_private_segment_fixed_size 48
		.amdhsa_kernarg_size 144
		.amdhsa_user_sgpr_count 2
		.amdhsa_user_sgpr_dispatch_ptr 0
		.amdhsa_user_sgpr_queue_ptr 0
		.amdhsa_user_sgpr_kernarg_segment_ptr 1
		.amdhsa_user_sgpr_dispatch_id 0
		.amdhsa_user_sgpr_kernarg_preload_length 0
		.amdhsa_user_sgpr_kernarg_preload_offset 0
		.amdhsa_user_sgpr_private_segment_size 0
		.amdhsa_uses_dynamic_stack 0
		.amdhsa_enable_private_segment 1
		.amdhsa_system_sgpr_workgroup_id_x 1
		.amdhsa_system_sgpr_workgroup_id_y 1
		.amdhsa_system_sgpr_workgroup_id_z 1
		.amdhsa_system_sgpr_workgroup_info 0
		.amdhsa_system_vgpr_workitem_id 1
		.amdhsa_next_free_vgpr 78
		.amdhsa_next_free_sgpr 30
		.amdhsa_accum_offset 80
		.amdhsa_reserve_vcc 1
		.amdhsa_float_round_mode_32 0
		.amdhsa_float_round_mode_16_64 0
		.amdhsa_float_denorm_mode_32 3
		.amdhsa_float_denorm_mode_16_64 3
		.amdhsa_dx10_clamp 1
		.amdhsa_ieee_mode 1
		.amdhsa_fp16_overflow 0
		.amdhsa_tg_split 0
		.amdhsa_exception_fp_ieee_invalid_op 0
		.amdhsa_exception_fp_denorm_src 0
		.amdhsa_exception_fp_ieee_div_zero 0
		.amdhsa_exception_fp_ieee_overflow 0
		.amdhsa_exception_fp_ieee_underflow 0
		.amdhsa_exception_fp_ieee_inexact 0
		.amdhsa_exception_int_div_zero 0
	.end_amdhsa_kernel
	.section	.text._ZL13mul_mat_vec_qIL9ggml_type23ELi4ELb0ELb0EEvPKvS2_PKi31ggml_cuda_mm_fusion_args_devicePfj15HIP_vector_typeIjLj3EEjjjS8_jjjS8_jjjj,"axG",@progbits,_ZL13mul_mat_vec_qIL9ggml_type23ELi4ELb0ELb0EEvPKvS2_PKi31ggml_cuda_mm_fusion_args_devicePfj15HIP_vector_typeIjLj3EEjjjS8_jjjS8_jjjj,comdat
.Lfunc_end247:
	.size	_ZL13mul_mat_vec_qIL9ggml_type23ELi4ELb0ELb0EEvPKvS2_PKi31ggml_cuda_mm_fusion_args_devicePfj15HIP_vector_typeIjLj3EEjjjS8_jjjS8_jjjj, .Lfunc_end247-_ZL13mul_mat_vec_qIL9ggml_type23ELi4ELb0ELb0EEvPKvS2_PKi31ggml_cuda_mm_fusion_args_devicePfj15HIP_vector_typeIjLj3EEjjjS8_jjjS8_jjjj
                                        ; -- End function
	.section	.AMDGPU.csdata,"",@progbits
; Kernel info:
; codeLenInByte = 3616
; NumSgprs: 36
; NumVgprs: 78
; NumAgprs: 0
; TotalNumVgprs: 78
; ScratchSize: 48
; MemoryBound: 0
; FloatMode: 240
; IeeeMode: 1
; LDSByteSize: 2048 bytes/workgroup (compile time only)
; SGPRBlocks: 4
; VGPRBlocks: 9
; NumSGPRsForWavesPerEU: 36
; NumVGPRsForWavesPerEU: 78
; AccumOffset: 80
; Occupancy: 6
; WaveLimiterHint : 0
; COMPUTE_PGM_RSRC2:SCRATCH_EN: 1
; COMPUTE_PGM_RSRC2:USER_SGPR: 2
; COMPUTE_PGM_RSRC2:TRAP_HANDLER: 0
; COMPUTE_PGM_RSRC2:TGID_X_EN: 1
; COMPUTE_PGM_RSRC2:TGID_Y_EN: 1
; COMPUTE_PGM_RSRC2:TGID_Z_EN: 1
; COMPUTE_PGM_RSRC2:TIDIG_COMP_CNT: 1
; COMPUTE_PGM_RSRC3_GFX90A:ACCUM_OFFSET: 19
; COMPUTE_PGM_RSRC3_GFX90A:TG_SPLIT: 0
	.section	.text._ZL13mul_mat_vec_qIL9ggml_type23ELi5ELb0ELb0EEvPKvS2_PKi31ggml_cuda_mm_fusion_args_devicePfj15HIP_vector_typeIjLj3EEjjjS8_jjjS8_jjjj,"axG",@progbits,_ZL13mul_mat_vec_qIL9ggml_type23ELi5ELb0ELb0EEvPKvS2_PKi31ggml_cuda_mm_fusion_args_devicePfj15HIP_vector_typeIjLj3EEjjjS8_jjjS8_jjjj,comdat
	.globl	_ZL13mul_mat_vec_qIL9ggml_type23ELi5ELb0ELb0EEvPKvS2_PKi31ggml_cuda_mm_fusion_args_devicePfj15HIP_vector_typeIjLj3EEjjjS8_jjjS8_jjjj ; -- Begin function _ZL13mul_mat_vec_qIL9ggml_type23ELi5ELb0ELb0EEvPKvS2_PKi31ggml_cuda_mm_fusion_args_devicePfj15HIP_vector_typeIjLj3EEjjjS8_jjjS8_jjjj
	.p2align	8
	.type	_ZL13mul_mat_vec_qIL9ggml_type23ELi5ELb0ELb0EEvPKvS2_PKi31ggml_cuda_mm_fusion_args_devicePfj15HIP_vector_typeIjLj3EEjjjS8_jjjS8_jjjj,@function
_ZL13mul_mat_vec_qIL9ggml_type23ELi5ELb0ELb0EEvPKvS2_PKi31ggml_cuda_mm_fusion_args_devicePfj15HIP_vector_typeIjLj3EEjjjS8_jjjS8_jjjj: ; @_ZL13mul_mat_vec_qIL9ggml_type23ELi5ELb0ELb0EEvPKvS2_PKi31ggml_cuda_mm_fusion_args_devicePfj15HIP_vector_typeIjLj3EEjjjS8_jjjS8_jjjj
; %bb.0:
	v_bfe_u32 v23, v0, 10, 10
	v_and_b32_e32 v18, 0x3ff, v0
	s_mov_b32 s20, 0
	s_load_dword s6, s[0:1], 0x40
	s_load_dwordx4 s[8:11], s[0:1], 0x50
	s_load_dword s26, s[0:1], 0x60
	s_load_dwordx4 s[12:15], s[0:1], 0x68
	;; [unrolled: 2-line block ×3, first 2 shown]
	v_lshl_or_b32 v4, v23, 6, v18
	s_mov_b32 s21, s20
	s_waitcnt lgkmcnt(0)
	s_lshl_b32 s19, s2, 1
	s_lshr_b32 s2, s6, 8
	v_mov_b32_e32 v21, 0
	s_mov_b32 s22, s20
	s_mov_b32 s23, s20
	v_mov_b64_e32 v[0:1], s[20:21]
	v_lshrrev_b32_e32 v38, 3, v4
	v_mov_b32_e32 v20, v21
	v_mov_b64_e32 v[2:3], s[22:23]
	v_cmp_gt_u32_e32 vcc, s2, v38
	v_lshlrev_b32_e32 v19, 2, v18
	scratch_store_dwordx2 off, v[20:21], off offset:32
	scratch_store_dwordx4 off, v[0:3], off offset:16
	scratch_store_dwordx4 off, v[0:3], off
	s_and_saveexec_b64 s[6:7], vcc
	s_cbranch_execz .LBB248_4
; %bb.1:
	s_load_dwordx4 s[20:23], s[0:1], 0x0
	s_mul_i32 s17, s4, s17
	s_mul_i32 s25, s17, 36
	;; [unrolled: 1-line block ×3, first 2 shown]
	s_mul_hi_u32 s24, s17, 36
	s_waitcnt lgkmcnt(0)
	s_add_u32 s25, s22, s25
	s_addc_u32 s27, s23, s24
	s_mul_i32 s28, s13, 36
	s_mul_hi_u32 s29, s13, 36
	s_add_u32 s24, s25, s28
	s_mul_hi_u32 s11, s11, s3
	s_addc_u32 s25, s27, s29
	s_add_i32 s11, s3, s11
	s_lshr_b32 s11, s11, s26
	s_mul_i32 s11, s11, s12
	s_mul_hi_u32 s12, s15, s4
	s_add_i32 s12, s4, s12
	s_lshr_b32 s5, s12, s5
	s_mul_i32 s5, s5, s16
	s_mul_i32 s12, s19, s8
	s_add_i32 s11, s5, s11
	s_add_i32 s5, s11, s12
	;; [unrolled: 1-line block ×3, first 2 shown]
	v_lshl_add_u32 v3, v23, 6, v18
	s_mul_i32 s8, s8, s12
	v_lshrrev_b32_e32 v3, 3, v3
	s_movk_i32 s12, 0x120
	v_mov_b64_e32 v[8:9], s[28:29]
	v_mad_u64_u32 v[8:9], s[12:13], v3, s12, v[8:9]
	v_and_b32_e32 v2, 7, v18
	v_mad_u64_u32 v[8:9], s[12:13], s17, 36, v[8:9]
	v_and_b32_e32 v0, 28, v19
	;; [unrolled: 2-line block ×3, first 2 shown]
	v_lshrrev_b32_e32 v22, 1, v0
	v_lshl_add_u64 v[8:9], v[8:9], 0, s[22:23]
	v_bfe_u32 v20, v19, 3, 2
	v_mov_b32_e32 v1, v6
	v_mov_b32_e32 v5, v22
	s_add_i32 s8, s11, s8
	v_lshlrev_b32_e32 v39, 3, v38
	s_lshl_b32 s11, s9, 2
	s_mul_i32 s15, s9, 3
	s_lshl_b32 s26, s9, 1
	v_lshl_add_u64 v[26:27], v[8:9], 0, 16
	s_mov_b64 s[12:13], 0
	s_movk_i32 s22, 0x88
	v_mov_b64_e32 v[28:29], s[20:21]
	v_lshlrev_b32_e32 v30, 2, v0
	v_mov_b32_e32 v31, v21
	s_mov_b32 s20, 0xf6eaddcf
	v_mov_b32_e32 v40, 0xbfad9881
	s_mov_b32 s21, 0x71594535
	v_mov_b32_e32 v41, 0x26190d01
	s_mov_b64 s[16:17], 0x900
	v_mov_b32_e32 v25, v21
	v_mov_b32_e32 v24, v21
	;; [unrolled: 1-line block ×10, first 2 shown]
.LBB248_2:                              ; =>This Inner Loop Header: Depth=1
	v_add_u32_e32 v16, s5, v38
	v_mad_i64_i32 v[16:17], s[28:29], v16, s22, v[28:29]
	v_lshl_add_u64 v[36:37], v[16:17], 0, v[30:31]
	global_load_dwordx4 v[8:11], v[26:27], off offset:-16
	global_load_dword v61, v[26:27], off offset:16
	global_load_dwordx4 v[12:15], v[26:27], off
	global_load_dwordx4 v[46:49], v[36:37], off offset:8
	v_mov_b32_e32 v51, 0
	v_mov_b32_e32 v66, 0
	v_lshl_add_u64 v[26:27], v[26:27], 0, s[16:17]
	global_load_dword v59, v[16:17], off
	s_waitcnt vmcnt(4)
	v_cvt_f32_f16_e32 v8, v8
	s_waitcnt vmcnt(1)
	v_ashrrev_i32_e32 v36, 4, v46
	v_and_b32_e32 v43, 0x7070707, v36
	v_lshrrev_b32_e32 v36, 1, v36
	v_lshrrev_b32_e32 v45, 1, v46
	v_and_b32_e32 v36, 0x4040404, v36
	v_and_b32_e32 v37, 0x7070707, v46
	v_perm_b32 v44, s20, v40, v43
	v_perm_b32 v43, s21, v41, v43
	v_and_b32_e32 v45, 0x4040404, v45
	v_or_b32_e32 v36, 0x3020100, v36
	v_perm_b32 v42, s20, v40, v37
	v_perm_b32 v37, s21, v41, v37
	v_or_b32_e32 v45, 0x3020100, v45
	v_perm_b32 v43, v43, v44, v36
	v_ashrrev_i32_e32 v36, 4, v47
	v_perm_b32 v42, v37, v42, v45
	v_and_b32_e32 v45, 0x7070707, v36
	v_lshrrev_b32_e32 v36, 1, v36
	v_and_b32_e32 v37, 0x7070707, v47
	v_lshrrev_b32_e32 v47, 1, v47
	v_and_b32_e32 v36, 0x4040404, v36
	v_perm_b32 v46, s20, v40, v45
	v_perm_b32 v45, s21, v41, v45
	v_and_b32_e32 v47, 0x4040404, v47
	v_or_b32_e32 v36, 0x3020100, v36
	v_perm_b32 v44, s20, v40, v37
	v_perm_b32 v37, s21, v41, v37
	v_or_b32_e32 v47, 0x3020100, v47
	v_perm_b32 v45, v45, v46, v36
	v_ashrrev_i32_e32 v36, 4, v48
	v_perm_b32 v44, v37, v44, v47
	v_and_b32_e32 v47, 0x7070707, v36
	v_lshrrev_b32_e32 v36, 1, v36
	v_and_b32_e32 v37, 0x7070707, v48
	v_lshrrev_b32_e32 v48, 1, v48
	v_and_b32_e32 v36, 0x4040404, v36
	v_perm_b32 v50, s20, v40, v47
	v_perm_b32 v47, s21, v41, v47
	v_and_b32_e32 v48, 0x4040404, v48
	v_or_b32_e32 v36, 0x3020100, v36
	v_perm_b32 v46, s20, v40, v37
	v_perm_b32 v37, s21, v41, v37
	v_or_b32_e32 v48, 0x3020100, v48
	v_perm_b32 v47, v47, v50, v36
	v_ashrrev_i32_e32 v36, 4, v49
	v_perm_b32 v46, v37, v46, v48
	v_and_b32_e32 v37, 0x7070707, v49
	v_and_b32_e32 v50, 0x7070707, v36
	v_lshrrev_b32_e32 v49, 1, v49
	v_lshrrev_b32_e32 v36, 1, v36
	v_and_b32_e32 v49, 0x4040404, v49
	v_and_b32_e32 v36, 0x4040404, v36
	v_perm_b32 v48, s20, v40, v37
	v_perm_b32 v52, s20, v40, v50
	;; [unrolled: 1-line block ×4, first 2 shown]
	v_or_b32_e32 v49, 0x3020100, v49
	v_or_b32_e32 v36, 0x3020100, v36
	v_perm_b32 v48, v37, v48, v49
	v_perm_b32 v49, v50, v52, v36
	v_lshl_add_u64 v[36:37], v[16:17], 0, v[20:21]
	global_load_ubyte v36, v[36:37], off offset:4
	v_dot4c_i32_i8_e32 v51, v42, v9
	v_dot4c_i32_i8_e32 v51, v43, v13
	;; [unrolled: 1-line block ×8, first 2 shown]
	s_waitcnt vmcnt(1)
	v_lshrrev_b32_sdwa v16, v22, v59 dst_sel:DWORD dst_unused:UNUSED_PAD src0_sel:DWORD src1_sel:WORD_1
	v_lshlrev_b32_e32 v16, 4, v16
	s_waitcnt vmcnt(0)
	v_bfe_u32 v37, v36, v6, 4
	v_and_or_b32 v16, v16, 48, v37
	v_subrev_u32_e32 v50, 32, v16
	v_mul_lo_u32 v16, v50, v51
	v_cvt_f32_i32_e32 v60, v16
	v_add_u32_e32 v16, s8, v38
	v_mad_i64_i32 v[16:17], s[28:29], v16, s22, v[28:29]
	v_lshl_add_u64 v[52:53], v[16:17], 0, v[30:31]
	global_load_dwordx4 v[62:65], v[52:53], off offset:8
	global_load_dword v67, v[16:17], off
	v_cvt_f32_f16_e32 v37, v59
	v_add_u32_e32 v38, 8, v38
	v_cmp_le_u32_e32 vcc, s2, v38
	s_or_b64 s[12:13], vcc, s[12:13]
	s_waitcnt vmcnt(1)
	v_ashrrev_i32_e32 v51, 4, v62
	v_and_b32_e32 v54, 0x7070707, v51
	v_perm_b32 v55, s20, v40, v54
	v_perm_b32 v56, s21, v41, v54
	v_lshrrev_b32_e32 v54, 1, v62
	v_and_b32_e32 v52, 0x7070707, v62
	v_and_b32_e32 v54, 0x4040404, v54
	v_lshrrev_b32_e32 v51, 1, v51
	v_perm_b32 v53, s20, v40, v52
	v_perm_b32 v52, s21, v41, v52
	v_or_b32_e32 v54, 0x3020100, v54
	v_and_b32_e32 v51, 0x4040404, v51
	v_perm_b32 v54, v52, v53, v54
	v_or_b32_e32 v51, 0x3020100, v51
	v_perm_b32 v52, v56, v55, v51
	v_dot4c_i32_i8_e32 v66, v54, v9
	v_ashrrev_i32_e32 v9, 4, v63
	v_lshrrev_b32_e32 v56, 1, v63
	v_dot4c_i32_i8_e32 v66, v52, v13
	v_and_b32_e32 v13, 0x7070707, v63
	v_and_b32_e32 v53, 0x7070707, v9
	;; [unrolled: 1-line block ×3, first 2 shown]
	v_lshrrev_b32_e32 v9, 1, v9
	v_perm_b32 v51, s20, v40, v13
	v_perm_b32 v13, s21, v41, v13
	v_or_b32_e32 v56, 0x3020100, v56
	v_and_b32_e32 v9, 0x4040404, v9
	v_perm_b32 v55, s20, v40, v53
	v_perm_b32 v53, s21, v41, v53
	;; [unrolled: 1-line block ×3, first 2 shown]
	v_or_b32_e32 v9, 0x3020100, v9
	v_perm_b32 v56, v53, v55, v9
	v_dot4c_i32_i8_e32 v66, v57, v10
	v_ashrrev_i32_e32 v9, 4, v64
	v_dot4c_i32_i8_e32 v66, v56, v14
	v_and_b32_e32 v14, 0x7070707, v9
	v_lshrrev_b32_e32 v53, 1, v64
	v_lshrrev_b32_e32 v9, 1, v9
	v_and_b32_e32 v10, 0x7070707, v64
	v_and_b32_e32 v53, 0x4040404, v53
	;; [unrolled: 1-line block ×3, first 2 shown]
	v_perm_b32 v13, s20, v40, v10
	v_perm_b32 v51, s20, v40, v14
	;; [unrolled: 1-line block ×4, first 2 shown]
	v_or_b32_e32 v53, 0x3020100, v53
	v_or_b32_e32 v9, 0x3020100, v9
	v_perm_b32 v58, v10, v13, v53
	v_perm_b32 v51, v14, v51, v9
	v_ashrrev_i32_e32 v9, 4, v65
	v_dot4c_i32_i8_e32 v66, v58, v11
	v_and_b32_e32 v13, 0x7070707, v9
	v_lshrrev_b32_e32 v9, 1, v9
	v_dot4c_i32_i8_e32 v66, v51, v15
	v_lshrrev_b32_e32 v15, 1, v65
	v_and_b32_e32 v9, 0x4040404, v9
	v_and_b32_e32 v10, 0x7070707, v65
	v_perm_b32 v14, s20, v40, v13
	v_perm_b32 v13, s21, v41, v13
	v_and_b32_e32 v15, 0x4040404, v15
	v_or_b32_e32 v9, 0x3020100, v9
	v_perm_b32 v11, s20, v40, v10
	v_perm_b32 v10, s21, v41, v10
	v_or_b32_e32 v15, 0x3020100, v15
	v_perm_b32 v55, v13, v14, v9
	v_add_u32_e32 v9, s9, v39
	v_perm_b32 v53, v10, v11, v15
	v_mad_u64_u32 v[10:11], s[28:29], v9, 36, s[24:25]
	v_mad_u64_u32 v[64:65], s[28:29], v2, 36, v[10:11]
	v_dot4c_i32_i8_e32 v66, v53, v12
	v_lshl_add_u64 v[62:63], v[16:17], 0, v[20:21]
	global_load_dwordx4 v[10:13], v[64:65], off
	global_load_dword v68, v[64:65], off offset:32
	global_load_dwordx4 v[14:17], v[64:65], off offset:16
	v_dot4c_i32_i8_e32 v66, v55, v61
	global_load_ubyte v64, v[62:63], off offset:4
	v_mov_b32_e32 v61, 0
	s_waitcnt vmcnt(3)
	v_dot4c_i32_i8_e32 v61, v42, v11
	v_cvt_f32_f16_e32 v9, v10
	v_mul_f32_e32 v10, v8, v37
	s_waitcnt vmcnt(1)
	v_dot4c_i32_i8_e32 v61, v43, v15
	v_fmac_f32_e32 v4, v10, v60
	v_bfe_u32 v10, v36, v1, 4
	v_lshrrev_b32_sdwa v36, v5, v59 dst_sel:DWORD dst_unused:UNUSED_PAD src0_sel:DWORD src1_sel:WORD_1
	v_lshrrev_b32_sdwa v59, v22, v67 dst_sel:DWORD dst_unused:UNUSED_PAD src0_sel:DWORD src1_sel:WORD_1
	v_dot4c_i32_i8_e32 v61, v44, v12
	s_waitcnt vmcnt(0)
	v_bfe_u32 v60, v64, v6, 4
	v_lshlrev_b32_e32 v59, 4, v59
	v_lshlrev_b32_e32 v36, 4, v36
	v_dot4c_i32_i8_e32 v61, v45, v16
	v_and_or_b32 v10, v36, 48, v10
	v_and_or_b32 v36, v59, 48, v60
	v_dot4c_i32_i8_e32 v61, v46, v13
	v_subrev_u32_e32 v59, 32, v36
	v_cvt_f32_f16_e32 v36, v67
	v_dot4c_i32_i8_e32 v61, v47, v17
	v_dot4c_i32_i8_e32 v61, v48, v14
	;; [unrolled: 1-line block ×3, first 2 shown]
	v_subrev_u32_e32 v10, 32, v10
	v_mul_lo_u32 v62, v59, v66
	v_cvt_f32_i32_e32 v62, v62
	v_mul_lo_u32 v63, v10, v61
	v_pk_mul_f32 v[60:61], v[36:37], v[8:9]
	v_mov_b32_e32 v8, 0
	v_dot4c_i32_i8_e32 v8, v54, v11
	v_dot4c_i32_i8_e32 v8, v52, v15
	;; [unrolled: 1-line block ×5, first 2 shown]
	v_lshrrev_b32_sdwa v12, v22, v67 dst_sel:DWORD dst_unused:UNUSED_PAD src0_sel:DWORD src1_sel:WORD_1
	v_dot4c_i32_i8_e32 v8, v51, v17
	v_bfe_u32 v11, v64, v6, 4
	v_lshlrev_b32_e32 v12, 4, v12
	v_dot4c_i32_i8_e32 v8, v53, v14
	v_and_or_b32 v11, v12, 48, v11
	v_dot4c_i32_i8_e32 v8, v55, v68
	v_subrev_u32_e32 v64, 32, v11
	v_cvt_f32_i32_e32 v63, v63
	v_mul_f32_e32 v9, v9, v36
	v_mul_lo_u32 v8, v64, v8
	v_cvt_f32_i32_e32 v8, v8
	v_pk_fma_f32 v[34:35], v[60:61], v[62:63], v[34:35]
	v_mov_b32_e32 v66, 0
	v_fmac_f32_e32 v7, v9, v8
	v_add_u32_e32 v8, s26, v39
	v_mad_u64_u32 v[8:9], s[28:29], v8, 36, s[24:25]
	v_mad_u64_u32 v[8:9], s[28:29], v2, 36, v[8:9]
	global_load_dwordx4 v[12:15], v[8:9], off
	global_load_dword v11, v[8:9], off offset:32
	global_load_dwordx4 v[60:63], v[8:9], off offset:16
	v_mov_b32_e32 v8, 0
	s_waitcnt vmcnt(2)
	v_dot4c_i32_i8_e32 v8, v42, v13
	v_dot4c_i32_i8_e32 v66, v54, v13
	s_waitcnt vmcnt(0)
	v_dot4c_i32_i8_e32 v8, v43, v61
	v_dot4c_i32_i8_e32 v8, v44, v14
	;; [unrolled: 1-line block ×10, first 2 shown]
	v_mul_lo_u32 v8, v50, v8
	v_cvt_f32_i32_e32 v65, v8
	v_add_u32_e32 v8, s15, v39
	v_dot4c_i32_i8_e32 v66, v58, v15
	v_mad_u64_u32 v[8:9], s[28:29], v8, 36, s[24:25]
	v_dot4c_i32_i8_e32 v66, v51, v63
	v_mad_u64_u32 v[8:9], s[28:29], v2, 36, v[8:9]
	v_dot4c_i32_i8_e32 v66, v53, v60
	global_load_dwordx4 v[14:17], v[8:9], off
	global_load_dword v67, v[8:9], off offset:32
	global_load_dwordx4 v[60:63], v[8:9], off offset:16
	v_dot4c_i32_i8_e32 v66, v55, v11
	v_mov_b32_e32 v11, 0
	v_cvt_f32_f16_e32 v8, v12
	v_mul_f32_e32 v12, v8, v37
	v_fmac_f32_e32 v0, v12, v65
	v_mul_lo_u32 v12, v59, v66
	v_cvt_f32_i32_e32 v12, v12
	s_waitcnt vmcnt(2)
	v_dot4c_i32_i8_e32 v11, v42, v15
	v_cvt_f32_f16_e32 v9, v14
	s_waitcnt vmcnt(0)
	v_dot4c_i32_i8_e32 v11, v43, v61
	v_dot4c_i32_i8_e32 v11, v44, v16
	;; [unrolled: 1-line block ×7, first 2 shown]
	s_nop 2
	v_mul_lo_u32 v13, v10, v11
	v_pk_mul_f32 v[10:11], v[36:37], v[8:9]
	v_mov_b32_e32 v8, 0
	v_dot4c_i32_i8_e32 v8, v54, v15
	v_dot4c_i32_i8_e32 v8, v52, v61
	;; [unrolled: 1-line block ×8, first 2 shown]
	v_cvt_f32_i32_e32 v13, v13
	v_mul_f32_e32 v9, v9, v36
	v_pk_fma_f32 v[32:33], v[10:11], v[12:13], v[32:33]
	v_mul_lo_u32 v8, v64, v8
	v_cvt_f32_i32_e32 v8, v8
	v_fmac_f32_e32 v3, v9, v8
	v_add_u32_e32 v8, s11, v39
	v_mad_u64_u32 v[8:9], s[28:29], v8, 36, s[24:25]
	v_mad_u64_u32 v[16:17], s[28:29], v2, 36, v[8:9]
	global_load_dword v59, v[16:17], off offset:32
	global_load_dwordx4 v[8:11], v[16:17], off offset:16
	global_load_dwordx4 v[12:15], v[16:17], off
	v_mov_b32_e32 v16, 0
	v_add_u32_e32 v39, 64, v39
	s_waitcnt vmcnt(0)
	v_dot4c_i32_i8_e32 v16, v42, v13
	v_dot4c_i32_i8_e32 v16, v43, v9
	;; [unrolled: 1-line block ×8, first 2 shown]
	v_cvt_f32_f16_e32 v12, v12
	v_mul_f32_e32 v17, v37, v12
	s_nop 0
	v_mul_lo_u32 v16, v50, v16
	v_cvt_f32_i32_e32 v16, v16
	v_fmac_f32_e32 v24, v17, v16
	v_mov_b32_e32 v16, 0
	v_dot4c_i32_i8_e32 v16, v54, v13
	v_dot4c_i32_i8_e32 v16, v52, v9
	;; [unrolled: 1-line block ×8, first 2 shown]
	v_mul_f32_e32 v9, v36, v12
	s_nop 1
	v_mul_lo_u32 v8, v64, v16
	v_cvt_f32_i32_e32 v8, v8
	v_fmac_f32_e32 v25, v9, v8
	s_andn2_b64 exec, exec, s[12:13]
	s_cbranch_execnz .LBB248_2
; %bb.3:
	s_or_b64 exec, exec, s[12:13]
	v_mov_b32_e32 v5, v34
	v_mov_b32_e32 v6, v35
	;; [unrolled: 1-line block ×4, first 2 shown]
	scratch_store_dwordx4 off, v[4:7], off
	scratch_store_dwordx4 off, v[0:3], off offset:16
	scratch_store_dwordx2 off, v[24:25], off offset:32
.LBB248_4:
	s_or_b64 exec, exec, s[6:7]
	s_mov_b32 s5, 0
	v_cmp_eq_u32_e32 vcc, 0, v23
	s_waitcnt lgkmcnt(0)
	; wave barrier
	s_and_saveexec_b64 s[6:7], vcc
	s_cbranch_execz .LBB248_15
; %bb.5:
	scratch_load_dwordx2 v[2:3], off, off
	v_mbcnt_lo_u32_b32 v0, -1, 0
	v_mbcnt_hi_u32_b32 v10, -1, v0
	v_and_b32_e32 v0, 64, v10
	v_xor_b32_e32 v1, 32, v10
	v_add_u32_e32 v11, 64, v0
	v_cmp_lt_i32_e32 vcc, v1, v11
	v_xor_b32_e32 v6, 16, v10
	v_xor_b32_e32 v8, 8, v10
	v_cndmask_b32_e32 v0, v10, v1, vcc
	v_lshlrev_b32_e32 v0, 2, v0
	v_cmp_lt_i32_e32 vcc, v6, v11
	v_xor_b32_e32 v9, 4, v10
	v_xor_b32_e32 v12, 2, v10
	v_cndmask_b32_e32 v1, v10, v6, vcc
	v_lshlrev_b32_e32 v1, 2, v1
	v_cmp_lt_i32_e32 vcc, v8, v11
	v_xor_b32_e32 v13, 1, v10
	s_load_dwordx2 s[0:1], s[0:1], 0x38
	s_mul_i32 s2, s3, s14
	s_mul_i32 s4, s4, s18
	s_add_i32 s2, s2, s19
	s_add_i32 s4, s2, s4
	s_lshl_b64 s[2:3], s[4:5], 2
	s_waitcnt lgkmcnt(0)
	s_add_u32 s2, s0, s2
	s_addc_u32 s3, s1, s3
	s_waitcnt vmcnt(0)
	ds_bpermute_b32 v4, v0, v2
	ds_bpermute_b32 v5, v0, v3
	s_waitcnt lgkmcnt(0)
	v_pk_add_f32 v[4:5], v[2:3], v[4:5]
	ds_bpermute_b32 v6, v1, v4
	ds_bpermute_b32 v7, v1, v5
	v_cndmask_b32_e32 v2, v10, v8, vcc
	v_lshlrev_b32_e32 v2, 2, v2
	v_cmp_lt_i32_e32 vcc, v9, v11
	s_waitcnt lgkmcnt(0)
	v_pk_add_f32 v[4:5], v[4:5], v[6:7]
	ds_bpermute_b32 v6, v2, v4
	ds_bpermute_b32 v7, v2, v5
	v_cndmask_b32_e32 v3, v10, v9, vcc
	v_lshlrev_b32_e32 v3, 2, v3
	v_cmp_lt_i32_e32 vcc, v12, v11
	;; [unrolled: 7-line block ×3, first 2 shown]
	s_waitcnt lgkmcnt(0)
	v_pk_add_f32 v[6:7], v[6:7], v[8:9]
	ds_bpermute_b32 v8, v4, v6
	ds_bpermute_b32 v9, v4, v7
	v_cndmask_b32_e32 v5, v10, v13, vcc
	v_lshlrev_b32_e32 v5, 2, v5
	v_or_b32_e32 v10, s19, v18
	v_cmp_gt_u32_e32 vcc, 2, v18
	s_waitcnt lgkmcnt(0)
	v_pk_add_f32 v[6:7], v[6:7], v[8:9]
	ds_bpermute_b32 v8, v5, v6
	ds_bpermute_b32 v9, v5, v7
	v_cmp_gt_u32_e64 s[0:1], s10, v10
	s_and_b64 s[0:1], vcc, s[0:1]
	s_waitcnt lgkmcnt(0)
	v_pk_add_f32 v[6:7], v[6:7], v[8:9]
	scratch_store_dwordx2 off, v[6:7], off
	s_and_saveexec_b64 s[4:5], s[0:1]
	s_cbranch_execz .LBB248_7
; %bb.6:
	scratch_load_dword v6, v19, off
	s_waitcnt vmcnt(0)
	global_store_dword v19, v6, s[2:3]
.LBB248_7:
	s_or_b64 exec, exec, s[4:5]
	scratch_load_dwordx2 v[6:7], off, off offset:8
	s_waitcnt vmcnt(0)
	ds_bpermute_b32 v8, v0, v6
	ds_bpermute_b32 v9, v0, v7
	s_waitcnt lgkmcnt(0)
	v_pk_add_f32 v[6:7], v[6:7], v[8:9]
	ds_bpermute_b32 v8, v1, v6
	ds_bpermute_b32 v9, v1, v7
	s_waitcnt lgkmcnt(0)
	v_pk_add_f32 v[6:7], v[6:7], v[8:9]
	;; [unrolled: 4-line block ×6, first 2 shown]
	scratch_store_dwordx2 off, v[6:7], off offset:8
	s_and_saveexec_b64 s[4:5], s[0:1]
	s_cbranch_execz .LBB248_9
; %bb.8:
	scratch_load_dword v8, v19, off offset:8
	v_add_u32_e32 v6, s10, v18
	v_mov_b32_e32 v7, 0
	v_lshl_add_u64 v[6:7], v[6:7], 2, s[2:3]
	s_waitcnt vmcnt(0)
	global_store_dword v[6:7], v8, off
.LBB248_9:
	s_or_b64 exec, exec, s[4:5]
	scratch_load_dwordx2 v[6:7], off, off offset:16
	s_waitcnt vmcnt(0)
	ds_bpermute_b32 v8, v0, v6
	ds_bpermute_b32 v9, v0, v7
	s_waitcnt lgkmcnt(0)
	v_pk_add_f32 v[6:7], v[6:7], v[8:9]
	ds_bpermute_b32 v8, v1, v6
	ds_bpermute_b32 v9, v1, v7
	s_waitcnt lgkmcnt(0)
	v_pk_add_f32 v[6:7], v[6:7], v[8:9]
	;; [unrolled: 4-line block ×6, first 2 shown]
	scratch_store_dwordx2 off, v[6:7], off offset:16
	s_and_saveexec_b64 s[4:5], s[0:1]
	s_cbranch_execz .LBB248_11
; %bb.10:
	scratch_load_dword v8, v19, off offset:16
	v_lshl_or_b32 v6, s10, 1, v18
	v_mov_b32_e32 v7, 0
	v_lshl_add_u64 v[6:7], v[6:7], 2, s[2:3]
	s_waitcnt vmcnt(0)
	global_store_dword v[6:7], v8, off
.LBB248_11:
	s_or_b64 exec, exec, s[4:5]
	scratch_load_dwordx2 v[6:7], off, off offset:24
	s_waitcnt vmcnt(0)
	ds_bpermute_b32 v8, v0, v6
	ds_bpermute_b32 v9, v0, v7
	s_waitcnt lgkmcnt(0)
	v_pk_add_f32 v[6:7], v[6:7], v[8:9]
	ds_bpermute_b32 v8, v1, v6
	ds_bpermute_b32 v9, v1, v7
	s_waitcnt lgkmcnt(0)
	v_pk_add_f32 v[6:7], v[6:7], v[8:9]
	;; [unrolled: 4-line block ×6, first 2 shown]
	scratch_store_dwordx2 off, v[6:7], off offset:24
	s_and_saveexec_b64 s[4:5], s[0:1]
	s_cbranch_execz .LBB248_13
; %bb.12:
	scratch_load_dword v8, v19, off offset:24
	v_mad_u64_u32 v[6:7], s[6:7], s10, 3, v[18:19]
	v_mov_b32_e32 v7, 0
	v_lshl_add_u64 v[6:7], v[6:7], 2, s[2:3]
	s_waitcnt vmcnt(0)
	global_store_dword v[6:7], v8, off
.LBB248_13:
	s_or_b64 exec, exec, s[4:5]
	scratch_load_dwordx2 v[6:7], off, off offset:32
	s_waitcnt vmcnt(0)
	ds_bpermute_b32 v8, v0, v6
	ds_bpermute_b32 v9, v0, v7
	s_waitcnt lgkmcnt(0)
	v_pk_add_f32 v[6:7], v[6:7], v[8:9]
	ds_bpermute_b32 v0, v1, v6
	ds_bpermute_b32 v1, v1, v7
	s_waitcnt lgkmcnt(0)
	v_pk_add_f32 v[0:1], v[6:7], v[0:1]
	;; [unrolled: 4-line block ×6, first 2 shown]
	scratch_store_dwordx2 off, v[0:1], off offset:32
	s_and_b64 exec, exec, s[0:1]
	s_cbranch_execz .LBB248_15
; %bb.14:
	scratch_load_dword v2, v19, off offset:32
	v_lshl_or_b32 v0, s10, 2, v18
	v_mov_b32_e32 v1, 0
	v_lshl_add_u64 v[0:1], v[0:1], 2, s[2:3]
	s_waitcnt vmcnt(0)
	global_store_dword v[0:1], v2, off
.LBB248_15:
	s_endpgm
	.section	.rodata,"a",@progbits
	.p2align	6, 0x0
	.amdhsa_kernel _ZL13mul_mat_vec_qIL9ggml_type23ELi5ELb0ELb0EEvPKvS2_PKi31ggml_cuda_mm_fusion_args_devicePfj15HIP_vector_typeIjLj3EEjjjS8_jjjS8_jjjj
		.amdhsa_group_segment_fixed_size 0
		.amdhsa_private_segment_fixed_size 48
		.amdhsa_kernarg_size 144
		.amdhsa_user_sgpr_count 2
		.amdhsa_user_sgpr_dispatch_ptr 0
		.amdhsa_user_sgpr_queue_ptr 0
		.amdhsa_user_sgpr_kernarg_segment_ptr 1
		.amdhsa_user_sgpr_dispatch_id 0
		.amdhsa_user_sgpr_kernarg_preload_length 0
		.amdhsa_user_sgpr_kernarg_preload_offset 0
		.amdhsa_user_sgpr_private_segment_size 0
		.amdhsa_uses_dynamic_stack 0
		.amdhsa_enable_private_segment 1
		.amdhsa_system_sgpr_workgroup_id_x 1
		.amdhsa_system_sgpr_workgroup_id_y 1
		.amdhsa_system_sgpr_workgroup_id_z 1
		.amdhsa_system_sgpr_workgroup_info 0
		.amdhsa_system_vgpr_workitem_id 1
		.amdhsa_next_free_vgpr 69
		.amdhsa_next_free_sgpr 30
		.amdhsa_accum_offset 72
		.amdhsa_reserve_vcc 1
		.amdhsa_float_round_mode_32 0
		.amdhsa_float_round_mode_16_64 0
		.amdhsa_float_denorm_mode_32 3
		.amdhsa_float_denorm_mode_16_64 3
		.amdhsa_dx10_clamp 1
		.amdhsa_ieee_mode 1
		.amdhsa_fp16_overflow 0
		.amdhsa_tg_split 0
		.amdhsa_exception_fp_ieee_invalid_op 0
		.amdhsa_exception_fp_denorm_src 0
		.amdhsa_exception_fp_ieee_div_zero 0
		.amdhsa_exception_fp_ieee_overflow 0
		.amdhsa_exception_fp_ieee_underflow 0
		.amdhsa_exception_fp_ieee_inexact 0
		.amdhsa_exception_int_div_zero 0
	.end_amdhsa_kernel
	.section	.text._ZL13mul_mat_vec_qIL9ggml_type23ELi5ELb0ELb0EEvPKvS2_PKi31ggml_cuda_mm_fusion_args_devicePfj15HIP_vector_typeIjLj3EEjjjS8_jjjS8_jjjj,"axG",@progbits,_ZL13mul_mat_vec_qIL9ggml_type23ELi5ELb0ELb0EEvPKvS2_PKi31ggml_cuda_mm_fusion_args_devicePfj15HIP_vector_typeIjLj3EEjjjS8_jjjS8_jjjj,comdat
.Lfunc_end248:
	.size	_ZL13mul_mat_vec_qIL9ggml_type23ELi5ELb0ELb0EEvPKvS2_PKi31ggml_cuda_mm_fusion_args_devicePfj15HIP_vector_typeIjLj3EEjjjS8_jjjS8_jjjj, .Lfunc_end248-_ZL13mul_mat_vec_qIL9ggml_type23ELi5ELb0ELb0EEvPKvS2_PKi31ggml_cuda_mm_fusion_args_devicePfj15HIP_vector_typeIjLj3EEjjjS8_jjjS8_jjjj
                                        ; -- End function
	.section	.AMDGPU.csdata,"",@progbits
; Kernel info:
; codeLenInByte = 3880
; NumSgprs: 36
; NumVgprs: 69
; NumAgprs: 0
; TotalNumVgprs: 69
; ScratchSize: 48
; MemoryBound: 0
; FloatMode: 240
; IeeeMode: 1
; LDSByteSize: 0 bytes/workgroup (compile time only)
; SGPRBlocks: 4
; VGPRBlocks: 8
; NumSGPRsForWavesPerEU: 36
; NumVGPRsForWavesPerEU: 69
; AccumOffset: 72
; Occupancy: 7
; WaveLimiterHint : 0
; COMPUTE_PGM_RSRC2:SCRATCH_EN: 1
; COMPUTE_PGM_RSRC2:USER_SGPR: 2
; COMPUTE_PGM_RSRC2:TRAP_HANDLER: 0
; COMPUTE_PGM_RSRC2:TGID_X_EN: 1
; COMPUTE_PGM_RSRC2:TGID_Y_EN: 1
; COMPUTE_PGM_RSRC2:TGID_Z_EN: 1
; COMPUTE_PGM_RSRC2:TIDIG_COMP_CNT: 1
; COMPUTE_PGM_RSRC3_GFX90A:ACCUM_OFFSET: 17
; COMPUTE_PGM_RSRC3_GFX90A:TG_SPLIT: 0
	.section	.text._ZL13mul_mat_vec_qIL9ggml_type23ELi6ELb0ELb0EEvPKvS2_PKi31ggml_cuda_mm_fusion_args_devicePfj15HIP_vector_typeIjLj3EEjjjS8_jjjS8_jjjj,"axG",@progbits,_ZL13mul_mat_vec_qIL9ggml_type23ELi6ELb0ELb0EEvPKvS2_PKi31ggml_cuda_mm_fusion_args_devicePfj15HIP_vector_typeIjLj3EEjjjS8_jjjS8_jjjj,comdat
	.globl	_ZL13mul_mat_vec_qIL9ggml_type23ELi6ELb0ELb0EEvPKvS2_PKi31ggml_cuda_mm_fusion_args_devicePfj15HIP_vector_typeIjLj3EEjjjS8_jjjS8_jjjj ; -- Begin function _ZL13mul_mat_vec_qIL9ggml_type23ELi6ELb0ELb0EEvPKvS2_PKi31ggml_cuda_mm_fusion_args_devicePfj15HIP_vector_typeIjLj3EEjjjS8_jjjS8_jjjj
	.p2align	8
	.type	_ZL13mul_mat_vec_qIL9ggml_type23ELi6ELb0ELb0EEvPKvS2_PKi31ggml_cuda_mm_fusion_args_devicePfj15HIP_vector_typeIjLj3EEjjjS8_jjjS8_jjjj,@function
_ZL13mul_mat_vec_qIL9ggml_type23ELi6ELb0ELb0EEvPKvS2_PKi31ggml_cuda_mm_fusion_args_devicePfj15HIP_vector_typeIjLj3EEjjjS8_jjjS8_jjjj: ; @_ZL13mul_mat_vec_qIL9ggml_type23ELi6ELb0ELb0EEvPKvS2_PKi31ggml_cuda_mm_fusion_args_devicePfj15HIP_vector_typeIjLj3EEjjjS8_jjjS8_jjjj
; %bb.0:
	v_bfe_u32 v40, v0, 10, 10
	v_and_b32_e32 v22, 0x3ff, v0
	s_mov_b32 s20, 0
	s_load_dword s6, s[0:1], 0x40
	s_load_dwordx4 s[8:11], s[0:1], 0x50
	s_load_dword s26, s[0:1], 0x60
	s_load_dwordx4 s[12:15], s[0:1], 0x68
	s_load_dword s5, s[0:1], 0x78
	s_load_dwordx4 s[16:19], s[0:1], 0x80
	v_lshl_or_b32 v4, v40, 6, v22
	s_mov_b32 s21, s20
	s_waitcnt lgkmcnt(0)
	s_lshl_b32 s19, s2, 1
	s_lshr_b32 s2, s6, 8
	s_mov_b32 s22, s20
	s_mov_b32 s23, s20
	v_mov_b64_e32 v[0:1], s[20:21]
	v_lshrrev_b32_e32 v9, 3, v4
	v_mov_b64_e32 v[2:3], s[22:23]
	v_cmp_gt_u32_e32 vcc, s2, v9
	v_lshlrev_b32_e32 v23, 2, v22
	scratch_store_dwordx4 off, v[0:3], off offset:32
	scratch_store_dwordx4 off, v[0:3], off offset:16
	scratch_store_dwordx4 off, v[0:3], off
	s_and_saveexec_b64 s[6:7], vcc
	s_cbranch_execz .LBB249_4
; %bb.1:
	s_load_dwordx4 s[20:23], s[0:1], 0x0
	s_mul_i32 s17, s4, s17
	s_mul_i32 s25, s17, 36
	;; [unrolled: 1-line block ×3, first 2 shown]
	s_mul_hi_u32 s24, s17, 36
	s_waitcnt lgkmcnt(0)
	s_add_u32 s25, s22, s25
	s_addc_u32 s27, s23, s24
	s_mul_i32 s28, s13, 36
	s_mul_hi_u32 s29, s13, 36
	s_add_u32 s24, s25, s28
	s_mul_hi_u32 s11, s11, s3
	s_addc_u32 s25, s27, s29
	s_add_i32 s11, s3, s11
	s_lshr_b32 s11, s11, s26
	s_mul_i32 s11, s11, s12
	s_mul_hi_u32 s12, s15, s4
	s_add_i32 s12, s4, s12
	s_lshr_b32 s5, s12, s5
	s_mul_i32 s5, s5, s16
	s_mul_i32 s12, s19, s8
	s_add_i32 s11, s5, s11
	s_add_i32 s5, s11, s12
	;; [unrolled: 1-line block ×3, first 2 shown]
	v_lshl_add_u32 v3, v40, 6, v22
	s_mul_i32 s8, s8, s12
	v_lshrrev_b32_e32 v3, 3, v3
	s_movk_i32 s12, 0x120
	v_mov_b64_e32 v[12:13], s[28:29]
	v_mad_u64_u32 v[12:13], s[12:13], v3, s12, v[12:13]
	v_and_b32_e32 v2, 7, v22
	v_mad_u64_u32 v[12:13], s[12:13], s17, 36, v[12:13]
	v_and_b32_e32 v0, 28, v23
	v_mad_u64_u32 v[12:13], s[12:13], v2, 36, v[12:13]
	v_mov_b32_e32 v25, 0
	v_and_b32_e32 v6, 4, v23
	v_lshrrev_b32_e32 v10, 1, v0
	v_lshl_add_u64 v[12:13], v[12:13], 0, s[22:23]
	v_bfe_u32 v24, v23, 3, 2
	v_mov_b32_e32 v1, v6
	v_mov_b32_e32 v5, v10
	s_add_i32 s8, s11, s8
	v_lshlrev_b32_e32 v41, 3, v9
	s_mul_i32 s11, s9, 5
	s_lshl_b32 s15, s9, 2
	s_mul_i32 s26, s9, 3
	s_lshl_b32 s27, s9, 1
	v_lshl_add_u64 v[26:27], v[12:13], 0, 16
	s_mov_b64 s[12:13], 0
	s_movk_i32 s22, 0x88
	v_mov_b64_e32 v[28:29], s[20:21]
	v_lshlrev_b32_e32 v30, 2, v0
	v_mov_b32_e32 v31, v25
	s_mov_b32 s20, 0xf6eaddcf
	v_mov_b32_e32 v42, 0xbfad9881
	s_mov_b32 s21, 0x71594535
	v_mov_b32_e32 v43, 0x26190d01
	s_mov_b64 s[16:17], 0x900
	v_mov_b32_e32 v3, v25
	v_mov_b32_e32 v0, v25
	;; [unrolled: 1-line block ×12, first 2 shown]
.LBB249_2:                              ; =>This Inner Loop Header: Depth=1
	v_add_u32_e32 v20, s5, v9
	v_mad_i64_i32 v[20:21], s[28:29], v20, s22, v[28:29]
	v_lshl_add_u64 v[38:39], v[20:21], 0, v[30:31]
	global_load_dwordx4 v[12:15], v[26:27], off offset:-16
	global_load_dword v63, v[26:27], off offset:16
	global_load_dwordx4 v[16:19], v[26:27], off
	global_load_dwordx4 v[48:51], v[38:39], off offset:8
	v_mov_b32_e32 v53, 0
	v_mov_b32_e32 v65, 0
	v_lshl_add_u64 v[26:27], v[26:27], 0, s[16:17]
	global_load_dword v61, v[20:21], off
	s_waitcnt vmcnt(4)
	v_cvt_f32_f16_e32 v12, v12
	s_waitcnt vmcnt(1)
	v_ashrrev_i32_e32 v38, 4, v48
	v_and_b32_e32 v45, 0x7070707, v38
	v_lshrrev_b32_e32 v38, 1, v38
	v_lshrrev_b32_e32 v47, 1, v48
	v_and_b32_e32 v38, 0x4040404, v38
	v_and_b32_e32 v39, 0x7070707, v48
	v_perm_b32 v46, s20, v42, v45
	v_perm_b32 v45, s21, v43, v45
	v_and_b32_e32 v47, 0x4040404, v47
	v_or_b32_e32 v38, 0x3020100, v38
	v_perm_b32 v44, s20, v42, v39
	v_perm_b32 v39, s21, v43, v39
	v_or_b32_e32 v47, 0x3020100, v47
	v_perm_b32 v45, v45, v46, v38
	v_ashrrev_i32_e32 v38, 4, v49
	v_perm_b32 v44, v39, v44, v47
	v_and_b32_e32 v47, 0x7070707, v38
	v_lshrrev_b32_e32 v38, 1, v38
	v_and_b32_e32 v39, 0x7070707, v49
	v_lshrrev_b32_e32 v49, 1, v49
	v_and_b32_e32 v38, 0x4040404, v38
	v_perm_b32 v48, s20, v42, v47
	v_perm_b32 v47, s21, v43, v47
	v_and_b32_e32 v49, 0x4040404, v49
	v_or_b32_e32 v38, 0x3020100, v38
	v_perm_b32 v46, s20, v42, v39
	v_perm_b32 v39, s21, v43, v39
	v_or_b32_e32 v49, 0x3020100, v49
	v_perm_b32 v47, v47, v48, v38
	v_ashrrev_i32_e32 v38, 4, v50
	v_perm_b32 v46, v39, v46, v49
	v_and_b32_e32 v49, 0x7070707, v38
	v_lshrrev_b32_e32 v38, 1, v38
	v_and_b32_e32 v39, 0x7070707, v50
	v_lshrrev_b32_e32 v50, 1, v50
	v_and_b32_e32 v38, 0x4040404, v38
	v_perm_b32 v52, s20, v42, v49
	v_perm_b32 v49, s21, v43, v49
	v_and_b32_e32 v50, 0x4040404, v50
	v_or_b32_e32 v38, 0x3020100, v38
	v_perm_b32 v48, s20, v42, v39
	v_perm_b32 v39, s21, v43, v39
	v_or_b32_e32 v50, 0x3020100, v50
	v_perm_b32 v49, v49, v52, v38
	v_ashrrev_i32_e32 v38, 4, v51
	v_perm_b32 v48, v39, v48, v50
	v_and_b32_e32 v39, 0x7070707, v51
	v_and_b32_e32 v52, 0x7070707, v38
	v_lshrrev_b32_e32 v51, 1, v51
	v_lshrrev_b32_e32 v38, 1, v38
	v_and_b32_e32 v51, 0x4040404, v51
	v_and_b32_e32 v38, 0x4040404, v38
	v_perm_b32 v50, s20, v42, v39
	v_perm_b32 v54, s20, v42, v52
	;; [unrolled: 1-line block ×4, first 2 shown]
	v_or_b32_e32 v51, 0x3020100, v51
	v_or_b32_e32 v38, 0x3020100, v38
	v_perm_b32 v50, v39, v50, v51
	v_perm_b32 v51, v52, v54, v38
	v_lshl_add_u64 v[38:39], v[20:21], 0, v[24:25]
	global_load_ubyte v38, v[38:39], off offset:4
	v_dot4c_i32_i8_e32 v53, v44, v13
	v_dot4c_i32_i8_e32 v53, v45, v17
	;; [unrolled: 1-line block ×8, first 2 shown]
	s_waitcnt vmcnt(1)
	v_lshrrev_b32_sdwa v20, v10, v61 dst_sel:DWORD dst_unused:UNUSED_PAD src0_sel:DWORD src1_sel:WORD_1
	v_lshlrev_b32_e32 v20, 4, v20
	s_waitcnt vmcnt(0)
	v_bfe_u32 v39, v38, v6, 4
	v_and_or_b32 v20, v20, 48, v39
	v_subrev_u32_e32 v52, 32, v20
	v_mul_lo_u32 v20, v52, v53
	v_cvt_f32_i32_e32 v62, v20
	v_add_u32_e32 v20, s8, v9
	v_mad_i64_i32 v[20:21], s[28:29], v20, s22, v[28:29]
	v_lshl_add_u64 v[54:55], v[20:21], 0, v[30:31]
	global_load_dwordx4 v[56:59], v[54:55], off offset:8
	v_lshl_add_u64 v[66:67], v[20:21], 0, v[24:25]
	v_cvt_f32_f16_e32 v39, v61
	v_add_u32_e32 v9, 8, v9
	v_cmp_le_u32_e32 vcc, s2, v9
	s_or_b64 s[12:13], vcc, s[12:13]
	s_waitcnt vmcnt(0)
	v_ashrrev_i32_e32 v53, 4, v56
	v_and_b32_e32 v54, 0x7070707, v56
	v_lshrrev_b32_e32 v56, 1, v56
	v_and_b32_e32 v56, 0x4040404, v56
	v_perm_b32 v55, s20, v42, v54
	v_perm_b32 v54, s21, v43, v54
	v_or_b32_e32 v56, 0x3020100, v56
	v_and_b32_e32 v60, 0x7070707, v53
	v_perm_b32 v54, v54, v55, v56
	v_lshrrev_b32_e32 v53, 1, v53
	v_and_b32_e32 v53, 0x4040404, v53
	v_dot4c_i32_i8_e32 v65, v54, v13
	v_ashrrev_i32_e32 v13, 4, v57
	v_perm_b32 v64, s20, v42, v60
	v_perm_b32 v60, s21, v43, v60
	v_or_b32_e32 v53, 0x3020100, v53
	v_and_b32_e32 v56, 0x7070707, v13
	v_perm_b32 v53, v60, v64, v53
	v_perm_b32 v60, s20, v42, v56
	;; [unrolled: 1-line block ×3, first 2 shown]
	v_lshrrev_b32_e32 v56, 1, v57
	v_dot4c_i32_i8_e32 v65, v53, v17
	v_and_b32_e32 v17, 0x7070707, v57
	v_and_b32_e32 v56, 0x4040404, v56
	v_lshrrev_b32_e32 v13, 1, v13
	v_perm_b32 v55, s20, v42, v17
	v_perm_b32 v17, s21, v43, v17
	v_or_b32_e32 v56, 0x3020100, v56
	v_and_b32_e32 v13, 0x4040404, v13
	v_perm_b32 v56, v17, v55, v56
	v_or_b32_e32 v13, 0x3020100, v13
	v_perm_b32 v55, v64, v60, v13
	v_dot4c_i32_i8_e32 v65, v56, v14
	v_ashrrev_i32_e32 v13, 4, v58
	v_dot4c_i32_i8_e32 v65, v55, v18
	v_and_b32_e32 v14, 0x7070707, v58
	v_and_b32_e32 v18, 0x7070707, v13
	v_lshrrev_b32_e32 v58, 1, v58
	v_lshrrev_b32_e32 v13, 1, v13
	v_and_b32_e32 v58, 0x4040404, v58
	v_and_b32_e32 v13, 0x4040404, v13
	v_perm_b32 v17, s20, v42, v14
	v_perm_b32 v57, s20, v42, v18
	v_perm_b32 v14, s21, v43, v14
	v_perm_b32 v18, s21, v43, v18
	v_or_b32_e32 v58, 0x3020100, v58
	v_or_b32_e32 v13, 0x3020100, v13
	v_perm_b32 v58, v14, v17, v58
	v_perm_b32 v57, v18, v57, v13
	v_ashrrev_i32_e32 v13, 4, v59
	v_dot4c_i32_i8_e32 v65, v58, v15
	v_and_b32_e32 v17, 0x7070707, v13
	v_lshrrev_b32_e32 v13, 1, v13
	v_dot4c_i32_i8_e32 v65, v57, v19
	v_lshrrev_b32_e32 v19, 1, v59
	v_and_b32_e32 v13, 0x4040404, v13
	v_and_b32_e32 v14, 0x7070707, v59
	v_perm_b32 v18, s20, v42, v17
	v_perm_b32 v17, s21, v43, v17
	v_and_b32_e32 v19, 0x4040404, v19
	v_or_b32_e32 v13, 0x3020100, v13
	v_perm_b32 v15, s20, v42, v14
	v_perm_b32 v14, s21, v43, v14
	v_or_b32_e32 v19, 0x3020100, v19
	v_perm_b32 v60, v17, v18, v13
	v_add_u32_e32 v13, s9, v41
	v_perm_b32 v59, v14, v15, v19
	v_mad_u64_u32 v[14:15], s[28:29], v13, 36, s[24:25]
	v_dot4c_i32_i8_e32 v65, v59, v16
	v_mad_u64_u32 v[68:69], s[28:29], v2, 36, v[14:15]
	v_dot4c_i32_i8_e32 v65, v60, v63
	global_load_dword v63, v[20:21], off
	s_nop 0
	global_load_dwordx4 v[18:21], v[68:69], off
	global_load_dword v64, v[68:69], off offset:32
	global_load_dwordx4 v[14:17], v[68:69], off offset:16
	v_mov_b32_e32 v68, 0
	s_waitcnt vmcnt(2)
	v_cvt_f32_f16_e32 v13, v18
	v_mul_f32_e32 v18, v12, v39
	v_fmac_f32_e32 v8, v18, v62
	global_load_ubyte v62, v[66:67], off offset:4
	v_bfe_u32 v18, v38, v1, 4
	v_lshrrev_b32_sdwa v38, v5, v61 dst_sel:DWORD dst_unused:UNUSED_PAD src0_sel:DWORD src1_sel:WORD_1
	v_lshrrev_b32_sdwa v61, v10, v63 dst_sel:DWORD dst_unused:UNUSED_PAD src0_sel:DWORD src1_sel:WORD_1
	v_lshlrev_b32_e32 v61, 4, v61
	v_lshlrev_b32_e32 v38, 4, v38
	v_and_or_b32 v18, v38, 48, v18
	v_dot4c_i32_i8_e32 v68, v44, v19
	s_waitcnt vmcnt(1)
	v_dot4c_i32_i8_e32 v68, v45, v15
	v_dot4c_i32_i8_e32 v68, v46, v20
	;; [unrolled: 1-line block ×7, first 2 shown]
	v_subrev_u32_e32 v18, 32, v18
	s_waitcnt vmcnt(0)
	v_bfe_u32 v66, v62, v6, 4
	v_and_or_b32 v38, v61, 48, v66
	v_subrev_u32_e32 v61, 32, v38
	v_cvt_f32_f16_e32 v38, v63
	v_mul_lo_u32 v65, v61, v65
	v_mul_lo_u32 v68, v18, v68
	v_cvt_f32_i32_e32 v69, v68
	v_pk_mul_f32 v[66:67], v[38:39], v[12:13]
	v_mov_b32_e32 v12, 0
	v_dot4c_i32_i8_e32 v12, v54, v19
	v_dot4c_i32_i8_e32 v12, v53, v15
	;; [unrolled: 1-line block ×6, first 2 shown]
	v_lshrrev_b32_sdwa v15, v10, v63 dst_sel:DWORD dst_unused:UNUSED_PAD src0_sel:DWORD src1_sel:WORD_1
	v_dot4c_i32_i8_e32 v12, v59, v14
	v_bfe_u32 v14, v62, v6, 4
	v_lshlrev_b32_e32 v15, 4, v15
	v_and_or_b32 v14, v15, 48, v14
	v_dot4c_i32_i8_e32 v12, v60, v64
	v_subrev_u32_e32 v14, 32, v14
	v_cvt_f32_i32_e32 v68, v65
	v_mul_f32_e32 v13, v13, v38
	v_mul_lo_u32 v12, v14, v12
	v_cvt_f32_i32_e32 v12, v12
	v_pk_fma_f32 v[36:37], v[66:67], v[68:69], v[36:37]
	v_mov_b32_e32 v17, 0
	v_mov_b32_e32 v19, 0
	v_fmac_f32_e32 v11, v13, v12
	v_add_u32_e32 v12, s27, v41
	v_mad_u64_u32 v[12:13], s[28:29], v12, 36, s[24:25]
	v_mad_u64_u32 v[12:13], s[28:29], v2, 36, v[12:13]
	global_load_dwordx4 v[62:65], v[12:13], off
	global_load_dword v15, v[12:13], off offset:32
	global_load_dwordx4 v[66:69], v[12:13], off offset:16
	v_mov_b32_e32 v12, 0
	s_waitcnt vmcnt(2)
	v_dot4c_i32_i8_e32 v12, v44, v63
	v_dot4c_i32_i8_e32 v17, v54, v63
	s_waitcnt vmcnt(0)
	v_dot4c_i32_i8_e32 v12, v45, v67
	v_dot4c_i32_i8_e32 v12, v46, v64
	;; [unrolled: 1-line block ×11, first 2 shown]
	v_mul_lo_u32 v12, v52, v12
	v_cvt_f32_i32_e32 v16, v12
	v_add_u32_e32 v12, s26, v41
	v_dot4c_i32_i8_e32 v17, v57, v69
	v_mad_u64_u32 v[12:13], s[28:29], v12, 36, s[24:25]
	v_dot4c_i32_i8_e32 v17, v59, v66
	v_mad_u64_u32 v[12:13], s[28:29], v2, 36, v[12:13]
	v_dot4c_i32_i8_e32 v17, v60, v15
	global_load_dwordx4 v[64:67], v[12:13], off
	global_load_dword v15, v[12:13], off offset:32
	global_load_dwordx4 v[68:71], v[12:13], off offset:16
	v_cvt_f32_f16_e32 v12, v62
	v_mul_f32_e32 v20, v12, v39
	v_fmac_f32_e32 v4, v20, v16
	v_mul_lo_u32 v20, v61, v17
	v_cvt_f32_i32_e32 v20, v20
	s_waitcnt vmcnt(2)
	v_cvt_f32_f16_e32 v13, v64
	v_dot4c_i32_i8_e32 v19, v44, v65
	s_waitcnt vmcnt(0)
	v_dot4c_i32_i8_e32 v19, v45, v69
	v_dot4c_i32_i8_e32 v19, v46, v66
	v_pk_mul_f32 v[16:17], v[38:39], v[12:13]
	v_mov_b32_e32 v12, 0
	v_dot4c_i32_i8_e32 v12, v54, v65
	v_dot4c_i32_i8_e32 v12, v53, v69
	;; [unrolled: 1-line block ×9, first 2 shown]
	v_mul_f32_e32 v13, v13, v38
	v_dot4c_i32_i8_e32 v19, v48, v67
	v_mul_lo_u32 v12, v14, v12
	v_cvt_f32_i32_e32 v12, v12
	v_dot4c_i32_i8_e32 v19, v49, v71
	v_dot4c_i32_i8_e32 v19, v50, v68
	;; [unrolled: 1-line block ×3, first 2 shown]
	v_fmac_f32_e32 v7, v13, v12
	v_add_u32_e32 v12, s15, v41
	v_mad_u64_u32 v[12:13], s[28:29], v12, 36, s[24:25]
	v_mad_u64_u32 v[12:13], s[28:29], v2, 36, v[12:13]
	global_load_dwordx4 v[62:65], v[12:13], off
	global_load_dword v15, v[12:13], off offset:32
	global_load_dwordx4 v[66:69], v[12:13], off offset:16
	v_mul_lo_u32 v19, v18, v19
	v_mov_b32_e32 v12, 0
	v_cvt_f32_i32_e32 v21, v19
	v_mov_b32_e32 v19, 0
	v_pk_fma_f32 v[34:35], v[16:17], v[20:21], v[34:35]
	v_mov_b32_e32 v17, 0
	s_waitcnt vmcnt(2)
	v_dot4c_i32_i8_e32 v12, v44, v63
	v_dot4c_i32_i8_e32 v17, v54, v63
	s_waitcnt vmcnt(0)
	v_dot4c_i32_i8_e32 v12, v45, v67
	v_dot4c_i32_i8_e32 v12, v46, v64
	;; [unrolled: 1-line block ×11, first 2 shown]
	v_mul_lo_u32 v12, v52, v12
	v_cvt_f32_i32_e32 v16, v12
	v_add_u32_e32 v12, s11, v41
	v_dot4c_i32_i8_e32 v17, v57, v69
	v_mad_u64_u32 v[12:13], s[28:29], v12, 36, s[24:25]
	v_dot4c_i32_i8_e32 v17, v59, v66
	v_mad_u64_u32 v[12:13], s[28:29], v2, 36, v[12:13]
	v_dot4c_i32_i8_e32 v17, v60, v15
	global_load_dwordx4 v[64:67], v[12:13], off
	global_load_dword v15, v[12:13], off offset:32
	global_load_dwordx4 v[68:71], v[12:13], off offset:16
	v_cvt_f32_f16_e32 v12, v62
	v_add_u32_e32 v41, 64, v41
	v_mul_f32_e32 v20, v12, v39
	v_fmac_f32_e32 v0, v20, v16
	v_mul_lo_u32 v20, v61, v17
	s_waitcnt vmcnt(2)
	v_cvt_f32_f16_e32 v13, v64
	v_dot4c_i32_i8_e32 v19, v44, v65
	s_waitcnt vmcnt(0)
	v_dot4c_i32_i8_e32 v19, v45, v69
	v_dot4c_i32_i8_e32 v19, v46, v66
	v_pk_mul_f32 v[16:17], v[38:39], v[12:13]
	v_mov_b32_e32 v12, 0
	v_dot4c_i32_i8_e32 v12, v54, v65
	v_dot4c_i32_i8_e32 v12, v53, v69
	;; [unrolled: 1-line block ×13, first 2 shown]
	v_mul_f32_e32 v13, v13, v38
	s_nop 0
	v_mul_lo_u32 v18, v18, v19
	v_mul_lo_u32 v12, v14, v12
	v_cvt_f32_i32_e32 v19, v18
	v_cvt_f32_i32_e32 v18, v20
	;; [unrolled: 1-line block ×3, first 2 shown]
	v_pk_fma_f32 v[32:33], v[16:17], v[18:19], v[32:33]
	v_fmac_f32_e32 v3, v13, v12
	s_andn2_b64 exec, exec, s[12:13]
	s_cbranch_execnz .LBB249_2
; %bb.3:
	s_or_b64 exec, exec, s[12:13]
	v_mov_b32_e32 v9, v36
	v_mov_b32_e32 v10, v37
	;; [unrolled: 1-line block ×6, first 2 shown]
	scratch_store_dwordx4 off, v[8:11], off
	scratch_store_dwordx4 off, v[4:7], off offset:16
	scratch_store_dwordx4 off, v[0:3], off offset:32
.LBB249_4:
	s_or_b64 exec, exec, s[6:7]
	s_mov_b32 s5, 0
	v_cmp_eq_u32_e32 vcc, 0, v40
	s_waitcnt lgkmcnt(0)
	; wave barrier
	s_and_saveexec_b64 s[6:7], vcc
	s_cbranch_execz .LBB249_17
; %bb.5:
	scratch_load_dwordx2 v[2:3], off, off
	v_mbcnt_lo_u32_b32 v0, -1, 0
	v_mbcnt_hi_u32_b32 v10, -1, v0
	v_and_b32_e32 v0, 64, v10
	v_xor_b32_e32 v1, 32, v10
	v_add_u32_e32 v11, 64, v0
	v_cmp_lt_i32_e32 vcc, v1, v11
	v_xor_b32_e32 v6, 16, v10
	v_xor_b32_e32 v8, 8, v10
	v_cndmask_b32_e32 v0, v10, v1, vcc
	v_lshlrev_b32_e32 v0, 2, v0
	v_cmp_lt_i32_e32 vcc, v6, v11
	v_xor_b32_e32 v9, 4, v10
	v_xor_b32_e32 v12, 2, v10
	v_cndmask_b32_e32 v1, v10, v6, vcc
	v_lshlrev_b32_e32 v1, 2, v1
	v_cmp_lt_i32_e32 vcc, v8, v11
	v_xor_b32_e32 v13, 1, v10
	s_load_dwordx2 s[0:1], s[0:1], 0x38
	s_mul_i32 s2, s3, s14
	s_mul_i32 s4, s4, s18
	s_add_i32 s2, s2, s19
	s_add_i32 s4, s2, s4
	s_lshl_b64 s[2:3], s[4:5], 2
	s_waitcnt lgkmcnt(0)
	s_add_u32 s2, s0, s2
	s_addc_u32 s3, s1, s3
	s_waitcnt vmcnt(0)
	ds_bpermute_b32 v4, v0, v2
	ds_bpermute_b32 v5, v0, v3
	s_waitcnt lgkmcnt(0)
	v_pk_add_f32 v[4:5], v[2:3], v[4:5]
	ds_bpermute_b32 v6, v1, v4
	ds_bpermute_b32 v7, v1, v5
	v_cndmask_b32_e32 v2, v10, v8, vcc
	v_lshlrev_b32_e32 v2, 2, v2
	v_cmp_lt_i32_e32 vcc, v9, v11
	s_waitcnt lgkmcnt(0)
	v_pk_add_f32 v[4:5], v[4:5], v[6:7]
	ds_bpermute_b32 v6, v2, v4
	ds_bpermute_b32 v7, v2, v5
	v_cndmask_b32_e32 v3, v10, v9, vcc
	v_lshlrev_b32_e32 v3, 2, v3
	v_cmp_lt_i32_e32 vcc, v12, v11
	;; [unrolled: 7-line block ×3, first 2 shown]
	s_waitcnt lgkmcnt(0)
	v_pk_add_f32 v[6:7], v[6:7], v[8:9]
	ds_bpermute_b32 v8, v4, v6
	ds_bpermute_b32 v9, v4, v7
	v_cndmask_b32_e32 v5, v10, v13, vcc
	v_lshlrev_b32_e32 v5, 2, v5
	v_or_b32_e32 v10, s19, v22
	v_cmp_gt_u32_e32 vcc, 2, v22
	s_waitcnt lgkmcnt(0)
	v_pk_add_f32 v[6:7], v[6:7], v[8:9]
	ds_bpermute_b32 v8, v5, v6
	ds_bpermute_b32 v9, v5, v7
	v_cmp_gt_u32_e64 s[0:1], s10, v10
	s_and_b64 s[0:1], vcc, s[0:1]
	s_waitcnt lgkmcnt(0)
	v_pk_add_f32 v[6:7], v[6:7], v[8:9]
	scratch_store_dwordx2 off, v[6:7], off
	s_and_saveexec_b64 s[4:5], s[0:1]
	s_cbranch_execz .LBB249_7
; %bb.6:
	scratch_load_dword v6, v23, off
	s_waitcnt vmcnt(0)
	global_store_dword v23, v6, s[2:3]
.LBB249_7:
	s_or_b64 exec, exec, s[4:5]
	scratch_load_dwordx2 v[6:7], off, off offset:8
	s_waitcnt vmcnt(0)
	ds_bpermute_b32 v8, v0, v6
	ds_bpermute_b32 v9, v0, v7
	s_waitcnt lgkmcnt(0)
	v_pk_add_f32 v[6:7], v[6:7], v[8:9]
	ds_bpermute_b32 v8, v1, v6
	ds_bpermute_b32 v9, v1, v7
	s_waitcnt lgkmcnt(0)
	v_pk_add_f32 v[6:7], v[6:7], v[8:9]
	;; [unrolled: 4-line block ×6, first 2 shown]
	scratch_store_dwordx2 off, v[6:7], off offset:8
	s_and_saveexec_b64 s[4:5], s[0:1]
	s_cbranch_execz .LBB249_9
; %bb.8:
	scratch_load_dword v8, v23, off offset:8
	v_add_u32_e32 v6, s10, v22
	v_mov_b32_e32 v7, 0
	v_lshl_add_u64 v[6:7], v[6:7], 2, s[2:3]
	s_waitcnt vmcnt(0)
	global_store_dword v[6:7], v8, off
.LBB249_9:
	s_or_b64 exec, exec, s[4:5]
	scratch_load_dwordx2 v[6:7], off, off offset:16
	s_waitcnt vmcnt(0)
	ds_bpermute_b32 v8, v0, v6
	ds_bpermute_b32 v9, v0, v7
	s_waitcnt lgkmcnt(0)
	v_pk_add_f32 v[6:7], v[6:7], v[8:9]
	ds_bpermute_b32 v8, v1, v6
	ds_bpermute_b32 v9, v1, v7
	s_waitcnt lgkmcnt(0)
	v_pk_add_f32 v[6:7], v[6:7], v[8:9]
	;; [unrolled: 4-line block ×6, first 2 shown]
	scratch_store_dwordx2 off, v[6:7], off offset:16
	s_and_saveexec_b64 s[4:5], s[0:1]
	s_cbranch_execz .LBB249_11
; %bb.10:
	scratch_load_dword v8, v23, off offset:16
	v_lshl_or_b32 v6, s10, 1, v22
	v_mov_b32_e32 v7, 0
	v_lshl_add_u64 v[6:7], v[6:7], 2, s[2:3]
	s_waitcnt vmcnt(0)
	global_store_dword v[6:7], v8, off
.LBB249_11:
	s_or_b64 exec, exec, s[4:5]
	scratch_load_dwordx2 v[6:7], off, off offset:24
	s_waitcnt vmcnt(0)
	ds_bpermute_b32 v8, v0, v6
	ds_bpermute_b32 v9, v0, v7
	s_waitcnt lgkmcnt(0)
	v_pk_add_f32 v[6:7], v[6:7], v[8:9]
	ds_bpermute_b32 v8, v1, v6
	ds_bpermute_b32 v9, v1, v7
	s_waitcnt lgkmcnt(0)
	v_pk_add_f32 v[6:7], v[6:7], v[8:9]
	;; [unrolled: 4-line block ×6, first 2 shown]
	scratch_store_dwordx2 off, v[6:7], off offset:24
	s_and_saveexec_b64 s[4:5], s[0:1]
	s_cbranch_execz .LBB249_13
; %bb.12:
	scratch_load_dword v8, v23, off offset:24
	v_mad_u64_u32 v[6:7], s[6:7], s10, 3, v[22:23]
	v_mov_b32_e32 v7, 0
	v_lshl_add_u64 v[6:7], v[6:7], 2, s[2:3]
	s_waitcnt vmcnt(0)
	global_store_dword v[6:7], v8, off
.LBB249_13:
	s_or_b64 exec, exec, s[4:5]
	scratch_load_dwordx2 v[6:7], off, off offset:32
	s_waitcnt vmcnt(0)
	ds_bpermute_b32 v8, v0, v6
	ds_bpermute_b32 v9, v0, v7
	s_waitcnt lgkmcnt(0)
	v_pk_add_f32 v[6:7], v[6:7], v[8:9]
	ds_bpermute_b32 v8, v1, v6
	ds_bpermute_b32 v9, v1, v7
	s_waitcnt lgkmcnt(0)
	v_pk_add_f32 v[6:7], v[6:7], v[8:9]
	ds_bpermute_b32 v8, v2, v6
	ds_bpermute_b32 v9, v2, v7
	s_waitcnt lgkmcnt(0)
	v_pk_add_f32 v[6:7], v[6:7], v[8:9]
	ds_bpermute_b32 v8, v3, v6
	ds_bpermute_b32 v9, v3, v7
	s_waitcnt lgkmcnt(0)
	v_pk_add_f32 v[6:7], v[6:7], v[8:9]
	ds_bpermute_b32 v8, v4, v6
	ds_bpermute_b32 v9, v4, v7
	s_waitcnt lgkmcnt(0)
	v_pk_add_f32 v[6:7], v[6:7], v[8:9]
	ds_bpermute_b32 v8, v5, v6
	ds_bpermute_b32 v9, v5, v7
	s_waitcnt lgkmcnt(0)
	v_pk_add_f32 v[6:7], v[6:7], v[8:9]
	scratch_store_dwordx2 off, v[6:7], off offset:32
	s_and_saveexec_b64 s[4:5], s[0:1]
	s_cbranch_execz .LBB249_15
; %bb.14:
	scratch_load_dword v8, v23, off offset:32
	v_lshl_or_b32 v6, s10, 2, v22
	v_mov_b32_e32 v7, 0
	v_lshl_add_u64 v[6:7], v[6:7], 2, s[2:3]
	s_waitcnt vmcnt(0)
	global_store_dword v[6:7], v8, off
.LBB249_15:
	s_or_b64 exec, exec, s[4:5]
	scratch_load_dwordx2 v[6:7], off, off offset:40
	s_waitcnt vmcnt(0)
	ds_bpermute_b32 v8, v0, v6
	ds_bpermute_b32 v9, v0, v7
	s_waitcnt lgkmcnt(0)
	v_pk_add_f32 v[6:7], v[6:7], v[8:9]
	ds_bpermute_b32 v0, v1, v6
	ds_bpermute_b32 v1, v1, v7
	s_waitcnt lgkmcnt(0)
	v_pk_add_f32 v[0:1], v[6:7], v[0:1]
	;; [unrolled: 4-line block ×6, first 2 shown]
	scratch_store_dwordx2 off, v[0:1], off offset:40
	s_and_b64 exec, exec, s[0:1]
	s_cbranch_execz .LBB249_17
; %bb.16:
	scratch_load_dword v2, v23, off offset:40
	v_mad_u64_u32 v[0:1], s[0:1], s10, 5, v[22:23]
	v_mov_b32_e32 v1, 0
	v_lshl_add_u64 v[0:1], v[0:1], 2, s[2:3]
	s_waitcnt vmcnt(0)
	global_store_dword v[0:1], v2, off
.LBB249_17:
	s_endpgm
	.section	.rodata,"a",@progbits
	.p2align	6, 0x0
	.amdhsa_kernel _ZL13mul_mat_vec_qIL9ggml_type23ELi6ELb0ELb0EEvPKvS2_PKi31ggml_cuda_mm_fusion_args_devicePfj15HIP_vector_typeIjLj3EEjjjS8_jjjS8_jjjj
		.amdhsa_group_segment_fixed_size 0
		.amdhsa_private_segment_fixed_size 64
		.amdhsa_kernarg_size 144
		.amdhsa_user_sgpr_count 2
		.amdhsa_user_sgpr_dispatch_ptr 0
		.amdhsa_user_sgpr_queue_ptr 0
		.amdhsa_user_sgpr_kernarg_segment_ptr 1
		.amdhsa_user_sgpr_dispatch_id 0
		.amdhsa_user_sgpr_kernarg_preload_length 0
		.amdhsa_user_sgpr_kernarg_preload_offset 0
		.amdhsa_user_sgpr_private_segment_size 0
		.amdhsa_uses_dynamic_stack 0
		.amdhsa_enable_private_segment 1
		.amdhsa_system_sgpr_workgroup_id_x 1
		.amdhsa_system_sgpr_workgroup_id_y 1
		.amdhsa_system_sgpr_workgroup_id_z 1
		.amdhsa_system_sgpr_workgroup_info 0
		.amdhsa_system_vgpr_workitem_id 1
		.amdhsa_next_free_vgpr 72
		.amdhsa_next_free_sgpr 30
		.amdhsa_accum_offset 72
		.amdhsa_reserve_vcc 1
		.amdhsa_float_round_mode_32 0
		.amdhsa_float_round_mode_16_64 0
		.amdhsa_float_denorm_mode_32 3
		.amdhsa_float_denorm_mode_16_64 3
		.amdhsa_dx10_clamp 1
		.amdhsa_ieee_mode 1
		.amdhsa_fp16_overflow 0
		.amdhsa_tg_split 0
		.amdhsa_exception_fp_ieee_invalid_op 0
		.amdhsa_exception_fp_denorm_src 0
		.amdhsa_exception_fp_ieee_div_zero 0
		.amdhsa_exception_fp_ieee_overflow 0
		.amdhsa_exception_fp_ieee_underflow 0
		.amdhsa_exception_fp_ieee_inexact 0
		.amdhsa_exception_int_div_zero 0
	.end_amdhsa_kernel
	.section	.text._ZL13mul_mat_vec_qIL9ggml_type23ELi6ELb0ELb0EEvPKvS2_PKi31ggml_cuda_mm_fusion_args_devicePfj15HIP_vector_typeIjLj3EEjjjS8_jjjS8_jjjj,"axG",@progbits,_ZL13mul_mat_vec_qIL9ggml_type23ELi6ELb0ELb0EEvPKvS2_PKi31ggml_cuda_mm_fusion_args_devicePfj15HIP_vector_typeIjLj3EEjjjS8_jjjS8_jjjj,comdat
.Lfunc_end249:
	.size	_ZL13mul_mat_vec_qIL9ggml_type23ELi6ELb0ELb0EEvPKvS2_PKi31ggml_cuda_mm_fusion_args_devicePfj15HIP_vector_typeIjLj3EEjjjS8_jjjS8_jjjj, .Lfunc_end249-_ZL13mul_mat_vec_qIL9ggml_type23ELi6ELb0ELb0EEvPKvS2_PKi31ggml_cuda_mm_fusion_args_devicePfj15HIP_vector_typeIjLj3EEjjjS8_jjjS8_jjjj
                                        ; -- End function
	.section	.AMDGPU.csdata,"",@progbits
; Kernel info:
; codeLenInByte = 4304
; NumSgprs: 36
; NumVgprs: 72
; NumAgprs: 0
; TotalNumVgprs: 72
; ScratchSize: 64
; MemoryBound: 0
; FloatMode: 240
; IeeeMode: 1
; LDSByteSize: 0 bytes/workgroup (compile time only)
; SGPRBlocks: 4
; VGPRBlocks: 8
; NumSGPRsForWavesPerEU: 36
; NumVGPRsForWavesPerEU: 72
; AccumOffset: 72
; Occupancy: 7
; WaveLimiterHint : 0
; COMPUTE_PGM_RSRC2:SCRATCH_EN: 1
; COMPUTE_PGM_RSRC2:USER_SGPR: 2
; COMPUTE_PGM_RSRC2:TRAP_HANDLER: 0
; COMPUTE_PGM_RSRC2:TGID_X_EN: 1
; COMPUTE_PGM_RSRC2:TGID_Y_EN: 1
; COMPUTE_PGM_RSRC2:TGID_Z_EN: 1
; COMPUTE_PGM_RSRC2:TIDIG_COMP_CNT: 1
; COMPUTE_PGM_RSRC3_GFX90A:ACCUM_OFFSET: 17
; COMPUTE_PGM_RSRC3_GFX90A:TG_SPLIT: 0
	.section	.text._ZL13mul_mat_vec_qIL9ggml_type23ELi7ELb0ELb0EEvPKvS2_PKi31ggml_cuda_mm_fusion_args_devicePfj15HIP_vector_typeIjLj3EEjjjS8_jjjS8_jjjj,"axG",@progbits,_ZL13mul_mat_vec_qIL9ggml_type23ELi7ELb0ELb0EEvPKvS2_PKi31ggml_cuda_mm_fusion_args_devicePfj15HIP_vector_typeIjLj3EEjjjS8_jjjS8_jjjj,comdat
	.globl	_ZL13mul_mat_vec_qIL9ggml_type23ELi7ELb0ELb0EEvPKvS2_PKi31ggml_cuda_mm_fusion_args_devicePfj15HIP_vector_typeIjLj3EEjjjS8_jjjS8_jjjj ; -- Begin function _ZL13mul_mat_vec_qIL9ggml_type23ELi7ELb0ELb0EEvPKvS2_PKi31ggml_cuda_mm_fusion_args_devicePfj15HIP_vector_typeIjLj3EEjjjS8_jjjS8_jjjj
	.p2align	8
	.type	_ZL13mul_mat_vec_qIL9ggml_type23ELi7ELb0ELb0EEvPKvS2_PKi31ggml_cuda_mm_fusion_args_devicePfj15HIP_vector_typeIjLj3EEjjjS8_jjjS8_jjjj,@function
_ZL13mul_mat_vec_qIL9ggml_type23ELi7ELb0ELb0EEvPKvS2_PKi31ggml_cuda_mm_fusion_args_devicePfj15HIP_vector_typeIjLj3EEjjjS8_jjjS8_jjjj: ; @_ZL13mul_mat_vec_qIL9ggml_type23ELi7ELb0ELb0EEvPKvS2_PKi31ggml_cuda_mm_fusion_args_devicePfj15HIP_vector_typeIjLj3EEjjjS8_jjjS8_jjjj
; %bb.0:
	v_bfe_u32 v42, v0, 10, 10
	v_and_b32_e32 v22, 0x3ff, v0
	s_mov_b32 s20, 0
	s_load_dword s6, s[0:1], 0x40
	s_load_dwordx4 s[8:11], s[0:1], 0x50
	s_load_dword s26, s[0:1], 0x60
	s_load_dwordx4 s[12:15], s[0:1], 0x68
	;; [unrolled: 2-line block ×3, first 2 shown]
	v_lshl_or_b32 v4, v42, 6, v22
	s_mov_b32 s21, s20
	s_waitcnt lgkmcnt(0)
	s_lshl_b32 s19, s2, 1
	s_lshr_b32 s2, s6, 8
	v_mov_b32_e32 v25, 0
	s_mov_b32 s22, s20
	s_mov_b32 s23, s20
	v_mov_b64_e32 v[0:1], s[20:21]
	v_lshrrev_b32_e32 v9, 3, v4
	v_mov_b32_e32 v24, v25
	v_mov_b64_e32 v[2:3], s[22:23]
	v_cmp_gt_u32_e32 vcc, s2, v9
	v_lshlrev_b32_e32 v23, 2, v22
	scratch_store_dwordx2 off, v[24:25], off offset:48
	scratch_store_dwordx4 off, v[0:3], off offset:32
	scratch_store_dwordx4 off, v[0:3], off offset:16
	scratch_store_dwordx4 off, v[0:3], off
	s_and_saveexec_b64 s[6:7], vcc
	s_cbranch_execz .LBB250_4
; %bb.1:
	s_load_dwordx4 s[20:23], s[0:1], 0x0
	s_mul_i32 s17, s4, s17
	s_mul_i32 s25, s17, 36
	;; [unrolled: 1-line block ×3, first 2 shown]
	s_mul_hi_u32 s24, s17, 36
	s_waitcnt lgkmcnt(0)
	s_add_u32 s25, s22, s25
	s_addc_u32 s27, s23, s24
	s_mul_i32 s28, s13, 36
	s_mul_hi_u32 s29, s13, 36
	s_add_u32 s24, s25, s28
	s_mul_hi_u32 s11, s11, s3
	s_addc_u32 s25, s27, s29
	s_add_i32 s11, s3, s11
	s_lshr_b32 s11, s11, s26
	s_mul_i32 s11, s11, s12
	s_mul_hi_u32 s12, s15, s4
	s_add_i32 s12, s4, s12
	s_lshr_b32 s5, s12, s5
	s_mul_i32 s5, s5, s16
	s_mul_i32 s12, s19, s8
	s_add_i32 s11, s5, s11
	s_add_i32 s5, s11, s12
	;; [unrolled: 1-line block ×3, first 2 shown]
	v_lshl_add_u32 v3, v42, 6, v22
	s_mul_i32 s8, s8, s12
	v_lshrrev_b32_e32 v3, 3, v3
	s_movk_i32 s12, 0x120
	v_mov_b64_e32 v[12:13], s[28:29]
	v_mad_u64_u32 v[12:13], s[12:13], v3, s12, v[12:13]
	v_and_b32_e32 v2, 7, v22
	v_mad_u64_u32 v[12:13], s[12:13], s17, 36, v[12:13]
	v_and_b32_e32 v0, 28, v23
	;; [unrolled: 2-line block ×3, first 2 shown]
	v_lshrrev_b32_e32 v10, 1, v0
	v_lshl_add_u64 v[12:13], v[12:13], 0, s[22:23]
	v_bfe_u32 v24, v23, 3, 2
	v_mov_b32_e32 v1, v6
	v_mov_b32_e32 v5, v10
	s_add_i32 s8, s11, s8
	v_lshlrev_b32_e32 v43, 3, v9
	s_mul_i32 s11, s9, 6
	s_mul_i32 s15, s9, 5
	s_lshl_b32 s26, s9, 2
	s_mul_i32 s27, s9, 3
	v_lshl_add_u64 v[28:29], v[12:13], 0, 16
	s_lshl_b32 s22, s9, 1
	s_mov_b64 s[12:13], 0
	s_movk_i32 s23, 0x88
	v_mov_b64_e32 v[30:31], s[20:21]
	v_lshlrev_b32_e32 v32, 2, v0
	v_mov_b32_e32 v33, v25
	s_mov_b32 s20, 0xf6eaddcf
	v_mov_b32_e32 v44, 0xbfad9881
	s_mov_b32 s21, 0x71594535
	v_mov_b32_e32 v45, 0x26190d01
	s_mov_b64 s[16:17], 0x900
	v_mov_b32_e32 v27, v25
	v_mov_b32_e32 v26, v25
	;; [unrolled: 1-line block ×14, first 2 shown]
.LBB250_2:                              ; =>This Inner Loop Header: Depth=1
	v_add_u32_e32 v20, s5, v9
	v_mad_i64_i32 v[20:21], s[28:29], v20, s23, v[30:31]
	v_lshl_add_u64 v[40:41], v[20:21], 0, v[32:33]
	global_load_dwordx4 v[12:15], v[28:29], off offset:-16
	global_load_dword v65, v[28:29], off offset:16
	global_load_dwordx4 v[16:19], v[28:29], off
	global_load_dwordx4 v[50:53], v[40:41], off offset:8
	v_mov_b32_e32 v55, 0
	v_mov_b32_e32 v67, 0
	v_lshl_add_u64 v[28:29], v[28:29], 0, s[16:17]
	global_load_dword v63, v[20:21], off
	s_waitcnt vmcnt(4)
	v_cvt_f32_f16_e32 v12, v12
	s_waitcnt vmcnt(1)
	v_ashrrev_i32_e32 v40, 4, v50
	v_and_b32_e32 v47, 0x7070707, v40
	v_lshrrev_b32_e32 v40, 1, v40
	v_lshrrev_b32_e32 v49, 1, v50
	v_and_b32_e32 v40, 0x4040404, v40
	v_and_b32_e32 v41, 0x7070707, v50
	v_perm_b32 v48, s20, v44, v47
	v_perm_b32 v47, s21, v45, v47
	v_and_b32_e32 v49, 0x4040404, v49
	v_or_b32_e32 v40, 0x3020100, v40
	v_perm_b32 v46, s20, v44, v41
	v_perm_b32 v41, s21, v45, v41
	v_or_b32_e32 v49, 0x3020100, v49
	v_perm_b32 v47, v47, v48, v40
	v_ashrrev_i32_e32 v40, 4, v51
	v_perm_b32 v46, v41, v46, v49
	v_and_b32_e32 v49, 0x7070707, v40
	v_lshrrev_b32_e32 v40, 1, v40
	v_and_b32_e32 v41, 0x7070707, v51
	v_lshrrev_b32_e32 v51, 1, v51
	v_and_b32_e32 v40, 0x4040404, v40
	v_perm_b32 v50, s20, v44, v49
	v_perm_b32 v49, s21, v45, v49
	v_and_b32_e32 v51, 0x4040404, v51
	v_or_b32_e32 v40, 0x3020100, v40
	v_perm_b32 v48, s20, v44, v41
	v_perm_b32 v41, s21, v45, v41
	v_or_b32_e32 v51, 0x3020100, v51
	v_perm_b32 v49, v49, v50, v40
	v_ashrrev_i32_e32 v40, 4, v52
	v_perm_b32 v48, v41, v48, v51
	v_and_b32_e32 v51, 0x7070707, v40
	v_lshrrev_b32_e32 v40, 1, v40
	v_and_b32_e32 v41, 0x7070707, v52
	v_lshrrev_b32_e32 v52, 1, v52
	v_and_b32_e32 v40, 0x4040404, v40
	v_perm_b32 v54, s20, v44, v51
	v_perm_b32 v51, s21, v45, v51
	v_and_b32_e32 v52, 0x4040404, v52
	v_or_b32_e32 v40, 0x3020100, v40
	v_perm_b32 v50, s20, v44, v41
	v_perm_b32 v41, s21, v45, v41
	v_or_b32_e32 v52, 0x3020100, v52
	v_perm_b32 v51, v51, v54, v40
	v_ashrrev_i32_e32 v40, 4, v53
	v_perm_b32 v50, v41, v50, v52
	v_and_b32_e32 v41, 0x7070707, v53
	v_and_b32_e32 v54, 0x7070707, v40
	v_lshrrev_b32_e32 v53, 1, v53
	v_lshrrev_b32_e32 v40, 1, v40
	v_and_b32_e32 v53, 0x4040404, v53
	v_and_b32_e32 v40, 0x4040404, v40
	v_perm_b32 v52, s20, v44, v41
	v_perm_b32 v56, s20, v44, v54
	;; [unrolled: 1-line block ×4, first 2 shown]
	v_or_b32_e32 v53, 0x3020100, v53
	v_or_b32_e32 v40, 0x3020100, v40
	v_perm_b32 v52, v41, v52, v53
	v_perm_b32 v53, v54, v56, v40
	v_lshl_add_u64 v[40:41], v[20:21], 0, v[24:25]
	global_load_ubyte v40, v[40:41], off offset:4
	v_dot4c_i32_i8_e32 v55, v46, v13
	v_dot4c_i32_i8_e32 v55, v47, v17
	;; [unrolled: 1-line block ×8, first 2 shown]
	s_waitcnt vmcnt(1)
	v_lshrrev_b32_sdwa v20, v10, v63 dst_sel:DWORD dst_unused:UNUSED_PAD src0_sel:DWORD src1_sel:WORD_1
	v_lshlrev_b32_e32 v20, 4, v20
	s_waitcnt vmcnt(0)
	v_bfe_u32 v41, v40, v6, 4
	v_and_or_b32 v20, v20, 48, v41
	v_subrev_u32_e32 v54, 32, v20
	v_mul_lo_u32 v20, v54, v55
	v_cvt_f32_i32_e32 v64, v20
	v_add_u32_e32 v20, s8, v9
	v_mad_i64_i32 v[20:21], s[28:29], v20, s23, v[30:31]
	v_lshl_add_u64 v[56:57], v[20:21], 0, v[32:33]
	global_load_dwordx4 v[58:61], v[56:57], off offset:8
	v_lshl_add_u64 v[68:69], v[20:21], 0, v[24:25]
	v_cvt_f32_f16_e32 v41, v63
	v_add_u32_e32 v9, 8, v9
	v_cmp_le_u32_e32 vcc, s2, v9
	s_or_b64 s[12:13], vcc, s[12:13]
	s_waitcnt vmcnt(0)
	v_ashrrev_i32_e32 v55, 4, v58
	v_and_b32_e32 v56, 0x7070707, v58
	v_lshrrev_b32_e32 v58, 1, v58
	v_and_b32_e32 v58, 0x4040404, v58
	v_perm_b32 v57, s20, v44, v56
	v_perm_b32 v56, s21, v45, v56
	v_or_b32_e32 v58, 0x3020100, v58
	v_and_b32_e32 v62, 0x7070707, v55
	v_perm_b32 v56, v56, v57, v58
	v_lshrrev_b32_e32 v55, 1, v55
	v_and_b32_e32 v55, 0x4040404, v55
	v_dot4c_i32_i8_e32 v67, v56, v13
	v_ashrrev_i32_e32 v13, 4, v59
	v_perm_b32 v66, s20, v44, v62
	v_perm_b32 v62, s21, v45, v62
	v_or_b32_e32 v55, 0x3020100, v55
	v_and_b32_e32 v58, 0x7070707, v13
	v_perm_b32 v55, v62, v66, v55
	v_perm_b32 v62, s20, v44, v58
	;; [unrolled: 1-line block ×3, first 2 shown]
	v_lshrrev_b32_e32 v58, 1, v59
	v_dot4c_i32_i8_e32 v67, v55, v17
	v_and_b32_e32 v17, 0x7070707, v59
	v_and_b32_e32 v58, 0x4040404, v58
	v_lshrrev_b32_e32 v13, 1, v13
	v_perm_b32 v57, s20, v44, v17
	v_perm_b32 v17, s21, v45, v17
	v_or_b32_e32 v58, 0x3020100, v58
	v_and_b32_e32 v13, 0x4040404, v13
	v_perm_b32 v58, v17, v57, v58
	v_or_b32_e32 v13, 0x3020100, v13
	v_perm_b32 v57, v66, v62, v13
	v_dot4c_i32_i8_e32 v67, v58, v14
	v_ashrrev_i32_e32 v13, 4, v60
	v_dot4c_i32_i8_e32 v67, v57, v18
	v_and_b32_e32 v14, 0x7070707, v60
	v_and_b32_e32 v18, 0x7070707, v13
	v_lshrrev_b32_e32 v60, 1, v60
	v_lshrrev_b32_e32 v13, 1, v13
	v_and_b32_e32 v60, 0x4040404, v60
	v_and_b32_e32 v13, 0x4040404, v13
	v_perm_b32 v17, s20, v44, v14
	v_perm_b32 v59, s20, v44, v18
	;; [unrolled: 1-line block ×4, first 2 shown]
	v_or_b32_e32 v60, 0x3020100, v60
	v_or_b32_e32 v13, 0x3020100, v13
	v_perm_b32 v60, v14, v17, v60
	v_perm_b32 v59, v18, v59, v13
	v_ashrrev_i32_e32 v13, 4, v61
	v_dot4c_i32_i8_e32 v67, v60, v15
	v_and_b32_e32 v17, 0x7070707, v13
	v_lshrrev_b32_e32 v13, 1, v13
	v_dot4c_i32_i8_e32 v67, v59, v19
	v_lshrrev_b32_e32 v19, 1, v61
	v_and_b32_e32 v13, 0x4040404, v13
	v_and_b32_e32 v14, 0x7070707, v61
	v_perm_b32 v18, s20, v44, v17
	v_perm_b32 v17, s21, v45, v17
	v_and_b32_e32 v19, 0x4040404, v19
	v_or_b32_e32 v13, 0x3020100, v13
	v_perm_b32 v15, s20, v44, v14
	v_perm_b32 v14, s21, v45, v14
	v_or_b32_e32 v19, 0x3020100, v19
	v_perm_b32 v62, v17, v18, v13
	v_add_u32_e32 v13, s9, v43
	v_perm_b32 v61, v14, v15, v19
	v_mad_u64_u32 v[14:15], s[28:29], v13, 36, s[24:25]
	v_dot4c_i32_i8_e32 v67, v61, v16
	v_mad_u64_u32 v[70:71], s[28:29], v2, 36, v[14:15]
	v_dot4c_i32_i8_e32 v67, v62, v65
	global_load_dword v65, v[20:21], off
	s_nop 0
	global_load_dwordx4 v[18:21], v[70:71], off
	global_load_dword v66, v[70:71], off offset:32
	global_load_dwordx4 v[14:17], v[70:71], off offset:16
	v_mov_b32_e32 v70, 0
	s_waitcnt vmcnt(2)
	v_cvt_f32_f16_e32 v13, v18
	v_mul_f32_e32 v18, v12, v41
	v_fmac_f32_e32 v8, v18, v64
	global_load_ubyte v64, v[68:69], off offset:4
	v_dot4c_i32_i8_e32 v70, v46, v19
	s_waitcnt vmcnt(1)
	v_dot4c_i32_i8_e32 v70, v47, v15
	v_dot4c_i32_i8_e32 v70, v48, v20
	;; [unrolled: 1-line block ×4, first 2 shown]
	v_bfe_u32 v18, v40, v1, 4
	v_lshrrev_b32_sdwa v40, v5, v63 dst_sel:DWORD dst_unused:UNUSED_PAD src0_sel:DWORD src1_sel:WORD_1
	v_lshrrev_b32_sdwa v63, v10, v65 dst_sel:DWORD dst_unused:UNUSED_PAD src0_sel:DWORD src1_sel:WORD_1
	v_dot4c_i32_i8_e32 v70, v51, v17
	v_lshlrev_b32_e32 v63, 4, v63
	v_lshlrev_b32_e32 v40, 4, v40
	v_dot4c_i32_i8_e32 v70, v52, v14
	v_and_or_b32 v18, v40, 48, v18
	v_dot4c_i32_i8_e32 v70, v53, v66
	v_subrev_u32_e32 v18, 32, v18
	s_waitcnt vmcnt(0)
	v_bfe_u32 v68, v64, v6, 4
	v_and_or_b32 v40, v63, 48, v68
	v_subrev_u32_e32 v63, 32, v40
	v_mul_lo_u32 v67, v63, v67
	v_mul_lo_u32 v70, v18, v70
	v_cvt_f32_i32_e32 v71, v70
	v_cvt_f32_i32_e32 v70, v67
	v_mov_b32_e32 v67, 0
	v_dot4c_i32_i8_e32 v67, v56, v19
	v_dot4c_i32_i8_e32 v67, v55, v15
	;; [unrolled: 1-line block ×3, first 2 shown]
	v_cvt_f32_f16_e32 v40, v65
	v_dot4c_i32_i8_e32 v67, v57, v16
	v_dot4c_i32_i8_e32 v67, v60, v21
	;; [unrolled: 1-line block ×4, first 2 shown]
	v_lshrrev_b32_sdwa v14, v10, v65 dst_sel:DWORD dst_unused:UNUSED_PAD src0_sel:DWORD src1_sel:WORD_1
	v_pk_mul_f32 v[68:69], v[40:41], v[12:13]
	v_bfe_u32 v12, v64, v6, 4
	v_lshlrev_b32_e32 v14, 4, v14
	v_and_or_b32 v12, v14, 48, v12
	v_dot4c_i32_i8_e32 v67, v62, v66
	v_subrev_u32_e32 v12, 32, v12
	v_mul_f32_e32 v13, v13, v40
	v_mov_b32_e32 v19, 0
	v_mul_lo_u32 v14, v12, v67
	v_cvt_f32_i32_e32 v14, v14
	v_pk_fma_f32 v[38:39], v[68:69], v[70:71], v[38:39]
	v_fmac_f32_e32 v11, v13, v14
	v_add_u32_e32 v13, s22, v43
	v_mad_u64_u32 v[14:15], s[28:29], v13, 36, s[24:25]
	v_mad_u64_u32 v[20:21], s[28:29], v2, 36, v[14:15]
	global_load_dwordx4 v[14:17], v[20:21], off
	global_load_dword v13, v[20:21], off offset:32
	global_load_dwordx4 v[64:67], v[20:21], off offset:16
	v_mov_b32_e32 v20, 0
	s_waitcnt vmcnt(2)
	v_dot4c_i32_i8_e32 v19, v46, v15
	v_dot4c_i32_i8_e32 v20, v56, v15
	s_waitcnt vmcnt(0)
	v_dot4c_i32_i8_e32 v19, v47, v65
	v_dot4c_i32_i8_e32 v20, v55, v65
	;; [unrolled: 1-line block ×14, first 2 shown]
	v_add_u32_e32 v13, s27, v43
	v_mad_u64_u32 v[16:17], s[28:29], v13, 36, s[24:25]
	v_mad_u64_u32 v[16:17], s[28:29], v2, 36, v[16:17]
	global_load_dwordx4 v[64:67], v[16:17], off
	global_load_dword v13, v[16:17], off offset:32
	global_load_dwordx4 v[68:71], v[16:17], off offset:16
	v_mov_b32_e32 v16, 0
	v_mul_lo_u32 v19, v54, v19
	v_cvt_f32_f16_e32 v14, v14
	v_cvt_f32_i32_e32 v19, v19
	v_mul_f32_e32 v17, v14, v41
	v_fmac_f32_e32 v4, v17, v19
	v_mul_lo_u32 v19, v63, v20
	s_waitcnt vmcnt(2)
	v_dot4c_i32_i8_e32 v16, v46, v65
	v_cvt_f32_f16_e32 v15, v64
	s_waitcnt vmcnt(0)
	v_dot4c_i32_i8_e32 v16, v47, v69
	v_dot4c_i32_i8_e32 v16, v48, v66
	;; [unrolled: 1-line block ×7, first 2 shown]
	s_nop 2
	v_mul_lo_u32 v20, v18, v16
	v_pk_mul_f32 v[16:17], v[40:41], v[14:15]
	v_mov_b32_e32 v14, 0
	v_dot4c_i32_i8_e32 v14, v56, v65
	v_dot4c_i32_i8_e32 v14, v55, v69
	;; [unrolled: 1-line block ×8, first 2 shown]
	v_cvt_f32_i32_e32 v21, v20
	v_cvt_f32_i32_e32 v20, v19
	v_mov_b32_e32 v19, 0
	v_mul_lo_u32 v13, v12, v14
	v_cvt_f32_i32_e32 v13, v13
	v_mul_f32_e32 v14, v15, v40
	v_pk_fma_f32 v[36:37], v[16:17], v[20:21], v[36:37]
	v_fmac_f32_e32 v7, v14, v13
	v_add_u32_e32 v13, s26, v43
	v_mad_u64_u32 v[14:15], s[28:29], v13, 36, s[24:25]
	v_mad_u64_u32 v[20:21], s[28:29], v2, 36, v[14:15]
	global_load_dwordx4 v[14:17], v[20:21], off
	global_load_dword v13, v[20:21], off offset:32
	global_load_dwordx4 v[64:67], v[20:21], off offset:16
	v_mov_b32_e32 v20, 0
	s_waitcnt vmcnt(2)
	v_dot4c_i32_i8_e32 v19, v46, v15
	v_dot4c_i32_i8_e32 v20, v56, v15
	s_waitcnt vmcnt(0)
	v_dot4c_i32_i8_e32 v19, v47, v65
	v_dot4c_i32_i8_e32 v20, v55, v65
	;; [unrolled: 1-line block ×14, first 2 shown]
	v_add_u32_e32 v13, s15, v43
	v_mad_u64_u32 v[16:17], s[28:29], v13, 36, s[24:25]
	v_mad_u64_u32 v[16:17], s[28:29], v2, 36, v[16:17]
	global_load_dwordx4 v[64:67], v[16:17], off
	global_load_dword v13, v[16:17], off offset:32
	global_load_dwordx4 v[68:71], v[16:17], off offset:16
	v_mov_b32_e32 v16, 0
	v_mul_lo_u32 v19, v54, v19
	v_cvt_f32_f16_e32 v14, v14
	v_cvt_f32_i32_e32 v19, v19
	v_mul_lo_u32 v20, v63, v20
	v_mov_b32_e32 v63, 0
	v_mul_f32_e32 v17, v14, v41
	v_fmac_f32_e32 v0, v17, v19
	s_waitcnt vmcnt(2)
	v_dot4c_i32_i8_e32 v16, v46, v65
	v_cvt_f32_f16_e32 v15, v64
	s_waitcnt vmcnt(0)
	v_dot4c_i32_i8_e32 v16, v47, v69
	v_dot4c_i32_i8_e32 v16, v48, v66
	;; [unrolled: 1-line block ×7, first 2 shown]
	s_nop 2
	v_mul_lo_u32 v18, v18, v16
	v_pk_mul_f32 v[16:17], v[40:41], v[14:15]
	v_mov_b32_e32 v14, 0
	v_dot4c_i32_i8_e32 v14, v56, v65
	v_dot4c_i32_i8_e32 v14, v55, v69
	;; [unrolled: 1-line block ×8, first 2 shown]
	v_cvt_f32_i32_e32 v19, v18
	v_cvt_f32_i32_e32 v18, v20
	v_pk_fma_f32 v[34:35], v[16:17], v[18:19], v[34:35]
	v_mul_lo_u32 v13, v12, v14
	v_cvt_f32_i32_e32 v13, v13
	v_mul_f32_e32 v14, v15, v40
	v_fmac_f32_e32 v3, v14, v13
	v_add_u32_e32 v13, s11, v43
	v_mad_u64_u32 v[14:15], s[28:29], v13, 36, s[24:25]
	v_mad_u64_u32 v[64:65], s[28:29], v2, 36, v[14:15]
	global_load_dword v13, v[64:65], off offset:32
	global_load_dwordx4 v[14:17], v[64:65], off offset:16
	global_load_dwordx4 v[18:21], v[64:65], off
	v_add_u32_e32 v43, 64, v43
	s_waitcnt vmcnt(0)
	v_dot4c_i32_i8_e32 v63, v46, v19
	v_dot4c_i32_i8_e32 v63, v47, v15
	;; [unrolled: 1-line block ×8, first 2 shown]
	v_cvt_f32_f16_e32 v18, v18
	v_mul_f32_e32 v41, v41, v18
	s_nop 0
	v_mul_lo_u32 v46, v54, v63
	v_cvt_f32_i32_e32 v46, v46
	v_fmac_f32_e32 v26, v41, v46
	v_mov_b32_e32 v41, 0
	v_dot4c_i32_i8_e32 v41, v56, v19
	v_dot4c_i32_i8_e32 v41, v55, v15
	;; [unrolled: 1-line block ×8, first 2 shown]
	v_mul_f32_e32 v13, v40, v18
	s_nop 1
	v_mul_lo_u32 v12, v12, v41
	v_cvt_f32_i32_e32 v12, v12
	v_fmac_f32_e32 v27, v13, v12
	s_andn2_b64 exec, exec, s[12:13]
	s_cbranch_execnz .LBB250_2
; %bb.3:
	s_or_b64 exec, exec, s[12:13]
	v_mov_b32_e32 v9, v38
	v_mov_b32_e32 v10, v39
	;; [unrolled: 1-line block ×6, first 2 shown]
	scratch_store_dwordx4 off, v[8:11], off
	scratch_store_dwordx4 off, v[4:7], off offset:16
	scratch_store_dwordx4 off, v[0:3], off offset:32
	scratch_store_dwordx2 off, v[26:27], off offset:48
.LBB250_4:
	s_or_b64 exec, exec, s[6:7]
	s_mov_b32 s5, 0
	v_cmp_eq_u32_e32 vcc, 0, v42
	s_waitcnt lgkmcnt(0)
	; wave barrier
	s_and_saveexec_b64 s[6:7], vcc
	s_cbranch_execz .LBB250_19
; %bb.5:
	scratch_load_dwordx2 v[2:3], off, off
	v_mbcnt_lo_u32_b32 v0, -1, 0
	v_mbcnt_hi_u32_b32 v10, -1, v0
	v_and_b32_e32 v0, 64, v10
	v_xor_b32_e32 v1, 32, v10
	v_add_u32_e32 v11, 64, v0
	v_cmp_lt_i32_e32 vcc, v1, v11
	v_xor_b32_e32 v6, 16, v10
	v_xor_b32_e32 v8, 8, v10
	v_cndmask_b32_e32 v0, v10, v1, vcc
	v_lshlrev_b32_e32 v0, 2, v0
	v_cmp_lt_i32_e32 vcc, v6, v11
	v_xor_b32_e32 v9, 4, v10
	v_xor_b32_e32 v12, 2, v10
	v_cndmask_b32_e32 v1, v10, v6, vcc
	v_lshlrev_b32_e32 v1, 2, v1
	v_cmp_lt_i32_e32 vcc, v8, v11
	v_xor_b32_e32 v13, 1, v10
	s_load_dwordx2 s[0:1], s[0:1], 0x38
	s_mul_i32 s2, s3, s14
	s_mul_i32 s4, s4, s18
	s_add_i32 s2, s2, s19
	s_add_i32 s4, s2, s4
	s_lshl_b64 s[2:3], s[4:5], 2
	s_waitcnt lgkmcnt(0)
	s_add_u32 s2, s0, s2
	s_addc_u32 s3, s1, s3
	s_waitcnt vmcnt(0)
	ds_bpermute_b32 v4, v0, v2
	ds_bpermute_b32 v5, v0, v3
	s_waitcnt lgkmcnt(0)
	v_pk_add_f32 v[4:5], v[2:3], v[4:5]
	ds_bpermute_b32 v6, v1, v4
	ds_bpermute_b32 v7, v1, v5
	v_cndmask_b32_e32 v2, v10, v8, vcc
	v_lshlrev_b32_e32 v2, 2, v2
	v_cmp_lt_i32_e32 vcc, v9, v11
	s_waitcnt lgkmcnt(0)
	v_pk_add_f32 v[4:5], v[4:5], v[6:7]
	ds_bpermute_b32 v6, v2, v4
	ds_bpermute_b32 v7, v2, v5
	v_cndmask_b32_e32 v3, v10, v9, vcc
	v_lshlrev_b32_e32 v3, 2, v3
	v_cmp_lt_i32_e32 vcc, v12, v11
	;; [unrolled: 7-line block ×3, first 2 shown]
	s_waitcnt lgkmcnt(0)
	v_pk_add_f32 v[6:7], v[6:7], v[8:9]
	ds_bpermute_b32 v8, v4, v6
	ds_bpermute_b32 v9, v4, v7
	v_cndmask_b32_e32 v5, v10, v13, vcc
	v_lshlrev_b32_e32 v5, 2, v5
	v_or_b32_e32 v10, s19, v22
	v_cmp_gt_u32_e32 vcc, 2, v22
	s_waitcnt lgkmcnt(0)
	v_pk_add_f32 v[6:7], v[6:7], v[8:9]
	ds_bpermute_b32 v8, v5, v6
	ds_bpermute_b32 v9, v5, v7
	v_cmp_gt_u32_e64 s[0:1], s10, v10
	s_and_b64 s[0:1], vcc, s[0:1]
	s_waitcnt lgkmcnt(0)
	v_pk_add_f32 v[6:7], v[6:7], v[8:9]
	scratch_store_dwordx2 off, v[6:7], off
	s_and_saveexec_b64 s[4:5], s[0:1]
	s_cbranch_execz .LBB250_7
; %bb.6:
	scratch_load_dword v6, v23, off
	s_waitcnt vmcnt(0)
	global_store_dword v23, v6, s[2:3]
.LBB250_7:
	s_or_b64 exec, exec, s[4:5]
	scratch_load_dwordx2 v[6:7], off, off offset:8
	s_waitcnt vmcnt(0)
	ds_bpermute_b32 v8, v0, v6
	ds_bpermute_b32 v9, v0, v7
	s_waitcnt lgkmcnt(0)
	v_pk_add_f32 v[6:7], v[6:7], v[8:9]
	ds_bpermute_b32 v8, v1, v6
	ds_bpermute_b32 v9, v1, v7
	s_waitcnt lgkmcnt(0)
	v_pk_add_f32 v[6:7], v[6:7], v[8:9]
	;; [unrolled: 4-line block ×6, first 2 shown]
	scratch_store_dwordx2 off, v[6:7], off offset:8
	s_and_saveexec_b64 s[4:5], s[0:1]
	s_cbranch_execz .LBB250_9
; %bb.8:
	scratch_load_dword v8, v23, off offset:8
	v_add_u32_e32 v6, s10, v22
	v_mov_b32_e32 v7, 0
	v_lshl_add_u64 v[6:7], v[6:7], 2, s[2:3]
	s_waitcnt vmcnt(0)
	global_store_dword v[6:7], v8, off
.LBB250_9:
	s_or_b64 exec, exec, s[4:5]
	scratch_load_dwordx2 v[6:7], off, off offset:16
	s_waitcnt vmcnt(0)
	ds_bpermute_b32 v8, v0, v6
	ds_bpermute_b32 v9, v0, v7
	s_waitcnt lgkmcnt(0)
	v_pk_add_f32 v[6:7], v[6:7], v[8:9]
	ds_bpermute_b32 v8, v1, v6
	ds_bpermute_b32 v9, v1, v7
	s_waitcnt lgkmcnt(0)
	v_pk_add_f32 v[6:7], v[6:7], v[8:9]
	;; [unrolled: 4-line block ×6, first 2 shown]
	scratch_store_dwordx2 off, v[6:7], off offset:16
	s_and_saveexec_b64 s[4:5], s[0:1]
	s_cbranch_execz .LBB250_11
; %bb.10:
	scratch_load_dword v8, v23, off offset:16
	v_lshl_or_b32 v6, s10, 1, v22
	v_mov_b32_e32 v7, 0
	v_lshl_add_u64 v[6:7], v[6:7], 2, s[2:3]
	s_waitcnt vmcnt(0)
	global_store_dword v[6:7], v8, off
.LBB250_11:
	s_or_b64 exec, exec, s[4:5]
	scratch_load_dwordx2 v[6:7], off, off offset:24
	s_waitcnt vmcnt(0)
	ds_bpermute_b32 v8, v0, v6
	ds_bpermute_b32 v9, v0, v7
	s_waitcnt lgkmcnt(0)
	v_pk_add_f32 v[6:7], v[6:7], v[8:9]
	ds_bpermute_b32 v8, v1, v6
	ds_bpermute_b32 v9, v1, v7
	s_waitcnt lgkmcnt(0)
	v_pk_add_f32 v[6:7], v[6:7], v[8:9]
	;; [unrolled: 4-line block ×6, first 2 shown]
	scratch_store_dwordx2 off, v[6:7], off offset:24
	s_and_saveexec_b64 s[4:5], s[0:1]
	s_cbranch_execz .LBB250_13
; %bb.12:
	scratch_load_dword v8, v23, off offset:24
	v_mad_u64_u32 v[6:7], s[6:7], s10, 3, v[22:23]
	v_mov_b32_e32 v7, 0
	v_lshl_add_u64 v[6:7], v[6:7], 2, s[2:3]
	s_waitcnt vmcnt(0)
	global_store_dword v[6:7], v8, off
.LBB250_13:
	s_or_b64 exec, exec, s[4:5]
	scratch_load_dwordx2 v[6:7], off, off offset:32
	s_waitcnt vmcnt(0)
	ds_bpermute_b32 v8, v0, v6
	ds_bpermute_b32 v9, v0, v7
	s_waitcnt lgkmcnt(0)
	v_pk_add_f32 v[6:7], v[6:7], v[8:9]
	ds_bpermute_b32 v8, v1, v6
	ds_bpermute_b32 v9, v1, v7
	s_waitcnt lgkmcnt(0)
	v_pk_add_f32 v[6:7], v[6:7], v[8:9]
	;; [unrolled: 4-line block ×6, first 2 shown]
	scratch_store_dwordx2 off, v[6:7], off offset:32
	s_and_saveexec_b64 s[4:5], s[0:1]
	s_cbranch_execz .LBB250_15
; %bb.14:
	scratch_load_dword v8, v23, off offset:32
	v_lshl_or_b32 v6, s10, 2, v22
	v_mov_b32_e32 v7, 0
	v_lshl_add_u64 v[6:7], v[6:7], 2, s[2:3]
	s_waitcnt vmcnt(0)
	global_store_dword v[6:7], v8, off
.LBB250_15:
	s_or_b64 exec, exec, s[4:5]
	scratch_load_dwordx2 v[6:7], off, off offset:40
	s_waitcnt vmcnt(0)
	ds_bpermute_b32 v8, v0, v6
	ds_bpermute_b32 v9, v0, v7
	s_waitcnt lgkmcnt(0)
	v_pk_add_f32 v[6:7], v[6:7], v[8:9]
	ds_bpermute_b32 v8, v1, v6
	ds_bpermute_b32 v9, v1, v7
	s_waitcnt lgkmcnt(0)
	v_pk_add_f32 v[6:7], v[6:7], v[8:9]
	;; [unrolled: 4-line block ×6, first 2 shown]
	scratch_store_dwordx2 off, v[6:7], off offset:40
	s_and_saveexec_b64 s[4:5], s[0:1]
	s_cbranch_execz .LBB250_17
; %bb.16:
	scratch_load_dword v8, v23, off offset:40
	v_mad_u64_u32 v[6:7], s[6:7], s10, 5, v[22:23]
	v_mov_b32_e32 v7, 0
	v_lshl_add_u64 v[6:7], v[6:7], 2, s[2:3]
	s_waitcnt vmcnt(0)
	global_store_dword v[6:7], v8, off
.LBB250_17:
	s_or_b64 exec, exec, s[4:5]
	scratch_load_dwordx2 v[6:7], off, off offset:48
	s_waitcnt vmcnt(0)
	ds_bpermute_b32 v8, v0, v6
	ds_bpermute_b32 v9, v0, v7
	s_waitcnt lgkmcnt(0)
	v_pk_add_f32 v[6:7], v[6:7], v[8:9]
	ds_bpermute_b32 v0, v1, v6
	ds_bpermute_b32 v1, v1, v7
	s_waitcnt lgkmcnt(0)
	v_pk_add_f32 v[0:1], v[6:7], v[0:1]
	;; [unrolled: 4-line block ×6, first 2 shown]
	scratch_store_dwordx2 off, v[0:1], off offset:48
	s_and_b64 exec, exec, s[0:1]
	s_cbranch_execz .LBB250_19
; %bb.18:
	scratch_load_dword v2, v23, off offset:48
	s_mul_i32 s0, s10, 6
	v_or_b32_e32 v0, s0, v22
	v_mov_b32_e32 v1, 0
	v_lshl_add_u64 v[0:1], v[0:1], 2, s[2:3]
	s_waitcnt vmcnt(0)
	global_store_dword v[0:1], v2, off
.LBB250_19:
	s_endpgm
	.section	.rodata,"a",@progbits
	.p2align	6, 0x0
	.amdhsa_kernel _ZL13mul_mat_vec_qIL9ggml_type23ELi7ELb0ELb0EEvPKvS2_PKi31ggml_cuda_mm_fusion_args_devicePfj15HIP_vector_typeIjLj3EEjjjS8_jjjS8_jjjj
		.amdhsa_group_segment_fixed_size 0
		.amdhsa_private_segment_fixed_size 64
		.amdhsa_kernarg_size 144
		.amdhsa_user_sgpr_count 2
		.amdhsa_user_sgpr_dispatch_ptr 0
		.amdhsa_user_sgpr_queue_ptr 0
		.amdhsa_user_sgpr_kernarg_segment_ptr 1
		.amdhsa_user_sgpr_dispatch_id 0
		.amdhsa_user_sgpr_kernarg_preload_length 0
		.amdhsa_user_sgpr_kernarg_preload_offset 0
		.amdhsa_user_sgpr_private_segment_size 0
		.amdhsa_uses_dynamic_stack 0
		.amdhsa_enable_private_segment 1
		.amdhsa_system_sgpr_workgroup_id_x 1
		.amdhsa_system_sgpr_workgroup_id_y 1
		.amdhsa_system_sgpr_workgroup_id_z 1
		.amdhsa_system_sgpr_workgroup_info 0
		.amdhsa_system_vgpr_workitem_id 1
		.amdhsa_next_free_vgpr 72
		.amdhsa_next_free_sgpr 30
		.amdhsa_accum_offset 72
		.amdhsa_reserve_vcc 1
		.amdhsa_float_round_mode_32 0
		.amdhsa_float_round_mode_16_64 0
		.amdhsa_float_denorm_mode_32 3
		.amdhsa_float_denorm_mode_16_64 3
		.amdhsa_dx10_clamp 1
		.amdhsa_ieee_mode 1
		.amdhsa_fp16_overflow 0
		.amdhsa_tg_split 0
		.amdhsa_exception_fp_ieee_invalid_op 0
		.amdhsa_exception_fp_denorm_src 0
		.amdhsa_exception_fp_ieee_div_zero 0
		.amdhsa_exception_fp_ieee_overflow 0
		.amdhsa_exception_fp_ieee_underflow 0
		.amdhsa_exception_fp_ieee_inexact 0
		.amdhsa_exception_int_div_zero 0
	.end_amdhsa_kernel
	.section	.text._ZL13mul_mat_vec_qIL9ggml_type23ELi7ELb0ELb0EEvPKvS2_PKi31ggml_cuda_mm_fusion_args_devicePfj15HIP_vector_typeIjLj3EEjjjS8_jjjS8_jjjj,"axG",@progbits,_ZL13mul_mat_vec_qIL9ggml_type23ELi7ELb0ELb0EEvPKvS2_PKi31ggml_cuda_mm_fusion_args_devicePfj15HIP_vector_typeIjLj3EEjjjS8_jjjS8_jjjj,comdat
.Lfunc_end250:
	.size	_ZL13mul_mat_vec_qIL9ggml_type23ELi7ELb0ELb0EEvPKvS2_PKi31ggml_cuda_mm_fusion_args_devicePfj15HIP_vector_typeIjLj3EEjjjS8_jjjS8_jjjj, .Lfunc_end250-_ZL13mul_mat_vec_qIL9ggml_type23ELi7ELb0ELb0EEvPKvS2_PKi31ggml_cuda_mm_fusion_args_devicePfj15HIP_vector_typeIjLj3EEjjjS8_jjjS8_jjjj
                                        ; -- End function
	.section	.AMDGPU.csdata,"",@progbits
; Kernel info:
; codeLenInByte = 4752
; NumSgprs: 36
; NumVgprs: 72
; NumAgprs: 0
; TotalNumVgprs: 72
; ScratchSize: 64
; MemoryBound: 0
; FloatMode: 240
; IeeeMode: 1
; LDSByteSize: 0 bytes/workgroup (compile time only)
; SGPRBlocks: 4
; VGPRBlocks: 8
; NumSGPRsForWavesPerEU: 36
; NumVGPRsForWavesPerEU: 72
; AccumOffset: 72
; Occupancy: 7
; WaveLimiterHint : 0
; COMPUTE_PGM_RSRC2:SCRATCH_EN: 1
; COMPUTE_PGM_RSRC2:USER_SGPR: 2
; COMPUTE_PGM_RSRC2:TRAP_HANDLER: 0
; COMPUTE_PGM_RSRC2:TGID_X_EN: 1
; COMPUTE_PGM_RSRC2:TGID_Y_EN: 1
; COMPUTE_PGM_RSRC2:TGID_Z_EN: 1
; COMPUTE_PGM_RSRC2:TIDIG_COMP_CNT: 1
; COMPUTE_PGM_RSRC3_GFX90A:ACCUM_OFFSET: 17
; COMPUTE_PGM_RSRC3_GFX90A:TG_SPLIT: 0
	.section	.text._ZL13mul_mat_vec_qIL9ggml_type23ELi8ELb0ELb0EEvPKvS2_PKi31ggml_cuda_mm_fusion_args_devicePfj15HIP_vector_typeIjLj3EEjjjS8_jjjS8_jjjj,"axG",@progbits,_ZL13mul_mat_vec_qIL9ggml_type23ELi8ELb0ELb0EEvPKvS2_PKi31ggml_cuda_mm_fusion_args_devicePfj15HIP_vector_typeIjLj3EEjjjS8_jjjS8_jjjj,comdat
	.globl	_ZL13mul_mat_vec_qIL9ggml_type23ELi8ELb0ELb0EEvPKvS2_PKi31ggml_cuda_mm_fusion_args_devicePfj15HIP_vector_typeIjLj3EEjjjS8_jjjS8_jjjj ; -- Begin function _ZL13mul_mat_vec_qIL9ggml_type23ELi8ELb0ELb0EEvPKvS2_PKi31ggml_cuda_mm_fusion_args_devicePfj15HIP_vector_typeIjLj3EEjjjS8_jjjS8_jjjj
	.p2align	8
	.type	_ZL13mul_mat_vec_qIL9ggml_type23ELi8ELb0ELb0EEvPKvS2_PKi31ggml_cuda_mm_fusion_args_devicePfj15HIP_vector_typeIjLj3EEjjjS8_jjjS8_jjjj,@function
_ZL13mul_mat_vec_qIL9ggml_type23ELi8ELb0ELb0EEvPKvS2_PKi31ggml_cuda_mm_fusion_args_devicePfj15HIP_vector_typeIjLj3EEjjjS8_jjjS8_jjjj: ; @_ZL13mul_mat_vec_qIL9ggml_type23ELi8ELb0ELb0EEvPKvS2_PKi31ggml_cuda_mm_fusion_args_devicePfj15HIP_vector_typeIjLj3EEjjjS8_jjjS8_jjjj
; %bb.0:
	v_bfe_u32 v46, v0, 10, 10
	v_and_b32_e32 v26, 0x3ff, v0
	s_mov_b32 s20, 0
	s_load_dword s6, s[0:1], 0x40
	s_load_dwordx4 s[8:11], s[0:1], 0x50
	s_load_dword s26, s[0:1], 0x60
	s_load_dwordx4 s[12:15], s[0:1], 0x68
	;; [unrolled: 2-line block ×3, first 2 shown]
	v_lshl_or_b32 v4, v46, 6, v26
	s_mov_b32 s21, s20
	s_waitcnt lgkmcnt(0)
	s_lshl_b32 s19, s2, 1
	s_lshr_b32 s2, s6, 8
	s_mov_b32 s22, s20
	s_mov_b32 s23, s20
	v_mov_b64_e32 v[0:1], s[20:21]
	v_lshrrev_b32_e32 v9, 3, v4
	v_mov_b64_e32 v[2:3], s[22:23]
	v_cmp_gt_u32_e32 vcc, s2, v9
	v_lshlrev_b32_e32 v27, 2, v26
	scratch_store_dwordx4 off, v[0:3], off offset:48
	scratch_store_dwordx4 off, v[0:3], off offset:32
	;; [unrolled: 1-line block ×3, first 2 shown]
	scratch_store_dwordx4 off, v[0:3], off
	s_and_saveexec_b64 s[6:7], vcc
	s_cbranch_execz .LBB251_4
; %bb.1:
	s_load_dwordx4 s[20:23], s[0:1], 0x0
	s_mul_i32 s17, s4, s17
	s_mul_i32 s25, s17, 36
	s_mul_i32 s13, s3, s13
	s_mul_hi_u32 s24, s17, 36
	s_waitcnt lgkmcnt(0)
	s_add_u32 s25, s22, s25
	s_addc_u32 s27, s23, s24
	s_mul_i32 s28, s13, 36
	s_mul_hi_u32 s29, s13, 36
	s_add_u32 s24, s25, s28
	s_mul_hi_u32 s11, s11, s3
	s_addc_u32 s25, s27, s29
	s_add_i32 s11, s3, s11
	s_lshr_b32 s11, s11, s26
	s_mul_i32 s11, s11, s12
	s_mul_hi_u32 s12, s15, s4
	s_add_i32 s12, s4, s12
	s_lshr_b32 s5, s12, s5
	s_mul_i32 s5, s5, s16
	s_mul_i32 s12, s19, s8
	s_add_i32 s11, s5, s11
	s_add_i32 s5, s11, s12
	;; [unrolled: 1-line block ×3, first 2 shown]
	v_lshl_add_u32 v3, v46, 6, v26
	s_mul_i32 s8, s8, s12
	v_lshrrev_b32_e32 v3, 3, v3
	s_movk_i32 s12, 0x120
	v_mov_b64_e32 v[14:15], s[28:29]
	v_mad_u64_u32 v[14:15], s[12:13], v3, s12, v[14:15]
	v_and_b32_e32 v2, 7, v26
	v_mad_u64_u32 v[14:15], s[12:13], s17, 36, v[14:15]
	v_and_b32_e32 v0, 28, v27
	v_mad_u64_u32 v[14:15], s[12:13], v2, 36, v[14:15]
	v_mov_b32_e32 v29, 0
	v_and_b32_e32 v6, 4, v27
	v_lshrrev_b32_e32 v10, 1, v0
	v_lshl_add_u64 v[14:15], v[14:15], 0, s[22:23]
	v_bfe_u32 v28, v27, 3, 2
	v_mov_b32_e32 v1, v6
	v_mov_b32_e32 v5, v10
	s_add_i32 s8, s11, s8
	v_lshlrev_b32_e32 v13, 3, v9
	s_mul_i32 s11, s9, 7
	s_mul_i32 s15, s9, 6
	s_mul_i32 s26, s9, 5
	s_lshl_b32 s27, s9, 2
	v_lshl_add_u64 v[30:31], v[14:15], 0, 16
	s_lshl_b32 s22, s9, 1
	s_mul_i32 s23, s9, 3
	s_mov_b64 s[12:13], 0
	s_movk_i32 s28, 0x88
	v_mov_b64_e32 v[34:35], s[20:21]
	v_lshlrev_b32_e32 v36, 2, v0
	v_mov_b32_e32 v37, v29
	s_mov_b32 s20, 0xf6eaddcf
	v_mov_b32_e32 v14, 0xbfad9881
	s_mov_b32 s21, 0x71594535
	v_mov_b32_e32 v47, 0x26190d01
	s_mov_b64 s[16:17], 0x900
	v_mov_b32_e32 v3, v29
	v_mov_b32_e32 v0, v29
	;; [unrolled: 1-line block ×16, first 2 shown]
.LBB251_2:                              ; =>This Inner Loop Header: Depth=1
	v_add_u32_e32 v24, s5, v9
	v_mad_i64_i32 v[24:25], s[30:31], v24, s28, v[34:35]
	v_lshl_add_u64 v[44:45], v[24:25], 0, v[36:37]
	global_load_dwordx4 v[16:19], v[30:31], off offset:-16
	global_load_dword v67, v[30:31], off offset:16
	global_load_dwordx4 v[20:23], v[30:31], off
	global_load_dwordx4 v[52:55], v[44:45], off offset:8
	v_mov_b32_e32 v57, 0
	v_mov_b32_e32 v69, 0
	v_lshl_add_u64 v[30:31], v[30:31], 0, s[16:17]
	global_load_dword v65, v[24:25], off
	s_waitcnt vmcnt(4)
	v_cvt_f32_f16_e32 v16, v16
	s_waitcnt vmcnt(1)
	v_ashrrev_i32_e32 v44, 4, v52
	v_and_b32_e32 v49, 0x7070707, v44
	v_lshrrev_b32_e32 v44, 1, v44
	v_lshrrev_b32_e32 v51, 1, v52
	v_and_b32_e32 v44, 0x4040404, v44
	v_and_b32_e32 v45, 0x7070707, v52
	v_perm_b32 v50, s20, v14, v49
	v_perm_b32 v49, s21, v47, v49
	v_and_b32_e32 v51, 0x4040404, v51
	v_or_b32_e32 v44, 0x3020100, v44
	v_perm_b32 v48, s20, v14, v45
	v_perm_b32 v45, s21, v47, v45
	v_or_b32_e32 v51, 0x3020100, v51
	v_perm_b32 v49, v49, v50, v44
	v_ashrrev_i32_e32 v44, 4, v53
	v_perm_b32 v48, v45, v48, v51
	v_and_b32_e32 v51, 0x7070707, v44
	v_lshrrev_b32_e32 v44, 1, v44
	v_and_b32_e32 v45, 0x7070707, v53
	v_lshrrev_b32_e32 v53, 1, v53
	v_and_b32_e32 v44, 0x4040404, v44
	v_perm_b32 v52, s20, v14, v51
	v_perm_b32 v51, s21, v47, v51
	v_and_b32_e32 v53, 0x4040404, v53
	v_or_b32_e32 v44, 0x3020100, v44
	v_perm_b32 v50, s20, v14, v45
	v_perm_b32 v45, s21, v47, v45
	v_or_b32_e32 v53, 0x3020100, v53
	v_perm_b32 v51, v51, v52, v44
	v_ashrrev_i32_e32 v44, 4, v54
	v_perm_b32 v50, v45, v50, v53
	v_and_b32_e32 v53, 0x7070707, v44
	v_lshrrev_b32_e32 v44, 1, v44
	v_and_b32_e32 v45, 0x7070707, v54
	v_lshrrev_b32_e32 v54, 1, v54
	v_and_b32_e32 v44, 0x4040404, v44
	v_perm_b32 v56, s20, v14, v53
	v_perm_b32 v53, s21, v47, v53
	v_and_b32_e32 v54, 0x4040404, v54
	v_or_b32_e32 v44, 0x3020100, v44
	v_perm_b32 v52, s20, v14, v45
	v_perm_b32 v45, s21, v47, v45
	v_or_b32_e32 v54, 0x3020100, v54
	v_perm_b32 v53, v53, v56, v44
	v_ashrrev_i32_e32 v44, 4, v55
	v_perm_b32 v52, v45, v52, v54
	v_and_b32_e32 v45, 0x7070707, v55
	v_and_b32_e32 v56, 0x7070707, v44
	v_lshrrev_b32_e32 v55, 1, v55
	v_lshrrev_b32_e32 v44, 1, v44
	v_and_b32_e32 v55, 0x4040404, v55
	v_and_b32_e32 v44, 0x4040404, v44
	v_perm_b32 v54, s20, v14, v45
	v_perm_b32 v58, s20, v14, v56
	;; [unrolled: 1-line block ×4, first 2 shown]
	v_or_b32_e32 v55, 0x3020100, v55
	v_or_b32_e32 v44, 0x3020100, v44
	v_perm_b32 v54, v45, v54, v55
	v_perm_b32 v55, v56, v58, v44
	v_lshl_add_u64 v[44:45], v[24:25], 0, v[28:29]
	global_load_ubyte v44, v[44:45], off offset:4
	v_dot4c_i32_i8_e32 v57, v48, v17
	v_dot4c_i32_i8_e32 v57, v49, v21
	;; [unrolled: 1-line block ×8, first 2 shown]
	s_waitcnt vmcnt(1)
	v_lshrrev_b32_sdwa v24, v10, v65 dst_sel:DWORD dst_unused:UNUSED_PAD src0_sel:DWORD src1_sel:WORD_1
	v_lshlrev_b32_e32 v24, 4, v24
	s_waitcnt vmcnt(0)
	v_bfe_u32 v45, v44, v6, 4
	v_and_or_b32 v24, v24, 48, v45
	v_subrev_u32_e32 v56, 32, v24
	v_mul_lo_u32 v24, v56, v57
	v_cvt_f32_i32_e32 v66, v24
	v_add_u32_e32 v24, s8, v9
	v_mad_i64_i32 v[24:25], s[30:31], v24, s28, v[34:35]
	v_lshl_add_u64 v[58:59], v[24:25], 0, v[36:37]
	global_load_dwordx4 v[60:63], v[58:59], off offset:8
	v_lshl_add_u64 v[70:71], v[24:25], 0, v[28:29]
	v_cvt_f32_f16_e32 v45, v65
	v_add_u32_e32 v9, 8, v9
	v_cmp_le_u32_e32 vcc, s2, v9
	s_or_b64 s[12:13], vcc, s[12:13]
	s_waitcnt vmcnt(0)
	v_ashrrev_i32_e32 v57, 4, v60
	v_and_b32_e32 v58, 0x7070707, v60
	v_lshrrev_b32_e32 v60, 1, v60
	v_and_b32_e32 v60, 0x4040404, v60
	v_perm_b32 v59, s20, v14, v58
	v_perm_b32 v58, s21, v47, v58
	v_or_b32_e32 v60, 0x3020100, v60
	v_and_b32_e32 v64, 0x7070707, v57
	v_perm_b32 v58, v58, v59, v60
	v_lshrrev_b32_e32 v57, 1, v57
	v_and_b32_e32 v57, 0x4040404, v57
	v_dot4c_i32_i8_e32 v69, v58, v17
	v_ashrrev_i32_e32 v17, 4, v61
	v_perm_b32 v68, s20, v14, v64
	v_perm_b32 v64, s21, v47, v64
	v_or_b32_e32 v57, 0x3020100, v57
	v_and_b32_e32 v60, 0x7070707, v17
	v_perm_b32 v57, v64, v68, v57
	v_perm_b32 v64, s20, v14, v60
	;; [unrolled: 1-line block ×3, first 2 shown]
	v_lshrrev_b32_e32 v60, 1, v61
	v_dot4c_i32_i8_e32 v69, v57, v21
	v_and_b32_e32 v21, 0x7070707, v61
	v_and_b32_e32 v60, 0x4040404, v60
	v_lshrrev_b32_e32 v17, 1, v17
	v_perm_b32 v59, s20, v14, v21
	v_perm_b32 v21, s21, v47, v21
	v_or_b32_e32 v60, 0x3020100, v60
	v_and_b32_e32 v17, 0x4040404, v17
	v_perm_b32 v60, v21, v59, v60
	v_or_b32_e32 v17, 0x3020100, v17
	v_perm_b32 v59, v68, v64, v17
	v_dot4c_i32_i8_e32 v69, v60, v18
	v_ashrrev_i32_e32 v17, 4, v62
	v_dot4c_i32_i8_e32 v69, v59, v22
	v_and_b32_e32 v18, 0x7070707, v62
	v_and_b32_e32 v22, 0x7070707, v17
	v_lshrrev_b32_e32 v62, 1, v62
	v_lshrrev_b32_e32 v17, 1, v17
	v_and_b32_e32 v62, 0x4040404, v62
	v_and_b32_e32 v17, 0x4040404, v17
	v_perm_b32 v21, s20, v14, v18
	v_perm_b32 v61, s20, v14, v22
	;; [unrolled: 1-line block ×4, first 2 shown]
	v_or_b32_e32 v62, 0x3020100, v62
	v_or_b32_e32 v17, 0x3020100, v17
	v_perm_b32 v62, v18, v21, v62
	v_perm_b32 v61, v22, v61, v17
	v_ashrrev_i32_e32 v17, 4, v63
	v_dot4c_i32_i8_e32 v69, v62, v19
	v_and_b32_e32 v21, 0x7070707, v17
	v_lshrrev_b32_e32 v17, 1, v17
	v_dot4c_i32_i8_e32 v69, v61, v23
	v_lshrrev_b32_e32 v23, 1, v63
	v_and_b32_e32 v17, 0x4040404, v17
	v_and_b32_e32 v18, 0x7070707, v63
	v_perm_b32 v22, s20, v14, v21
	v_perm_b32 v21, s21, v47, v21
	v_and_b32_e32 v23, 0x4040404, v23
	v_or_b32_e32 v17, 0x3020100, v17
	v_perm_b32 v19, s20, v14, v18
	v_perm_b32 v18, s21, v47, v18
	v_or_b32_e32 v23, 0x3020100, v23
	v_perm_b32 v64, v21, v22, v17
	v_add_u32_e32 v17, s9, v13
	v_perm_b32 v63, v18, v19, v23
	v_mad_u64_u32 v[18:19], s[30:31], v17, 36, s[24:25]
	v_dot4c_i32_i8_e32 v69, v63, v20
	v_mad_u64_u32 v[72:73], s[30:31], v2, 36, v[18:19]
	v_dot4c_i32_i8_e32 v69, v64, v67
	global_load_dword v67, v[24:25], off
	s_nop 0
	global_load_dwordx4 v[22:25], v[72:73], off
	global_load_dword v68, v[72:73], off offset:32
	global_load_dwordx4 v[18:21], v[72:73], off offset:16
	v_mov_b32_e32 v72, 0
	s_waitcnt vmcnt(2)
	v_cvt_f32_f16_e32 v17, v22
	v_mul_f32_e32 v22, v16, v45
	v_fmac_f32_e32 v12, v22, v66
	global_load_ubyte v66, v[70:71], off offset:4
	v_bfe_u32 v22, v44, v1, 4
	v_lshrrev_b32_sdwa v44, v5, v65 dst_sel:DWORD dst_unused:UNUSED_PAD src0_sel:DWORD src1_sel:WORD_1
	v_lshrrev_b32_sdwa v65, v10, v67 dst_sel:DWORD dst_unused:UNUSED_PAD src0_sel:DWORD src1_sel:WORD_1
	v_lshlrev_b32_e32 v65, 4, v65
	v_lshlrev_b32_e32 v44, 4, v44
	v_and_or_b32 v22, v44, 48, v22
	v_dot4c_i32_i8_e32 v72, v48, v23
	s_waitcnt vmcnt(1)
	v_dot4c_i32_i8_e32 v72, v49, v19
	v_dot4c_i32_i8_e32 v72, v50, v24
	;; [unrolled: 1-line block ×7, first 2 shown]
	v_subrev_u32_e32 v22, 32, v22
	s_waitcnt vmcnt(0)
	v_bfe_u32 v70, v66, v6, 4
	v_and_or_b32 v44, v65, 48, v70
	v_subrev_u32_e32 v65, 32, v44
	v_cvt_f32_f16_e32 v44, v67
	v_mul_lo_u32 v69, v65, v69
	v_mul_lo_u32 v72, v22, v72
	v_cvt_f32_i32_e32 v73, v72
	v_pk_mul_f32 v[70:71], v[44:45], v[16:17]
	v_mov_b32_e32 v16, 0
	v_dot4c_i32_i8_e32 v16, v58, v23
	v_dot4c_i32_i8_e32 v16, v57, v19
	;; [unrolled: 1-line block ×6, first 2 shown]
	v_lshrrev_b32_sdwa v19, v10, v67 dst_sel:DWORD dst_unused:UNUSED_PAD src0_sel:DWORD src1_sel:WORD_1
	v_dot4c_i32_i8_e32 v16, v63, v18
	v_bfe_u32 v18, v66, v6, 4
	v_lshlrev_b32_e32 v19, 4, v19
	v_and_or_b32 v18, v19, 48, v18
	v_dot4c_i32_i8_e32 v16, v64, v68
	v_subrev_u32_e32 v18, 32, v18
	v_cvt_f32_i32_e32 v72, v69
	v_mul_f32_e32 v17, v17, v44
	v_mul_lo_u32 v16, v18, v16
	v_cvt_f32_i32_e32 v16, v16
	v_pk_fma_f32 v[42:43], v[70:71], v[72:73], v[42:43]
	v_mov_b32_e32 v21, 0
	v_mov_b32_e32 v23, 0
	v_fmac_f32_e32 v15, v17, v16
	v_add_u32_e32 v16, s22, v13
	v_mad_u64_u32 v[16:17], s[30:31], v16, 36, s[24:25]
	v_mad_u64_u32 v[16:17], s[30:31], v2, 36, v[16:17]
	global_load_dwordx4 v[66:69], v[16:17], off
	global_load_dword v19, v[16:17], off offset:32
	global_load_dwordx4 v[70:73], v[16:17], off offset:16
	v_mov_b32_e32 v16, 0
	s_waitcnt vmcnt(2)
	v_dot4c_i32_i8_e32 v16, v48, v67
	v_dot4c_i32_i8_e32 v21, v58, v67
	s_waitcnt vmcnt(0)
	v_dot4c_i32_i8_e32 v16, v49, v71
	v_dot4c_i32_i8_e32 v16, v50, v68
	;; [unrolled: 1-line block ×11, first 2 shown]
	v_mul_lo_u32 v16, v56, v16
	v_cvt_f32_i32_e32 v20, v16
	v_add_u32_e32 v16, s23, v13
	v_dot4c_i32_i8_e32 v21, v61, v73
	v_mad_u64_u32 v[16:17], s[30:31], v16, 36, s[24:25]
	v_dot4c_i32_i8_e32 v21, v63, v70
	v_mad_u64_u32 v[16:17], s[30:31], v2, 36, v[16:17]
	v_dot4c_i32_i8_e32 v21, v64, v19
	global_load_dwordx4 v[68:71], v[16:17], off
	global_load_dword v19, v[16:17], off offset:32
	global_load_dwordx4 v[72:75], v[16:17], off offset:16
	v_cvt_f32_f16_e32 v16, v66
	v_mul_f32_e32 v24, v16, v45
	v_fmac_f32_e32 v8, v24, v20
	v_mul_lo_u32 v24, v65, v21
	v_cvt_f32_i32_e32 v24, v24
	s_waitcnt vmcnt(2)
	v_cvt_f32_f16_e32 v17, v68
	v_dot4c_i32_i8_e32 v23, v48, v69
	s_waitcnt vmcnt(0)
	v_dot4c_i32_i8_e32 v23, v49, v73
	v_dot4c_i32_i8_e32 v23, v50, v70
	v_pk_mul_f32 v[20:21], v[44:45], v[16:17]
	v_mov_b32_e32 v16, 0
	v_dot4c_i32_i8_e32 v16, v58, v69
	v_dot4c_i32_i8_e32 v16, v57, v73
	;; [unrolled: 1-line block ×9, first 2 shown]
	v_mul_f32_e32 v17, v17, v44
	v_dot4c_i32_i8_e32 v23, v52, v71
	v_mul_lo_u32 v16, v18, v16
	v_cvt_f32_i32_e32 v16, v16
	v_dot4c_i32_i8_e32 v23, v53, v75
	v_dot4c_i32_i8_e32 v23, v54, v72
	;; [unrolled: 1-line block ×3, first 2 shown]
	v_fmac_f32_e32 v11, v17, v16
	v_add_u32_e32 v16, s27, v13
	v_mad_u64_u32 v[16:17], s[30:31], v16, 36, s[24:25]
	v_mad_u64_u32 v[16:17], s[30:31], v2, 36, v[16:17]
	global_load_dwordx4 v[66:69], v[16:17], off
	global_load_dword v19, v[16:17], off offset:32
	global_load_dwordx4 v[70:73], v[16:17], off offset:16
	v_mul_lo_u32 v23, v22, v23
	v_mov_b32_e32 v16, 0
	v_cvt_f32_i32_e32 v25, v23
	v_mov_b32_e32 v23, 0
	v_pk_fma_f32 v[40:41], v[20:21], v[24:25], v[40:41]
	v_mov_b32_e32 v21, 0
	s_waitcnt vmcnt(2)
	v_dot4c_i32_i8_e32 v16, v48, v67
	v_dot4c_i32_i8_e32 v21, v58, v67
	s_waitcnt vmcnt(0)
	v_dot4c_i32_i8_e32 v16, v49, v71
	v_dot4c_i32_i8_e32 v16, v50, v68
	v_dot4c_i32_i8_e32 v16, v51, v72
	v_dot4c_i32_i8_e32 v16, v52, v69
	v_dot4c_i32_i8_e32 v16, v53, v73
	v_dot4c_i32_i8_e32 v16, v54, v70
	v_dot4c_i32_i8_e32 v21, v57, v71
	v_dot4c_i32_i8_e32 v16, v55, v19
	v_dot4c_i32_i8_e32 v21, v60, v68
	v_dot4c_i32_i8_e32 v21, v59, v72
	v_dot4c_i32_i8_e32 v21, v62, v69
	v_mul_lo_u32 v16, v56, v16
	v_cvt_f32_i32_e32 v20, v16
	v_add_u32_e32 v16, s26, v13
	v_dot4c_i32_i8_e32 v21, v61, v73
	v_mad_u64_u32 v[16:17], s[30:31], v16, 36, s[24:25]
	v_dot4c_i32_i8_e32 v21, v63, v70
	v_mad_u64_u32 v[16:17], s[30:31], v2, 36, v[16:17]
	v_dot4c_i32_i8_e32 v21, v64, v19
	global_load_dwordx4 v[68:71], v[16:17], off
	global_load_dword v19, v[16:17], off offset:32
	global_load_dwordx4 v[72:75], v[16:17], off offset:16
	v_cvt_f32_f16_e32 v16, v66
	v_mul_f32_e32 v24, v16, v45
	v_fmac_f32_e32 v4, v24, v20
	v_mul_lo_u32 v24, v65, v21
	v_cvt_f32_i32_e32 v24, v24
	s_waitcnt vmcnt(2)
	v_cvt_f32_f16_e32 v17, v68
	v_dot4c_i32_i8_e32 v23, v48, v69
	s_waitcnt vmcnt(0)
	v_dot4c_i32_i8_e32 v23, v49, v73
	v_dot4c_i32_i8_e32 v23, v50, v70
	v_pk_mul_f32 v[20:21], v[44:45], v[16:17]
	v_mov_b32_e32 v16, 0
	v_dot4c_i32_i8_e32 v16, v58, v69
	v_dot4c_i32_i8_e32 v16, v57, v73
	;; [unrolled: 1-line block ×9, first 2 shown]
	v_mul_f32_e32 v17, v17, v44
	v_dot4c_i32_i8_e32 v23, v52, v71
	v_mul_lo_u32 v16, v18, v16
	v_cvt_f32_i32_e32 v16, v16
	v_dot4c_i32_i8_e32 v23, v53, v75
	v_dot4c_i32_i8_e32 v23, v54, v72
	;; [unrolled: 1-line block ×3, first 2 shown]
	v_fmac_f32_e32 v7, v17, v16
	v_add_u32_e32 v16, s15, v13
	v_mad_u64_u32 v[16:17], s[30:31], v16, 36, s[24:25]
	v_mad_u64_u32 v[16:17], s[30:31], v2, 36, v[16:17]
	global_load_dwordx4 v[66:69], v[16:17], off
	global_load_dword v19, v[16:17], off offset:32
	global_load_dwordx4 v[70:73], v[16:17], off offset:16
	v_mul_lo_u32 v23, v22, v23
	v_mov_b32_e32 v16, 0
	v_cvt_f32_i32_e32 v25, v23
	v_mov_b32_e32 v23, 0
	v_pk_fma_f32 v[38:39], v[20:21], v[24:25], v[38:39]
	v_mov_b32_e32 v21, 0
	s_waitcnt vmcnt(2)
	v_dot4c_i32_i8_e32 v16, v48, v67
	v_dot4c_i32_i8_e32 v21, v58, v67
	s_waitcnt vmcnt(0)
	v_dot4c_i32_i8_e32 v16, v49, v71
	v_dot4c_i32_i8_e32 v16, v50, v68
	;; [unrolled: 1-line block ×11, first 2 shown]
	v_mul_lo_u32 v16, v56, v16
	v_cvt_f32_i32_e32 v20, v16
	v_add_u32_e32 v16, s11, v13
	v_dot4c_i32_i8_e32 v21, v61, v73
	v_mad_u64_u32 v[16:17], s[30:31], v16, 36, s[24:25]
	v_dot4c_i32_i8_e32 v21, v63, v70
	v_mad_u64_u32 v[16:17], s[30:31], v2, 36, v[16:17]
	v_dot4c_i32_i8_e32 v21, v64, v19
	global_load_dwordx4 v[68:71], v[16:17], off
	global_load_dword v19, v[16:17], off offset:32
	global_load_dwordx4 v[72:75], v[16:17], off offset:16
	v_cvt_f32_f16_e32 v16, v66
	v_add_u32_e32 v13, 64, v13
	v_mul_f32_e32 v24, v16, v45
	v_fmac_f32_e32 v0, v24, v20
	v_mul_lo_u32 v24, v65, v21
	s_waitcnt vmcnt(2)
	v_cvt_f32_f16_e32 v17, v68
	v_dot4c_i32_i8_e32 v23, v48, v69
	s_waitcnt vmcnt(0)
	v_dot4c_i32_i8_e32 v23, v49, v73
	v_dot4c_i32_i8_e32 v23, v50, v70
	v_pk_mul_f32 v[20:21], v[44:45], v[16:17]
	v_mov_b32_e32 v16, 0
	v_dot4c_i32_i8_e32 v16, v58, v69
	v_dot4c_i32_i8_e32 v16, v57, v73
	v_dot4c_i32_i8_e32 v16, v60, v70
	v_dot4c_i32_i8_e32 v23, v51, v74
	v_dot4c_i32_i8_e32 v16, v59, v74
	v_dot4c_i32_i8_e32 v23, v52, v71
	v_dot4c_i32_i8_e32 v16, v62, v71
	v_dot4c_i32_i8_e32 v23, v53, v75
	v_dot4c_i32_i8_e32 v16, v61, v75
	v_dot4c_i32_i8_e32 v23, v54, v72
	v_dot4c_i32_i8_e32 v16, v63, v72
	v_dot4c_i32_i8_e32 v23, v55, v19
	v_dot4c_i32_i8_e32 v16, v64, v19
	v_mul_f32_e32 v17, v17, v44
	s_nop 0
	v_mul_lo_u32 v22, v22, v23
	v_mul_lo_u32 v16, v18, v16
	v_cvt_f32_i32_e32 v23, v22
	v_cvt_f32_i32_e32 v22, v24
	v_cvt_f32_i32_e32 v16, v16
	v_pk_fma_f32 v[32:33], v[20:21], v[22:23], v[32:33]
	v_fmac_f32_e32 v3, v17, v16
	s_andn2_b64 exec, exec, s[12:13]
	s_cbranch_execnz .LBB251_2
; %bb.3:
	s_or_b64 exec, exec, s[12:13]
	v_mov_b32_e32 v13, v42
	v_mov_b32_e32 v14, v43
	;; [unrolled: 1-line block ×8, first 2 shown]
	scratch_store_dwordx4 off, v[12:15], off
	scratch_store_dwordx4 off, v[8:11], off offset:16
	scratch_store_dwordx4 off, v[4:7], off offset:32
	;; [unrolled: 1-line block ×3, first 2 shown]
.LBB251_4:
	s_or_b64 exec, exec, s[6:7]
	s_mov_b32 s5, 0
	v_cmp_eq_u32_e32 vcc, 0, v46
	s_waitcnt lgkmcnt(0)
	; wave barrier
	s_and_saveexec_b64 s[6:7], vcc
	s_cbranch_execz .LBB251_21
; %bb.5:
	scratch_load_dwordx2 v[2:3], off, off
	v_mbcnt_lo_u32_b32 v0, -1, 0
	v_mbcnt_hi_u32_b32 v10, -1, v0
	v_and_b32_e32 v0, 64, v10
	v_xor_b32_e32 v1, 32, v10
	v_add_u32_e32 v11, 64, v0
	v_cmp_lt_i32_e32 vcc, v1, v11
	v_xor_b32_e32 v6, 16, v10
	v_xor_b32_e32 v8, 8, v10
	v_cndmask_b32_e32 v0, v10, v1, vcc
	v_lshlrev_b32_e32 v0, 2, v0
	v_cmp_lt_i32_e32 vcc, v6, v11
	v_xor_b32_e32 v9, 4, v10
	v_xor_b32_e32 v12, 2, v10
	v_cndmask_b32_e32 v1, v10, v6, vcc
	v_lshlrev_b32_e32 v1, 2, v1
	v_cmp_lt_i32_e32 vcc, v8, v11
	v_xor_b32_e32 v13, 1, v10
	s_load_dwordx2 s[0:1], s[0:1], 0x38
	s_mul_i32 s2, s3, s14
	s_mul_i32 s4, s4, s18
	s_add_i32 s2, s2, s19
	s_add_i32 s4, s2, s4
	s_lshl_b64 s[2:3], s[4:5], 2
	s_waitcnt lgkmcnt(0)
	s_add_u32 s2, s0, s2
	s_addc_u32 s3, s1, s3
	s_waitcnt vmcnt(0)
	ds_bpermute_b32 v4, v0, v2
	ds_bpermute_b32 v5, v0, v3
	s_waitcnt lgkmcnt(0)
	v_pk_add_f32 v[4:5], v[2:3], v[4:5]
	ds_bpermute_b32 v6, v1, v4
	ds_bpermute_b32 v7, v1, v5
	v_cndmask_b32_e32 v2, v10, v8, vcc
	v_lshlrev_b32_e32 v2, 2, v2
	v_cmp_lt_i32_e32 vcc, v9, v11
	s_waitcnt lgkmcnt(0)
	v_pk_add_f32 v[4:5], v[4:5], v[6:7]
	ds_bpermute_b32 v6, v2, v4
	ds_bpermute_b32 v7, v2, v5
	v_cndmask_b32_e32 v3, v10, v9, vcc
	v_lshlrev_b32_e32 v3, 2, v3
	v_cmp_lt_i32_e32 vcc, v12, v11
	;; [unrolled: 7-line block ×3, first 2 shown]
	s_waitcnt lgkmcnt(0)
	v_pk_add_f32 v[6:7], v[6:7], v[8:9]
	ds_bpermute_b32 v8, v4, v6
	ds_bpermute_b32 v9, v4, v7
	v_cndmask_b32_e32 v5, v10, v13, vcc
	v_lshlrev_b32_e32 v5, 2, v5
	v_or_b32_e32 v10, s19, v26
	v_cmp_gt_u32_e32 vcc, 2, v26
	s_waitcnt lgkmcnt(0)
	v_pk_add_f32 v[6:7], v[6:7], v[8:9]
	ds_bpermute_b32 v8, v5, v6
	ds_bpermute_b32 v9, v5, v7
	v_cmp_gt_u32_e64 s[0:1], s10, v10
	s_and_b64 s[0:1], vcc, s[0:1]
	s_waitcnt lgkmcnt(0)
	v_pk_add_f32 v[6:7], v[6:7], v[8:9]
	scratch_store_dwordx2 off, v[6:7], off
	s_and_saveexec_b64 s[4:5], s[0:1]
	s_cbranch_execz .LBB251_7
; %bb.6:
	scratch_load_dword v6, v27, off
	s_waitcnt vmcnt(0)
	global_store_dword v27, v6, s[2:3]
.LBB251_7:
	s_or_b64 exec, exec, s[4:5]
	scratch_load_dwordx2 v[6:7], off, off offset:8
	s_waitcnt vmcnt(0)
	ds_bpermute_b32 v8, v0, v6
	ds_bpermute_b32 v9, v0, v7
	s_waitcnt lgkmcnt(0)
	v_pk_add_f32 v[6:7], v[6:7], v[8:9]
	ds_bpermute_b32 v8, v1, v6
	ds_bpermute_b32 v9, v1, v7
	s_waitcnt lgkmcnt(0)
	v_pk_add_f32 v[6:7], v[6:7], v[8:9]
	ds_bpermute_b32 v8, v2, v6
	ds_bpermute_b32 v9, v2, v7
	s_waitcnt lgkmcnt(0)
	v_pk_add_f32 v[6:7], v[6:7], v[8:9]
	ds_bpermute_b32 v8, v3, v6
	ds_bpermute_b32 v9, v3, v7
	s_waitcnt lgkmcnt(0)
	v_pk_add_f32 v[6:7], v[6:7], v[8:9]
	ds_bpermute_b32 v8, v4, v6
	ds_bpermute_b32 v9, v4, v7
	s_waitcnt lgkmcnt(0)
	v_pk_add_f32 v[6:7], v[6:7], v[8:9]
	ds_bpermute_b32 v8, v5, v6
	ds_bpermute_b32 v9, v5, v7
	s_waitcnt lgkmcnt(0)
	v_pk_add_f32 v[6:7], v[6:7], v[8:9]
	scratch_store_dwordx2 off, v[6:7], off offset:8
	s_and_saveexec_b64 s[4:5], s[0:1]
	s_cbranch_execz .LBB251_9
; %bb.8:
	scratch_load_dword v8, v27, off offset:8
	v_add_u32_e32 v6, s10, v26
	v_mov_b32_e32 v7, 0
	v_lshl_add_u64 v[6:7], v[6:7], 2, s[2:3]
	s_waitcnt vmcnt(0)
	global_store_dword v[6:7], v8, off
.LBB251_9:
	s_or_b64 exec, exec, s[4:5]
	scratch_load_dwordx2 v[6:7], off, off offset:16
	s_waitcnt vmcnt(0)
	ds_bpermute_b32 v8, v0, v6
	ds_bpermute_b32 v9, v0, v7
	s_waitcnt lgkmcnt(0)
	v_pk_add_f32 v[6:7], v[6:7], v[8:9]
	ds_bpermute_b32 v8, v1, v6
	ds_bpermute_b32 v9, v1, v7
	s_waitcnt lgkmcnt(0)
	v_pk_add_f32 v[6:7], v[6:7], v[8:9]
	;; [unrolled: 4-line block ×6, first 2 shown]
	scratch_store_dwordx2 off, v[6:7], off offset:16
	s_and_saveexec_b64 s[4:5], s[0:1]
	s_cbranch_execz .LBB251_11
; %bb.10:
	scratch_load_dword v8, v27, off offset:16
	v_lshl_or_b32 v6, s10, 1, v26
	v_mov_b32_e32 v7, 0
	v_lshl_add_u64 v[6:7], v[6:7], 2, s[2:3]
	s_waitcnt vmcnt(0)
	global_store_dword v[6:7], v8, off
.LBB251_11:
	s_or_b64 exec, exec, s[4:5]
	scratch_load_dwordx2 v[6:7], off, off offset:24
	s_waitcnt vmcnt(0)
	ds_bpermute_b32 v8, v0, v6
	ds_bpermute_b32 v9, v0, v7
	s_waitcnt lgkmcnt(0)
	v_pk_add_f32 v[6:7], v[6:7], v[8:9]
	ds_bpermute_b32 v8, v1, v6
	ds_bpermute_b32 v9, v1, v7
	s_waitcnt lgkmcnt(0)
	v_pk_add_f32 v[6:7], v[6:7], v[8:9]
	;; [unrolled: 4-line block ×6, first 2 shown]
	scratch_store_dwordx2 off, v[6:7], off offset:24
	s_and_saveexec_b64 s[4:5], s[0:1]
	s_cbranch_execz .LBB251_13
; %bb.12:
	scratch_load_dword v8, v27, off offset:24
	v_mad_u64_u32 v[6:7], s[6:7], s10, 3, v[26:27]
	v_mov_b32_e32 v7, 0
	v_lshl_add_u64 v[6:7], v[6:7], 2, s[2:3]
	s_waitcnt vmcnt(0)
	global_store_dword v[6:7], v8, off
.LBB251_13:
	s_or_b64 exec, exec, s[4:5]
	scratch_load_dwordx2 v[6:7], off, off offset:32
	s_waitcnt vmcnt(0)
	ds_bpermute_b32 v8, v0, v6
	ds_bpermute_b32 v9, v0, v7
	s_waitcnt lgkmcnt(0)
	v_pk_add_f32 v[6:7], v[6:7], v[8:9]
	ds_bpermute_b32 v8, v1, v6
	ds_bpermute_b32 v9, v1, v7
	s_waitcnt lgkmcnt(0)
	v_pk_add_f32 v[6:7], v[6:7], v[8:9]
	;; [unrolled: 4-line block ×6, first 2 shown]
	scratch_store_dwordx2 off, v[6:7], off offset:32
	s_and_saveexec_b64 s[4:5], s[0:1]
	s_cbranch_execz .LBB251_15
; %bb.14:
	scratch_load_dword v8, v27, off offset:32
	v_lshl_or_b32 v6, s10, 2, v26
	v_mov_b32_e32 v7, 0
	v_lshl_add_u64 v[6:7], v[6:7], 2, s[2:3]
	s_waitcnt vmcnt(0)
	global_store_dword v[6:7], v8, off
.LBB251_15:
	s_or_b64 exec, exec, s[4:5]
	scratch_load_dwordx2 v[6:7], off, off offset:40
	s_waitcnt vmcnt(0)
	ds_bpermute_b32 v8, v0, v6
	ds_bpermute_b32 v9, v0, v7
	s_waitcnt lgkmcnt(0)
	v_pk_add_f32 v[6:7], v[6:7], v[8:9]
	ds_bpermute_b32 v8, v1, v6
	ds_bpermute_b32 v9, v1, v7
	s_waitcnt lgkmcnt(0)
	v_pk_add_f32 v[6:7], v[6:7], v[8:9]
	;; [unrolled: 4-line block ×6, first 2 shown]
	scratch_store_dwordx2 off, v[6:7], off offset:40
	s_and_saveexec_b64 s[4:5], s[0:1]
	s_cbranch_execz .LBB251_17
; %bb.16:
	scratch_load_dword v8, v27, off offset:40
	v_mad_u64_u32 v[6:7], s[6:7], s10, 5, v[26:27]
	v_mov_b32_e32 v7, 0
	v_lshl_add_u64 v[6:7], v[6:7], 2, s[2:3]
	s_waitcnt vmcnt(0)
	global_store_dword v[6:7], v8, off
.LBB251_17:
	s_or_b64 exec, exec, s[4:5]
	scratch_load_dwordx2 v[6:7], off, off offset:48
	s_waitcnt vmcnt(0)
	ds_bpermute_b32 v8, v0, v6
	ds_bpermute_b32 v9, v0, v7
	s_waitcnt lgkmcnt(0)
	v_pk_add_f32 v[6:7], v[6:7], v[8:9]
	ds_bpermute_b32 v8, v1, v6
	ds_bpermute_b32 v9, v1, v7
	s_waitcnt lgkmcnt(0)
	v_pk_add_f32 v[6:7], v[6:7], v[8:9]
	;; [unrolled: 4-line block ×6, first 2 shown]
	scratch_store_dwordx2 off, v[6:7], off offset:48
	s_and_saveexec_b64 s[4:5], s[0:1]
	s_cbranch_execz .LBB251_19
; %bb.18:
	scratch_load_dword v8, v27, off offset:48
	s_mul_i32 s6, s10, 6
	v_or_b32_e32 v6, s6, v26
	v_mov_b32_e32 v7, 0
	v_lshl_add_u64 v[6:7], v[6:7], 2, s[2:3]
	s_waitcnt vmcnt(0)
	global_store_dword v[6:7], v8, off
.LBB251_19:
	s_or_b64 exec, exec, s[4:5]
	scratch_load_dwordx2 v[6:7], off, off offset:56
	s_waitcnt vmcnt(0)
	ds_bpermute_b32 v8, v0, v6
	ds_bpermute_b32 v9, v0, v7
	s_waitcnt lgkmcnt(0)
	v_pk_add_f32 v[6:7], v[6:7], v[8:9]
	ds_bpermute_b32 v0, v1, v6
	ds_bpermute_b32 v1, v1, v7
	s_waitcnt lgkmcnt(0)
	v_pk_add_f32 v[0:1], v[6:7], v[0:1]
	;; [unrolled: 4-line block ×6, first 2 shown]
	scratch_store_dwordx2 off, v[0:1], off offset:56
	s_and_b64 exec, exec, s[0:1]
	s_cbranch_execz .LBB251_21
; %bb.20:
	scratch_load_dword v2, v27, off offset:56
	v_mad_u64_u32 v[0:1], s[0:1], s10, 7, v[26:27]
	v_mov_b32_e32 v1, 0
	v_lshl_add_u64 v[0:1], v[0:1], 2, s[2:3]
	s_waitcnt vmcnt(0)
	global_store_dword v[0:1], v2, off
.LBB251_21:
	s_endpgm
	.section	.rodata,"a",@progbits
	.p2align	6, 0x0
	.amdhsa_kernel _ZL13mul_mat_vec_qIL9ggml_type23ELi8ELb0ELb0EEvPKvS2_PKi31ggml_cuda_mm_fusion_args_devicePfj15HIP_vector_typeIjLj3EEjjjS8_jjjS8_jjjj
		.amdhsa_group_segment_fixed_size 0
		.amdhsa_private_segment_fixed_size 80
		.amdhsa_kernarg_size 144
		.amdhsa_user_sgpr_count 2
		.amdhsa_user_sgpr_dispatch_ptr 0
		.amdhsa_user_sgpr_queue_ptr 0
		.amdhsa_user_sgpr_kernarg_segment_ptr 1
		.amdhsa_user_sgpr_dispatch_id 0
		.amdhsa_user_sgpr_kernarg_preload_length 0
		.amdhsa_user_sgpr_kernarg_preload_offset 0
		.amdhsa_user_sgpr_private_segment_size 0
		.amdhsa_uses_dynamic_stack 0
		.amdhsa_enable_private_segment 1
		.amdhsa_system_sgpr_workgroup_id_x 1
		.amdhsa_system_sgpr_workgroup_id_y 1
		.amdhsa_system_sgpr_workgroup_id_z 1
		.amdhsa_system_sgpr_workgroup_info 0
		.amdhsa_system_vgpr_workitem_id 1
		.amdhsa_next_free_vgpr 76
		.amdhsa_next_free_sgpr 32
		.amdhsa_accum_offset 76
		.amdhsa_reserve_vcc 1
		.amdhsa_float_round_mode_32 0
		.amdhsa_float_round_mode_16_64 0
		.amdhsa_float_denorm_mode_32 3
		.amdhsa_float_denorm_mode_16_64 3
		.amdhsa_dx10_clamp 1
		.amdhsa_ieee_mode 1
		.amdhsa_fp16_overflow 0
		.amdhsa_tg_split 0
		.amdhsa_exception_fp_ieee_invalid_op 0
		.amdhsa_exception_fp_denorm_src 0
		.amdhsa_exception_fp_ieee_div_zero 0
		.amdhsa_exception_fp_ieee_overflow 0
		.amdhsa_exception_fp_ieee_underflow 0
		.amdhsa_exception_fp_ieee_inexact 0
		.amdhsa_exception_int_div_zero 0
	.end_amdhsa_kernel
	.section	.text._ZL13mul_mat_vec_qIL9ggml_type23ELi8ELb0ELb0EEvPKvS2_PKi31ggml_cuda_mm_fusion_args_devicePfj15HIP_vector_typeIjLj3EEjjjS8_jjjS8_jjjj,"axG",@progbits,_ZL13mul_mat_vec_qIL9ggml_type23ELi8ELb0ELb0EEvPKvS2_PKi31ggml_cuda_mm_fusion_args_devicePfj15HIP_vector_typeIjLj3EEjjjS8_jjjS8_jjjj,comdat
.Lfunc_end251:
	.size	_ZL13mul_mat_vec_qIL9ggml_type23ELi8ELb0ELb0EEvPKvS2_PKi31ggml_cuda_mm_fusion_args_devicePfj15HIP_vector_typeIjLj3EEjjjS8_jjjS8_jjjj, .Lfunc_end251-_ZL13mul_mat_vec_qIL9ggml_type23ELi8ELb0ELb0EEvPKvS2_PKi31ggml_cuda_mm_fusion_args_devicePfj15HIP_vector_typeIjLj3EEjjjS8_jjjS8_jjjj
                                        ; -- End function
	.section	.AMDGPU.csdata,"",@progbits
; Kernel info:
; codeLenInByte = 5168
; NumSgprs: 38
; NumVgprs: 76
; NumAgprs: 0
; TotalNumVgprs: 76
; ScratchSize: 80
; MemoryBound: 0
; FloatMode: 240
; IeeeMode: 1
; LDSByteSize: 0 bytes/workgroup (compile time only)
; SGPRBlocks: 4
; VGPRBlocks: 9
; NumSGPRsForWavesPerEU: 38
; NumVGPRsForWavesPerEU: 76
; AccumOffset: 76
; Occupancy: 6
; WaveLimiterHint : 0
; COMPUTE_PGM_RSRC2:SCRATCH_EN: 1
; COMPUTE_PGM_RSRC2:USER_SGPR: 2
; COMPUTE_PGM_RSRC2:TRAP_HANDLER: 0
; COMPUTE_PGM_RSRC2:TGID_X_EN: 1
; COMPUTE_PGM_RSRC2:TGID_Y_EN: 1
; COMPUTE_PGM_RSRC2:TGID_Z_EN: 1
; COMPUTE_PGM_RSRC2:TIDIG_COMP_CNT: 1
; COMPUTE_PGM_RSRC3_GFX90A:ACCUM_OFFSET: 18
; COMPUTE_PGM_RSRC3_GFX90A:TG_SPLIT: 0
	.section	.text._ZL17mul_mat_vec_q_moeIL9ggml_type21ELi2EEvPKvS2_PKiPfj15HIP_vector_typeIjLj3EEjjjjjjjjj,"axG",@progbits,_ZL17mul_mat_vec_q_moeIL9ggml_type21ELi2EEvPKvS2_PKiPfj15HIP_vector_typeIjLj3EEjjjjjjjjj,comdat
	.globl	_ZL17mul_mat_vec_q_moeIL9ggml_type21ELi2EEvPKvS2_PKiPfj15HIP_vector_typeIjLj3EEjjjjjjjjj ; -- Begin function _ZL17mul_mat_vec_q_moeIL9ggml_type21ELi2EEvPKvS2_PKiPfj15HIP_vector_typeIjLj3EEjjjjjjjjj
	.p2align	8
	.type	_ZL17mul_mat_vec_q_moeIL9ggml_type21ELi2EEvPKvS2_PKiPfj15HIP_vector_typeIjLj3EEjjjjjjjjj,@function
_ZL17mul_mat_vec_q_moeIL9ggml_type21ELi2EEvPKvS2_PKiPfj15HIP_vector_typeIjLj3EEjjjjjjjjj: ; @_ZL17mul_mat_vec_q_moeIL9ggml_type21ELi2EEvPKvS2_PKiPfj15HIP_vector_typeIjLj3EEjjjjjjjjj
; %bb.0:
	s_load_dwordx8 s[4:11], s[0:1], 0x30
	v_bfe_u32 v22, v0, 10, 10
	s_waitcnt lgkmcnt(0)
	v_cmp_gt_u32_e32 vcc, s11, v22
	s_and_saveexec_b64 s[12:13], vcc
	s_cbranch_execz .LBB252_7
; %bb.1:
	s_load_dword s11, s[0:1], 0x20
	s_load_dword s20, s[0:1], 0x50
	s_load_dwordx8 s[12:19], s[0:1], 0x0
	v_and_b32_e32 v23, 0x3ff, v0
	v_lshrrev_b32_e32 v24, 3, v23
	s_waitcnt lgkmcnt(0)
	s_lshr_b32 s11, s11, 8
	s_lshl_b32 s2, s2, 1
	v_cmp_gt_u32_e32 vcc, s11, v24
	v_mov_b32_e32 v11, 0
	v_mov_b32_e32 v10, 0
	s_and_saveexec_b64 s[24:25], vcc
	s_cbranch_execz .LBB252_5
; %bb.2:
	v_mul_lo_u32 v2, v22, s20
	v_mov_b32_e32 v0, s16
	v_mov_b32_e32 v1, s17
	v_add_u32_e32 v8, s3, v2
	v_mov_b32_e32 v9, 0
	v_lshl_add_u64 v[0:1], v[8:9], 2, v[0:1]
	global_load_dword v5, v[0:1], off
	s_load_dwordx4 s[20:23], s[0:1], 0x24
	v_mul_lo_u32 v1, v22, s6
	v_lshlrev_b32_e32 v2, 1, v23
	s_add_i32 s26, s2, 1
	s_waitcnt lgkmcnt(0)
	s_mul_i32 s23, s2, s5
	s_mul_hi_u32 s20, s20, s3
	s_add_i32 s20, s3, s20
	s_lshr_b32 s20, s20, s21
	s_mul_i32 s20, s20, s22
	v_lshrrev_b32_e32 v6, 3, v23
	s_movk_i32 s28, 0x120
	v_and_b32_e32 v0, 14, v2
	v_bfe_u32 v14, v2, 2, 2
	s_mul_i32 s5, s5, s26
	v_mad_u64_u32 v[2:3], s[26:27], v1, 36, 0
	s_sub_i32 s20, s3, s20
	v_mad_u64_u32 v[2:3], s[26:27], v6, s28, v[2:3]
	s_mul_i32 s20, s20, s9
	v_lshlrev_b32_e32 v4, 1, v0
	v_and_b32_e32 v8, 7, v23
	v_lshlrev_b32_e32 v18, 1, v0
	v_mad_u64_u32 v[0:1], s[20:21], s20, 36, v[2:3]
	v_mad_u64_u32 v[0:1], s[20:21], v8, 36, v[0:1]
	v_lshl_add_u64 v[0:1], v[0:1], 0, s[14:15]
	v_lshl_add_u64 v[20:21], v[0:1], 0, 16
	s_mov_b64 s[0:1], 0
	s_movk_i32 s6, 0x6e
	v_mov_b64_e32 v[12:13], s[12:13]
	s_movk_i32 s16, 0x100
	s_movk_i32 s17, 0xff00
	s_mov_b64 s[12:13], 0x900
	v_mov_b32_e32 v25, 5
	v_mov_b32_e32 v26, 1
	;; [unrolled: 1-line block ×7, first 2 shown]
	v_and_b32_e32 v28, 4, v4
	v_lshlrev_b32_e32 v16, 1, v4
	v_mov_b32_e32 v11, v9
	s_waitcnt vmcnt(0)
	v_mul_lo_u32 v0, v5, s8
	v_add_u32_e32 v29, s23, v0
	v_add_u32_e32 v30, s5, v0
.LBB252_3:                              ; =>This Inner Loop Header: Depth=1
	v_add_u32_e32 v0, v29, v24
	v_add_u32_e32 v1, v30, v24
	v_mad_i64_i32 v[2:3], s[14:15], v0, s6, v[12:13]
	v_mad_i64_i32 v[0:1], s[14:15], v1, s6, v[12:13]
	v_lshl_add_u64 v[4:5], v[2:3], 0, v[16:17]
	v_lshl_add_u64 v[6:7], v[2:3], 0, v[8:9]
	;; [unrolled: 1-line block ×8, first 2 shown]
	global_load_dwordx2 v[48:49], v[4:5], off offset:2
	global_load_dword v52, v[36:37], off offset:74
	global_load_ubyte v32, v[38:39], off offset:106
	global_load_ushort v31, v[0:1], off
	global_load_ubyte v53, v[6:7], off offset:66
	global_load_dwordx2 v[50:51], v[40:41], off offset:2
	global_load_ubyte v33, v[46:47], off offset:106
	global_load_dword v54, v[44:45], off offset:74
	global_load_ubyte v55, v[42:43], off offset:66
	global_load_ushort v34, v[2:3], off
	s_getpc_b64 s[8:9]
	s_add_u32 s8, s8, _ZL9iq3s_grid@rel32@lo+4
	s_addc_u32 s9, s9, _ZL9iq3s_grid@rel32@hi+12
	v_add_u32_e32 v24, 8, v24
	s_waitcnt vmcnt(9)
	v_and_b32_e32 v1, 0xff, v48
	s_waitcnt vmcnt(8)
	v_bfe_u32 v36, v52, 3, 1
	v_and_b32_e32 v6, 1, v52
	v_bfe_u32 v7, v52, 1, 7
	v_bfe_u32 v39, v52, 7, 1
	v_cmp_ne_u16_e32 vcc, 0, v36
	v_lshrrev_b32_e32 v0, 16, v52
	v_lshlrev_b32_sdwa v5, v25, v52 dst_sel:DWORD dst_unused:UNUSED_PAD src0_sel:DWORD src1_sel:BYTE_0
	v_lshlrev_b32_sdwa v37, v26, v52 dst_sel:DWORD dst_unused:UNUSED_PAD src0_sel:DWORD src1_sel:BYTE_0
	v_bfe_i32 v35, v52, 4, 1
	v_bfe_u32 v38, v52, 5, 3
	v_lshrrev_b16_e32 v44, 8, v52
	v_bfe_u32 v68, v52, 19, 1
	v_bfe_u32 v73, v52, 27, 1
	v_lshrrev_b32_e32 v74, 31, v52
	s_waitcnt vmcnt(2)
	v_bfe_u32 v78, v54, 3, 1
	v_lshlrev_b16_e32 v89, 7, v52
	v_lshlrev_b32_sdwa v90, v25, v52 dst_sel:DWORD dst_unused:UNUSED_PAD src0_sel:DWORD src1_sel:BYTE_2
	v_lshlrev_b32_sdwa v91, v26, v52 dst_sel:DWORD dst_unused:UNUSED_PAD src0_sel:DWORD src1_sel:BYTE_2
	v_bfe_i32 v46, v52, 20, 1
	v_lshrrev_b32_e32 v92, 25, v52
	v_lshrrev_b32_e32 v93, 24, v52
	;; [unrolled: 1-line block ×3, first 2 shown]
	v_sub_u16_e32 v52, 0, v6
	v_bfe_i32 v6, v7, 0, 1
	v_cndmask_b32_e64 v7, 0, -1, vcc
	v_cmp_ne_u16_e32 vcc, 0, v39
	v_lshlrev_b32_e32 v2, 8, v53
	v_lshrrev_b16_e32 v3, 8, v48
	v_lshlrev_b32_e32 v4, 7, v53
	v_bfe_u32 v40, v48, 16, 8
	v_lshlrev_b32_e32 v41, 6, v53
	v_lshrrev_b32_e32 v42, 24, v48
	v_lshlrev_b32_e32 v43, 5, v53
	v_and_b32_e32 v48, 0xff, v49
	v_lshrrev_b16_e32 v56, 8, v49
	v_bfe_u32 v57, v49, 16, 8
	v_lshrrev_b32_e32 v49, 24, v49
	v_lshlrev_b32_e32 v64, 4, v53
	v_lshlrev_b32_e32 v65, 3, v53
	v_lshlrev_b32_e32 v66, 2, v53
	v_lshlrev_b32_e32 v53, 1, v53
	v_bfe_u32 v79, v54, 7, 1
	v_bfe_i32 v36, v38, 0, 1
	v_cndmask_b32_e64 v38, 0, -1, vcc
	v_cmp_ne_u16_e32 vcc, 0, v78
	v_and_or_b32 v104, v53, s16, v49
	v_bfe_u32 v82, v54, 19, 1
	v_cndmask_b32_e64 v49, 0, -1, vcc
	v_cmp_ne_u16_e32 vcc, 0, v79
	v_bfe_u32 v84, v54, 27, 1
	v_lshrrev_b32_e32 v85, 31, v54
	v_cndmask_b32_e64 v53, 0, -1, vcc
	v_cmp_ne_u16_e32 vcc, 0, v68
	v_lshrrev_b32_e32 v99, 24, v54
	v_lshrrev_b32_e32 v100, 29, v54
	v_cndmask_b32_e64 v68, 0, -1, vcc
	v_cmp_ne_u16_e32 vcc, 0, v73
	v_and_or_b32 v1, v2, s16, v1
	v_and_or_b32 v2, v4, s16, v3
	v_cndmask_b32_e64 v73, 0, -1, vcc
	v_cmp_ne_u16_e32 vcc, 0, v74
	v_and_or_b32 v3, v41, s16, v40
	v_bfe_u32 v40, v44, 3, 1
	v_cndmask_b32_e64 v74, 0, -1, vcc
	v_cmp_ne_u16_e32 vcc, 0, v82
	v_lshrrev_b32_e32 v41, 7, v44
	v_lshlrev_b32_e32 v114, 5, v99
	v_cndmask_b32_e64 v112, 0, -1, vcc
	v_cmp_ne_u16_e32 vcc, 0, v84
	v_lshlrev_b32_e32 v115, 1, v99
	v_bfe_i32 v79, v99, 4, 1
	v_cndmask_b32_e64 v84, 0, -1, vcc
	v_cmp_ne_u16_e32 vcc, 0, v85
	v_bfe_i32 v99, v100, 0, 1
	v_lshrrev_b16_e32 v80, 8, v54
	v_cndmask_b32_e64 v100, 0, -1, vcc
	v_cmp_ne_u16_e32 vcc, 0, v40
	v_and_or_b32 v4, v43, s16, v42
	v_and_or_b32 v103, v66, s16, v57
	v_bfe_u32 v42, v0, 7, 1
	v_lshlrev_b16_e32 v57, 8, v7
	v_cndmask_b32_e64 v7, 0, -1, vcc
	v_cmp_ne_u16_e32 vcc, 0, v41
	v_and_b32_e32 v58, 0xff, v50
	v_lshrrev_b16_e32 v59, 8, v50
	v_bfe_u32 v60, v50, 16, 8
	v_lshrrev_b32_e32 v50, 24, v50
	v_and_b32_e32 v61, 0xff, v51
	v_lshrrev_b16_e32 v62, 8, v51
	v_bfe_u32 v63, v51, 16, 8
	v_lshrrev_b32_e32 v51, 24, v51
	s_waitcnt vmcnt(1)
	v_lshlrev_b32_e32 v67, 8, v55
	v_lshlrev_b32_e32 v69, 7, v55
	v_lshlrev_b32_e32 v70, 6, v55
	v_lshlrev_b32_e32 v71, 5, v55
	v_lshlrev_b32_e32 v72, 4, v55
	v_lshlrev_b32_e32 v81, 3, v55
	v_lshlrev_b32_e32 v83, 2, v55
	v_lshlrev_b32_e32 v55, 1, v55
	v_bfe_u32 v86, v54, 1, 7
	v_bfe_u32 v87, v54, 5, 3
	v_lshlrev_b32_sdwa v88, v26, v54 dst_sel:DWORD dst_unused:UNUSED_PAD src0_sel:DWORD src1_sel:BYTE_0
	v_bfe_u32 v43, v80, 3, 1
	v_bfe_u32 v105, v0, 5, 3
	v_cndmask_b32_e64 v116, 0, -1, vcc
	v_cmp_ne_u16_e32 vcc, 0, v42
	v_lshrrev_b32_e32 v76, 16, v54
	v_lshlrev_b32_sdwa v75, v25, v54 dst_sel:DWORD dst_unused:UNUSED_PAD src0_sel:DWORD src1_sel:BYTE_0
	v_lshlrev_b32_sdwa v96, v25, v54 dst_sel:DWORD dst_unused:UNUSED_PAD src0_sel:DWORD src1_sel:BYTE_2
	v_lshlrev_b32_sdwa v97, v26, v54 dst_sel:DWORD dst_unused:UNUSED_PAD src0_sel:DWORD src1_sel:BYTE_2
	v_and_or_b32 v101, v64, s16, v48
	v_and_or_b32 v102, v65, s16, v56
	;; [unrolled: 1-line block ×7, first 2 shown]
	v_lshrrev_b16_e32 v37, 7, v37
	v_lshrrev_b32_e32 v61, 7, v80
	v_bfe_i32 v39, v86, 0, 1
	v_bfe_i32 v50, v87, 0, 1
	v_lshrrev_b16_e32 v51, 7, v88
	v_lshlrev_b32_e32 v86, 5, v44
	v_lshrrev_b16_e32 v88, 7, v90
	v_lshrrev_b16_e32 v91, 7, v91
	v_lshlrev_b32_e32 v107, 1, v93
	v_lshlrev_b16_e32 v56, 8, v36
	v_lshlrev_b16_e32 v36, 8, v53
	;; [unrolled: 1-line block ×3, first 2 shown]
	v_bfe_i32 v68, v105, 0, 1
	v_cndmask_b32_e64 v105, 0, -1, vcc
	v_cmp_ne_u16_e32 vcc, 0, v43
	v_and_or_b32 v66, v70, s16, v60
	v_and_or_b32 v70, v81, s16, v62
	v_bfe_u32 v62, v76, 7, 1
	v_lshrrev_b16_e32 v48, 7, v75
	v_lshlrev_b32_e32 v106, 5, v93
	v_bfe_i32 v75, v93, 4, 1
	v_bfe_i32 v93, v94, 0, 1
	v_lshrrev_b32_e32 v94, 1, v80
	v_lshrrev_b16_e32 v96, 7, v96
	v_and_b32_e32 v110, 1, v76
	v_bfe_u32 v111, v76, 1, 7
	v_lshrrev_b16_e32 v97, 7, v97
	v_bfe_u32 v113, v76, 5, 3
	v_lshlrev_b16_e32 v76, 7, v76
	v_lshlrev_b16_e32 v59, 8, v6
	v_bfe_i32 v82, v37, 0, 1
	v_lshlrev_b16_e32 v37, 8, v50
	v_lshrrev_b16_e32 v6, 7, v86
	v_bfe_i32 v86, v88, 0, 1
	v_bfe_i32 v88, v91, 0, 1
	v_lshlrev_b16_e32 v50, 8, v73
	v_lshrrev_b16_e32 v73, 7, v107
	v_cndmask_b32_e64 v107, 0, -1, vcc
	v_cmp_ne_u16_e32 vcc, 0, v61
	v_lshlrev_b16_e32 v42, 8, v84
	v_lshlrev_b32_e32 v1, 2, v1
	v_lshlrev_b32_e32 v84, 2, v103
	;; [unrolled: 1-line block ×3, first 2 shown]
	v_lshlrev_b16_e32 v55, 8, v38
	v_bfe_i32 v81, v48, 0, 1
	v_lshlrev_b16_e32 v38, 8, v49
	v_lshlrev_b16_e32 v49, 8, v93
	;; [unrolled: 1-line block ×3, first 2 shown]
	v_bfe_i32 v74, v94, 0, 1
	v_cndmask_b32_e64 v61, 0, -1, vcc
	v_sub_u16_e32 v93, 0, v110
	v_bfe_i32 v110, v111, 0, 1
	v_bfe_i32 v94, v96, 0, 1
	;; [unrolled: 1-line block ×4, first 2 shown]
	v_cmp_ne_u16_e32 vcc, 0, v62
	v_ashrrev_i16_e32 v97, 15, v76
	v_lshrrev_b16_e32 v113, 7, v114
	v_lshrrev_b16_e32 v114, 7, v115
	v_lshlrev_b32_e32 v2, 2, v2
	v_lshlrev_b32_e32 v3, 2, v3
	;; [unrolled: 1-line block ×5, first 2 shown]
	global_load_dword v115, v1, s[8:9]
	global_load_dword v117, v2, s[8:9]
	;; [unrolled: 1-line block ×8, first 2 shown]
	v_and_b32_e32 v77, 1, v54
	v_lshlrev_b16_e32 v95, 7, v54
	v_lshrrev_b32_e32 v98, 25, v54
	v_and_or_b32 v71, v83, s16, v63
	v_lshrrev_b16_e32 v5, 7, v5
	v_ashrrev_i16_e32 v58, 15, v89
	v_lshrrev_b32_e32 v63, 1, v44
	v_lshlrev_b32_e32 v87, 1, v44
	v_bfe_i32 v60, v44, 4, 1
	v_lshrrev_b32_e32 v44, 5, v44
	v_and_b32_e32 v89, 1, v0
	v_bfe_u32 v90, v0, 1, 7
	v_lshlrev_b16_e32 v0, 7, v0
	v_bfe_i32 v45, v54, 4, 1
	v_bfe_i32 v47, v54, 20, 1
	v_sub_u16_e32 v54, 0, v77
	v_bfe_i32 v92, v92, 0, 1
	v_ashrrev_i16_e32 v77, 15, v95
	v_lshlrev_b32_e32 v95, 5, v80
	v_lshlrev_b32_e32 v108, 1, v80
	v_bfe_i32 v78, v80, 4, 1
	v_lshrrev_b32_e32 v109, 5, v80
	v_bfe_i32 v98, v98, 0, 1
	v_bfe_i32 v80, v5, 0, 1
	v_lshlrev_b16_e32 v39, 8, v39
	v_bfe_i32 v5, v63, 0, 1
	v_bfe_i32 v63, v44, 0, 1
	v_lshrrev_b16_e32 v87, 7, v87
	v_sub_u16_e32 v85, 0, v89
	v_bfe_i32 v90, v90, 0, 1
	v_ashrrev_i16_e32 v89, 15, v0
	v_lshrrev_b16_e32 v0, 7, v106
	v_bfe_i32 v83, v51, 0, 1
	v_lshlrev_b16_e32 v51, 8, v92
	v_lshrrev_b16_e32 v106, 7, v95
	v_bfe_i32 v109, v109, 0, 1
	v_lshrrev_b16_e32 v108, 7, v108
	v_lshlrev_b16_e32 v41, 8, v112
	v_cndmask_b32_e64 v112, 0, -1, vcc
	v_lshlrev_b16_e32 v44, 8, v98
	v_lshlrev_b16_e32 v43, 8, v99
	;; [unrolled: 1-line block ×3, first 2 shown]
	v_or_b32_sdwa v1, v52, v59 dst_sel:DWORD dst_unused:UNUSED_PAD src0_sel:BYTE_0 src1_sel:DWORD
	v_or_b32_sdwa v2, v80, v57 dst_sel:WORD_1 dst_unused:UNUSED_PAD src0_sel:BYTE_0 src1_sel:DWORD
	v_or_b32_sdwa v3, v35, v56 dst_sel:DWORD dst_unused:UNUSED_PAD src0_sel:BYTE_0 src1_sel:DWORD
	v_or_b32_sdwa v4, v82, v55 dst_sel:WORD_1 dst_unused:UNUSED_PAD src0_sel:BYTE_0 src1_sel:DWORD
	;; [unrolled: 2-line block ×3, first 2 shown]
	v_bfe_i32 v99, v6, 0, 1
	v_lshlrev_b16_e32 v98, 8, v5
	v_lshlrev_b16_e32 v95, 8, v7
	v_bfe_i32 v100, v87, 0, 1
	v_lshlrev_b16_e32 v92, 8, v63
	v_lshlrev_b16_e32 v91, 8, v116
	;; [unrolled: 1-line block ×5, first 2 shown]
	v_bfe_i32 v101, v0, 0, 1
	v_or_b32_sdwa v126, v45, v37 dst_sel:DWORD dst_unused:UNUSED_PAD src0_sel:BYTE_0 src1_sel:DWORD
	v_or_b32_sdwa v127, v83, v36 dst_sel:WORD_1 dst_unused:UNUSED_PAD src0_sel:BYTE_0 src1_sel:DWORD
	v_or_b32_sdwa v5, v86, v53 dst_sel:WORD_1 dst_unused:UNUSED_PAD src0_sel:BYTE_0 src1_sel:DWORD
	v_or_b32_sdwa v0, v89, v51 dst_sel:DWORD dst_unused:UNUSED_PAD src0_sel:BYTE_0 src1_sel:DWORD
	v_bfe_i32 v102, v73, 0, 1
	v_bfe_i32 v103, v106, 0, 1
	v_lshlrev_b16_e32 v76, 8, v74
	v_lshlrev_b16_e32 v73, 8, v107
	v_bfe_i32 v104, v108, 0, 1
	v_lshlrev_b16_e32 v74, 8, v109
	v_lshlrev_b16_e32 v68, 8, v61
	;; [unrolled: 1-line block ×5, first 2 shown]
	v_bfe_i32 v105, v113, 0, 1
	v_bfe_i32 v106, v114, 0, 1
	v_or_b32_sdwa v1, v1, v2 dst_sel:DWORD dst_unused:UNUSED_PAD src0_sel:WORD_0 src1_sel:DWORD
	v_or_b32_sdwa v4, v3, v4 dst_sel:DWORD dst_unused:UNUSED_PAD src0_sel:WORD_0 src1_sel:DWORD
	;; [unrolled: 1-line block ×3, first 2 shown]
	v_or_b32_sdwa v2, v58, v98 dst_sel:DWORD dst_unused:UNUSED_PAD src0_sel:BYTE_0 src1_sel:DWORD
	v_or_b32_sdwa v3, v99, v95 dst_sel:WORD_1 dst_unused:UNUSED_PAD src0_sel:BYTE_0 src1_sel:DWORD
	v_or_b32_sdwa v111, v60, v92 dst_sel:DWORD dst_unused:UNUSED_PAD src0_sel:BYTE_0 src1_sel:DWORD
	v_or_b32_sdwa v112, v100, v91 dst_sel:WORD_1 dst_unused:UNUSED_PAD src0_sel:BYTE_0 src1_sel:DWORD
	v_or_b32_sdwa v113, v85, v90 dst_sel:DWORD dst_unused:UNUSED_PAD src0_sel:BYTE_0 src1_sel:DWORD
	v_or_b32_sdwa v114, v46, v87 dst_sel:DWORD dst_unused:UNUSED_PAD src0_sel:BYTE_0 src1_sel:DWORD
	v_or_b32_sdwa v116, v88, v84 dst_sel:WORD_1 dst_unused:UNUSED_PAD src0_sel:BYTE_0 src1_sel:DWORD
	v_or_b32_sdwa v124, v101, v50 dst_sel:WORD_1 dst_unused:UNUSED_PAD src0_sel:BYTE_0 src1_sel:DWORD
	v_or_b32_sdwa v6, v75, v49 dst_sel:DWORD dst_unused:UNUSED_PAD src0_sel:BYTE_0 src1_sel:DWORD
	v_or_b32_sdwa v7, v94, v41 dst_sel:WORD_1 dst_unused:UNUSED_PAD src0_sel:BYTE_0 src1_sel:DWORD
	v_or_b32_sdwa v107, v126, v127 dst_sel:DWORD dst_unused:UNUSED_PAD src0_sel:WORD_0 src1_sel:DWORD
	v_or_b32_sdwa v125, v102, v48 dst_sel:WORD_1 dst_unused:UNUSED_PAD src0_sel:BYTE_0 src1_sel:DWORD
	v_or_b32_sdwa v126, v2, v3 dst_sel:DWORD dst_unused:UNUSED_PAD src0_sel:WORD_0 src1_sel:DWORD
	v_or_b32_sdwa v2, v77, v76 dst_sel:DWORD dst_unused:UNUSED_PAD src0_sel:BYTE_0 src1_sel:DWORD
	v_or_b32_sdwa v111, v111, v112 dst_sel:DWORD dst_unused:UNUSED_PAD src0_sel:WORD_0 src1_sel:DWORD
	v_or_b32_sdwa v3, v103, v73 dst_sel:WORD_1 dst_unused:UNUSED_PAD src0_sel:BYTE_0 src1_sel:DWORD
	v_or_b32_sdwa v5, v113, v5 dst_sel:DWORD dst_unused:UNUSED_PAD src0_sel:WORD_0 src1_sel:DWORD
	v_or_b32_sdwa v112, v78, v74 dst_sel:DWORD dst_unused:UNUSED_PAD src0_sel:BYTE_0 src1_sel:DWORD
	;; [unrolled: 4-line block ×3, first 2 shown]
	v_or_b32_sdwa v108, v97, v44 dst_sel:DWORD dst_unused:UNUSED_PAD src0_sel:BYTE_0 src1_sel:DWORD
	v_or_b32_sdwa v109, v79, v43 dst_sel:DWORD dst_unused:UNUSED_PAD src0_sel:BYTE_0 src1_sel:DWORD
	v_or_b32_sdwa v124, v6, v125 dst_sel:DWORD dst_unused:UNUSED_PAD src0_sel:WORD_0 src1_sel:DWORD
	v_or_b32_sdwa v6, v47, v62 dst_sel:DWORD dst_unused:UNUSED_PAD src0_sel:BYTE_0 src1_sel:DWORD
	v_or_b32_sdwa v125, v2, v3 dst_sel:DWORD dst_unused:UNUSED_PAD src0_sel:WORD_0 src1_sel:DWORD
	v_or_b32_sdwa v2, v96, v61 dst_sel:WORD_1 dst_unused:UNUSED_PAD src0_sel:BYTE_0 src1_sel:DWORD
	v_or_b32_sdwa v112, v112, v114 dst_sel:DWORD dst_unused:UNUSED_PAD src0_sel:WORD_0 src1_sel:DWORD
	v_or_b32_sdwa v3, v105, v42 dst_sel:WORD_1 dst_unused:UNUSED_PAD src0_sel:BYTE_0 src1_sel:DWORD
	;; [unrolled: 2-line block ×3, first 2 shown]
	v_lshlrev_b32_e32 v64, 2, v64
	v_lshlrev_b32_e32 v65, 2, v65
	;; [unrolled: 1-line block ×6, first 2 shown]
	v_or_b32_sdwa v127, v6, v2 dst_sel:DWORD dst_unused:UNUSED_PAD src0_sel:WORD_0 src1_sel:DWORD
	v_or_b32_sdwa v108, v108, v3 dst_sel:DWORD dst_unused:UNUSED_PAD src0_sel:WORD_0 src1_sel:DWORD
	;; [unrolled: 1-line block ×3, first 2 shown]
	s_waitcnt vmcnt(7)
	v_xor_b32_e32 v115, v115, v1
	global_load_dwordx4 v[0:3], v[20:21], off offset:-16
	s_waitcnt vmcnt(7)
	v_xor_b32_e32 v117, v117, v4
	s_waitcnt vmcnt(6)
	v_xor_b32_e32 v118, v118, v126
	s_waitcnt vmcnt(5)
	v_xor_b32_e32 v111, v119, v111
	s_waitcnt vmcnt(4)
	v_xor_b32_e32 v119, v120, v5
	global_load_dwordx4 v[4:7], v[20:21], off
	global_load_dword v120, v[20:21], off offset:16
	s_waitcnt vmcnt(4)
	v_xor_b32_e32 v116, v122, v116
	s_waitcnt vmcnt(3)
	v_xor_b32_e32 v122, v123, v124
	v_lshlrev_b32_e32 v71, 2, v71
	v_lshlrev_b32_e32 v72, 2, v72
	global_load_dword v124, v64, s[8:9]
	global_load_dword v126, v65, s[8:9]
                                        ; kill: killed $vgpr64
                                        ; kill: killed $vgpr65
	s_nop 0
	global_load_dword v64, v66, s[8:9]
	global_load_dword v65, v67, s[8:9]
                                        ; kill: killed $vgpr66
                                        ; kill: killed $vgpr67
	s_nop 0
	global_load_dword v66, v69, s[8:9]
	global_load_dword v67, v70, s[8:9]
                                        ; kill: killed $vgpr69
                                        ; kill: killed $vgpr70
	s_nop 0
	global_load_dword v69, v71, s[8:9]
	global_load_dword v70, v72, s[8:9]
	v_lshlrev_b16_e32 v35, 8, v35
	v_lshlrev_b16_e32 v52, 8, v52
	;; [unrolled: 1-line block ×24, first 2 shown]
	v_xor_b32_e32 v113, v121, v113
	v_lshlrev_b16_e32 v58, 8, v58
	v_lshlrev_b16_e32 v46, 8, v46
	;; [unrolled: 1-line block ×7, first 2 shown]
	v_mov_b32_e32 v121, 0
	v_mov_b32_e32 v123, 0
	v_lshlrev_b16_e32 v47, 8, v47
	v_lshrrev_b32_e32 v32, v28, v32
	v_lshrrev_b32_e32 v33, v28, v33
	v_lshlrev_b32_e32 v32, 1, v32
	v_lshlrev_b32_e32 v33, 1, v33
	v_and_or_b32 v32, v32, 30, 1
	v_and_or_b32 v33, v33, 30, 1
	v_cvt_f32_f16_e32 v34, v34
	v_cvt_f32_f16_e32 v31, v31
	v_cmp_le_u32_e32 vcc, s11, v24
	v_lshl_add_u64 v[20:21], v[20:21], 0, s[12:13]
	s_or_b64 s[0:1], vcc, s[0:1]
	s_waitcnt vmcnt(7)
	v_xor_b32_e32 v71, v124, v110
	s_waitcnt vmcnt(6)
	v_xor_b32_e32 v106, v126, v107
	v_and_b32_e32 v107, 0xffffff00, v115
	v_lshlrev_b16_sdwa v110, v27, v115 dst_sel:DWORD dst_unused:UNUSED_PAD src0_sel:DWORD src1_sel:WORD_1
	v_and_b32_e32 v124, 0xffffff00, v118
	s_waitcnt vmcnt(4)
	v_xor_b32_e32 v65, v65, v112
	v_and_b32_e32 v112, 0xffffff00, v117
	v_sub_i16 v59, v107, v59 clamp
	s_waitcnt vmcnt(3)
	v_xor_b32_e32 v66, v66, v114
	v_lshlrev_b16_e32 v114, 8, v117
	v_sub_i16 v35, v114, v35 clamp
	v_and_b32_e32 v114, 0xffffff00, v119
	s_waitcnt vmcnt(1)
	v_xor_b32_e32 v69, v69, v108
	s_waitcnt vmcnt(0)
	v_xor_b32_e32 v70, v70, v109
	v_lshlrev_b16_e32 v108, 8, v115
	v_and_b32_sdwa v109, v115, s17 dst_sel:DWORD dst_unused:UNUSED_PAD src0_sel:WORD_1 src1_sel:DWORD
	v_and_b32_sdwa v115, v117, s17 dst_sel:DWORD dst_unused:UNUSED_PAD src0_sel:WORD_1 src1_sel:DWORD
	v_lshlrev_b16_sdwa v117, v27, v117 dst_sel:DWORD dst_unused:UNUSED_PAD src0_sel:DWORD src1_sel:WORD_1
	v_sub_i16 v52, v108, v52 clamp
	v_and_b32_sdwa v108, v118, s17 dst_sel:DWORD dst_unused:UNUSED_PAD src0_sel:WORD_1 src1_sel:DWORD
	v_sub_i16 v55, v115, v55 clamp
	v_lshlrev_b16_e32 v115, 8, v119
	v_sub_i16 v80, v117, v80 clamp
	v_and_b32_sdwa v117, v119, s17 dst_sel:DWORD dst_unused:UNUSED_PAD src0_sel:WORD_1 src1_sel:DWORD
	v_lshlrev_b16_sdwa v119, v27, v119 dst_sel:DWORD dst_unused:UNUSED_PAD src0_sel:DWORD src1_sel:WORD_1
	v_lshlrev_b16_e32 v107, 8, v118
	v_sub_i16 v57, v109, v57 clamp
	v_and_b32_e32 v109, 0xffffff00, v111
	v_sub_i16 v98, v124, v98 clamp
	v_and_b32_e32 v124, 0xffffff00, v113
	v_sub_i16 v95, v108, v95 clamp
	v_and_b32_sdwa v108, v113, s17 dst_sel:DWORD dst_unused:UNUSED_PAD src0_sel:WORD_1 src1_sel:DWORD
	v_sub_i16 v82, v115, v82 clamp
	v_and_b32_e32 v115, 0xffffff00, v71
	v_sub_i16 v85, v119, v85 clamp
	v_and_b32_sdwa v119, v71, s17 dst_sel:DWORD dst_unused:UNUSED_PAD src0_sel:WORD_1 src1_sel:DWORD
	v_xor_b32_e32 v64, v64, v125
	v_lshlrev_b16_sdwa v118, v27, v118 dst_sel:DWORD dst_unused:UNUSED_PAD src0_sel:DWORD src1_sel:WORD_1
	v_sub_i16 v79, v110, v79 clamp
	v_lshlrev_b16_e32 v110, 8, v111
	v_sub_i16 v56, v112, v56 clamp
	v_and_b32_sdwa v112, v111, s17 dst_sel:DWORD dst_unused:UNUSED_PAD src0_sel:WORD_1 src1_sel:DWORD
	v_lshlrev_b16_sdwa v111, v27, v111 dst_sel:DWORD dst_unused:UNUSED_PAD src0_sel:DWORD src1_sel:WORD_1
	v_sub_i16 v58, v107, v58 clamp
	v_lshlrev_b16_e32 v107, 8, v113
	v_lshlrev_b16_sdwa v113, v27, v113 dst_sel:DWORD dst_unused:UNUSED_PAD src0_sel:DWORD src1_sel:WORD_1
	v_sub_i16 v92, v109, v92 clamp
	v_lshlrev_b16_e32 v109, 8, v116
	v_sub_i16 v53, v117, v53 clamp
	v_lshlrev_b16_e32 v117, 8, v71
	v_lshlrev_b16_sdwa v71, v27, v71 dst_sel:DWORD dst_unused:UNUSED_PAD src0_sel:DWORD src1_sel:WORD_1
	v_sub_i16 v87, v124, v87 clamp
	v_and_b32_e32 v124, 0xffffff00, v106
	v_sub_i16 v84, v108, v84 clamp
	v_and_b32_sdwa v108, v106, s17 dst_sel:DWORD dst_unused:UNUSED_PAD src0_sel:WORD_1 src1_sel:DWORD
	v_sub_i16 v39, v115, v39 clamp
	v_sub_i16 v38, v119, v38 clamp
	v_xor_b32_e32 v67, v67, v127
	v_sub_i16 v97, v118, v97 clamp
	v_and_b32_e32 v118, 0xffffff00, v116
	v_sub_i16 v60, v110, v60 clamp
	v_and_b32_sdwa v110, v116, s17 dst_sel:DWORD dst_unused:UNUSED_PAD src0_sel:WORD_1 src1_sel:DWORD
	v_sub_i16 v91, v112, v91 clamp
	v_and_b32_e32 v112, 0xffffff00, v122
	v_sub_i16 v99, v111, v99 clamp
	v_lshlrev_b16_e32 v111, 8, v122
	v_sub_i16 v90, v114, v90 clamp
	v_and_b32_sdwa v114, v122, s17 dst_sel:DWORD dst_unused:UNUSED_PAD src0_sel:WORD_1 src1_sel:DWORD
	v_lshlrev_b16_sdwa v122, v27, v122 dst_sel:DWORD dst_unused:UNUSED_PAD src0_sel:DWORD src1_sel:WORD_1
	v_sub_i16 v46, v107, v46 clamp
	v_lshlrev_b16_e32 v107, 8, v106
	v_lshlrev_b16_sdwa v106, v27, v106 dst_sel:DWORD dst_unused:UNUSED_PAD src0_sel:DWORD src1_sel:WORD_1
	v_sub_i16 v86, v113, v86 clamp
	v_and_b32_e32 v113, 0xffffff00, v64
	v_sub_i16 v88, v109, v88 clamp
	v_and_b32_sdwa v109, v64, s17 dst_sel:DWORD dst_unused:UNUSED_PAD src0_sel:WORD_1 src1_sel:DWORD
	v_sub_i16 v54, v117, v54 clamp
	v_sub_i16 v71, v71, v81 clamp
	;; [unrolled: 1-line block ×4, first 2 shown]
	v_and_b32_e32 v59, 0xffffff00, v59
	v_and_b32_e32 v57, 0xffffff00, v57
	;; [unrolled: 1-line block ×4, first 2 shown]
	v_lshlrev_b16_sdwa v116, v27, v116 dst_sel:DWORD dst_unused:UNUSED_PAD src0_sel:DWORD src1_sel:WORD_1
	v_sub_i16 v51, v118, v51 clamp
	v_lshlrev_b16_e32 v118, 8, v64
	v_lshlrev_b16_sdwa v64, v27, v64 dst_sel:DWORD dst_unused:UNUSED_PAD src0_sel:DWORD src1_sel:WORD_1
	v_sub_i16 v50, v110, v50 clamp
	v_and_b32_e32 v110, 0xffffff00, v65
	v_sub_i16 v49, v112, v49 clamp
	v_and_b32_sdwa v112, v65, s17 dst_sel:DWORD dst_unused:UNUSED_PAD src0_sel:WORD_1 src1_sel:DWORD
	v_sub_i16 v72, v111, v72 clamp
	v_and_b32_e32 v111, 0xffffff00, v66
	v_sub_i16 v48, v114, v48 clamp
	v_lshlrev_b16_e32 v114, 8, v66
	v_sub_i16 v101, v122, v101 clamp
	v_and_b32_sdwa v122, v66, s17 dst_sel:DWORD dst_unused:UNUSED_PAD src0_sel:WORD_1 src1_sel:DWORD
	v_lshlrev_b16_sdwa v66, v27, v66 dst_sel:DWORD dst_unused:UNUSED_PAD src0_sel:DWORD src1_sel:WORD_1
	v_and_b32_e32 v115, 0xffffff00, v67
	v_lshlrev_b16_e32 v117, 8, v67
	v_and_b32_sdwa v119, v67, s17 dst_sel:DWORD dst_unused:UNUSED_PAD src0_sel:WORD_1 src1_sel:DWORD
	v_lshlrev_b16_sdwa v67, v27, v67 dst_sel:DWORD dst_unused:UNUSED_PAD src0_sel:DWORD src1_sel:WORD_1
	v_sub_i16 v45, v107, v45 clamp
	v_sub_i16 v83, v106, v83 clamp
	;; [unrolled: 1-line block ×4, first 2 shown]
	v_and_b32_e32 v56, 0xffffff00, v56
	v_and_b32_e32 v55, 0xffffff00, v55
	;; [unrolled: 1-line block ×4, first 2 shown]
	v_or_b32_sdwa v52, v52, v59 dst_sel:DWORD dst_unused:UNUSED_PAD src0_sel:BYTE_1 src1_sel:DWORD
	v_or_b32_sdwa v57, v79, v57 dst_sel:WORD_1 dst_unused:UNUSED_PAD src0_sel:BYTE_1 src1_sel:DWORD
	v_or_b32_sdwa v39, v54, v39 dst_sel:DWORD dst_unused:UNUSED_PAD src0_sel:BYTE_1 src1_sel:DWORD
	v_or_b32_sdwa v38, v71, v38 dst_sel:WORD_1 dst_unused:UNUSED_PAD src0_sel:BYTE_1 src1_sel:DWORD
	v_sub_i16 v100, v116, v100 clamp
	v_lshlrev_b16_e32 v116, 8, v65
	v_lshlrev_b16_sdwa v65, v27, v65 dst_sel:DWORD dst_unused:UNUSED_PAD src0_sel:DWORD src1_sel:WORD_1
	v_sub_i16 v75, v118, v75 clamp
	v_sub_i16 v64, v64, v102 clamp
	;; [unrolled: 1-line block ×6, first 2 shown]
	v_and_b32_e32 v93, 0xffffff00, v98
	v_and_b32_e32 v94, 0xffffff00, v95
	;; [unrolled: 1-line block ×4, first 2 shown]
	v_or_b32_sdwa v35, v35, v56 dst_sel:DWORD dst_unused:UNUSED_PAD src0_sel:BYTE_1 src1_sel:DWORD
	v_or_b32_sdwa v55, v80, v55 dst_sel:WORD_1 dst_unused:UNUSED_PAD src0_sel:BYTE_1 src1_sel:DWORD
	v_or_b32_sdwa v37, v45, v37 dst_sel:DWORD dst_unused:UNUSED_PAD src0_sel:BYTE_1 src1_sel:DWORD
	v_or_b32_sdwa v36, v83, v36 dst_sel:WORD_1 dst_unused:UNUSED_PAD src0_sel:BYTE_1 src1_sel:DWORD
	v_or_b32_sdwa v52, v52, v57 dst_sel:DWORD dst_unused:UNUSED_PAD src0_sel:WORD_0 src1_sel:DWORD
	v_or_b32_sdwa v38, v39, v38 dst_sel:DWORD dst_unused:UNUSED_PAD src0_sel:WORD_0 src1_sel:DWORD
	v_sub_i16 v77, v116, v77 clamp
	v_sub_i16 v65, v65, v103 clamp
	;; [unrolled: 1-line block ×4, first 2 shown]
	v_and_b32_e32 v92, 0xffffff00, v92
	v_and_b32_e32 v91, 0xffffff00, v91
	;; [unrolled: 1-line block ×4, first 2 shown]
	v_or_b32_sdwa v56, v58, v93 dst_sel:DWORD dst_unused:UNUSED_PAD src0_sel:BYTE_1 src1_sel:DWORD
	v_or_b32_sdwa v58, v97, v94 dst_sel:WORD_1 dst_unused:UNUSED_PAD src0_sel:BYTE_1 src1_sel:DWORD
	v_or_b32_sdwa v45, v75, v76 dst_sel:DWORD dst_unused:UNUSED_PAD src0_sel:BYTE_1 src1_sel:DWORD
	v_or_b32_sdwa v54, v64, v73 dst_sel:WORD_1 dst_unused:UNUSED_PAD src0_sel:BYTE_1 src1_sel:DWORD
	v_or_b32_sdwa v35, v35, v55 dst_sel:DWORD dst_unused:UNUSED_PAD src0_sel:WORD_0 src1_sel:DWORD
	v_or_b32_sdwa v36, v37, v36 dst_sel:DWORD dst_unused:UNUSED_PAD src0_sel:WORD_0 src1_sel:DWORD
	v_dot4c_i32_i8_e32 v121, v52, v1
	v_dot4c_i32_i8_e32 v123, v38, v1
	v_and_b32_e32 v81, 0xffffff00, v69
	v_and_b32_sdwa v107, v69, s17 dst_sel:DWORD dst_unused:UNUSED_PAD src0_sel:WORD_1 src1_sel:DWORD
	v_sub_i16 v89, v114, v89 clamp
	v_sub_i16 v62, v115, v62 clamp
	;; [unrolled: 1-line block ×3, first 2 shown]
	v_and_b32_e32 v90, 0xffffff00, v90
	v_and_b32_e32 v53, 0xffffff00, v53
	;; [unrolled: 1-line block ×4, first 2 shown]
	v_or_b32_sdwa v59, v60, v92 dst_sel:DWORD dst_unused:UNUSED_PAD src0_sel:BYTE_1 src1_sel:DWORD
	v_or_b32_sdwa v60, v99, v91 dst_sel:WORD_1 dst_unused:UNUSED_PAD src0_sel:BYTE_1 src1_sel:DWORD
	v_or_b32_sdwa v64, v77, v74 dst_sel:DWORD dst_unused:UNUSED_PAD src0_sel:BYTE_1 src1_sel:DWORD
	v_or_b32_sdwa v65, v65, v68 dst_sel:WORD_1 dst_unused:UNUSED_PAD src0_sel:BYTE_1 src1_sel:DWORD
	v_or_b32_sdwa v55, v56, v58 dst_sel:DWORD dst_unused:UNUSED_PAD src0_sel:WORD_0 src1_sel:DWORD
	v_or_b32_sdwa v37, v45, v54 dst_sel:DWORD dst_unused:UNUSED_PAD src0_sel:WORD_0 src1_sel:DWORD
	v_dot4c_i32_i8_e32 v121, v35, v2
	v_dot4c_i32_i8_e32 v123, v36, v2
	v_lshlrev_b16_e32 v124, 8, v69
	v_lshlrev_b16_sdwa v69, v27, v69 dst_sel:DWORD dst_unused:UNUSED_PAD src0_sel:DWORD src1_sel:WORD_1
	v_and_b32_e32 v108, 0xffffff00, v70
	v_and_b32_sdwa v113, v70, s17 dst_sel:DWORD dst_unused:UNUSED_PAD src0_sel:WORD_1 src1_sel:DWORD
	v_sub_i16 v47, v117, v47 clamp
	v_sub_i16 v44, v81, v44 clamp
	;; [unrolled: 1-line block ×3, first 2 shown]
	v_and_b32_e32 v87, 0xffffff00, v87
	v_and_b32_e32 v84, 0xffffff00, v84
	;; [unrolled: 1-line block ×4, first 2 shown]
	v_or_b32_sdwa v79, v82, v90 dst_sel:DWORD dst_unused:UNUSED_PAD src0_sel:BYTE_1 src1_sel:DWORD
	v_or_b32_sdwa v53, v85, v53 dst_sel:WORD_1 dst_unused:UNUSED_PAD src0_sel:BYTE_1 src1_sel:DWORD
	v_or_b32_sdwa v63, v89, v63 dst_sel:DWORD dst_unused:UNUSED_PAD src0_sel:BYTE_1 src1_sel:DWORD
	v_or_b32_sdwa v41, v66, v41 dst_sel:WORD_1 dst_unused:UNUSED_PAD src0_sel:BYTE_1 src1_sel:DWORD
	v_or_b32_sdwa v56, v59, v60 dst_sel:DWORD dst_unused:UNUSED_PAD src0_sel:WORD_0 src1_sel:DWORD
	v_or_b32_sdwa v39, v64, v65 dst_sel:DWORD dst_unused:UNUSED_PAD src0_sel:WORD_0 src1_sel:DWORD
	v_dot4c_i32_i8_e32 v121, v55, v3
	v_dot4c_i32_i8_e32 v123, v37, v3
	v_lshlrev_b16_e32 v106, 8, v70
	v_lshlrev_b16_sdwa v70, v27, v70 dst_sel:DWORD dst_unused:UNUSED_PAD src0_sel:DWORD src1_sel:WORD_1
	v_sub_i16 v81, v124, v96 clamp
	v_sub_i16 v69, v69, v104 clamp
	;; [unrolled: 1-line block ×4, first 2 shown]
	v_and_b32_e32 v51, 0xffffff00, v51
	v_and_b32_e32 v50, 0xffffff00, v50
	;; [unrolled: 1-line block ×4, first 2 shown]
	v_or_b32_sdwa v46, v46, v87 dst_sel:DWORD dst_unused:UNUSED_PAD src0_sel:BYTE_1 src1_sel:DWORD
	v_or_b32_sdwa v80, v86, v84 dst_sel:WORD_1 dst_unused:UNUSED_PAD src0_sel:BYTE_1 src1_sel:DWORD
	v_or_b32_sdwa v47, v47, v62 dst_sel:DWORD dst_unused:UNUSED_PAD src0_sel:BYTE_1 src1_sel:DWORD
	v_or_b32_sdwa v61, v67, v61 dst_sel:WORD_1 dst_unused:UNUSED_PAD src0_sel:BYTE_1 src1_sel:DWORD
	v_or_b32_sdwa v53, v79, v53 dst_sel:DWORD dst_unused:UNUSED_PAD src0_sel:WORD_0 src1_sel:DWORD
	v_or_b32_sdwa v41, v63, v41 dst_sel:DWORD dst_unused:UNUSED_PAD src0_sel:WORD_0 src1_sel:DWORD
	v_dot4c_i32_i8_e32 v121, v56, v4
	v_dot4c_i32_i8_e32 v123, v39, v4
	v_sub_i16 v78, v106, v78 clamp
	v_sub_i16 v70, v70, v105 clamp
	v_and_b32_e32 v49, 0xffffff00, v49
	v_and_b32_e32 v48, 0xffffff00, v48
	;; [unrolled: 1-line block ×4, first 2 shown]
	v_or_b32_sdwa v51, v88, v51 dst_sel:DWORD dst_unused:UNUSED_PAD src0_sel:BYTE_1 src1_sel:DWORD
	v_or_b32_sdwa v50, v100, v50 dst_sel:WORD_1 dst_unused:UNUSED_PAD src0_sel:BYTE_1 src1_sel:DWORD
	v_or_b32_sdwa v44, v81, v44 dst_sel:DWORD dst_unused:UNUSED_PAD src0_sel:BYTE_1 src1_sel:DWORD
	v_or_b32_sdwa v42, v69, v42 dst_sel:WORD_1 dst_unused:UNUSED_PAD src0_sel:BYTE_1 src1_sel:DWORD
	v_or_b32_sdwa v46, v46, v80 dst_sel:DWORD dst_unused:UNUSED_PAD src0_sel:WORD_0 src1_sel:DWORD
	v_or_b32_sdwa v45, v47, v61 dst_sel:DWORD dst_unused:UNUSED_PAD src0_sel:WORD_0 src1_sel:DWORD
	v_dot4c_i32_i8_e32 v121, v53, v5
	v_dot4c_i32_i8_e32 v123, v41, v5
	v_or_b32_sdwa v49, v72, v49 dst_sel:DWORD dst_unused:UNUSED_PAD src0_sel:BYTE_1 src1_sel:DWORD
	v_or_b32_sdwa v48, v101, v48 dst_sel:WORD_1 dst_unused:UNUSED_PAD src0_sel:BYTE_1 src1_sel:DWORD
	v_or_b32_sdwa v43, v78, v43 dst_sel:DWORD dst_unused:UNUSED_PAD src0_sel:BYTE_1 src1_sel:DWORD
	v_or_b32_sdwa v40, v70, v40 dst_sel:WORD_1 dst_unused:UNUSED_PAD src0_sel:BYTE_1 src1_sel:DWORD
	v_or_b32_sdwa v50, v51, v50 dst_sel:DWORD dst_unused:UNUSED_PAD src0_sel:WORD_0 src1_sel:DWORD
	v_or_b32_sdwa v42, v44, v42 dst_sel:DWORD dst_unused:UNUSED_PAD src0_sel:WORD_0 src1_sel:DWORD
	v_dot4c_i32_i8_e32 v121, v46, v6
	v_dot4c_i32_i8_e32 v123, v45, v6
	v_or_b32_sdwa v48, v49, v48 dst_sel:DWORD dst_unused:UNUSED_PAD src0_sel:WORD_0 src1_sel:DWORD
	v_or_b32_sdwa v40, v43, v40 dst_sel:DWORD dst_unused:UNUSED_PAD src0_sel:WORD_0 src1_sel:DWORD
	v_dot4c_i32_i8_e32 v121, v50, v7
	v_dot4c_i32_i8_e32 v123, v42, v7
	;; [unrolled: 1-line block ×4, first 2 shown]
	v_cvt_f32_f16_e32 v0, v0
	v_mul_f32_e32 v3, v34, v0
	v_mul_lo_u32 v1, v121, v32
	v_mul_lo_u32 v2, v123, v33
	v_cvt_f32_i32_e32 v1, v1
	v_cvt_f32_i32_e32 v2, v2
	v_mul_f32_e32 v0, v31, v0
	v_fmac_f32_e32 v10, v3, v1
	v_fmac_f32_e32 v11, v0, v2
	s_andn2_b64 exec, exec, s[0:1]
	s_cbranch_execnz .LBB252_3
; %bb.4:
	s_or_b64 exec, exec, s[0:1]
.LBB252_5:
	s_or_b64 exec, exec, s[24:25]
	v_mbcnt_lo_u32_b32 v0, -1, 0
	v_mbcnt_hi_u32_b32 v4, -1, v0
	v_and_b32_e32 v0, 64, v4
	v_add_u32_e32 v5, 64, v0
	v_xor_b32_e32 v0, 32, v4
	v_cmp_lt_i32_e32 vcc, v0, v5
	v_xor_b32_e32 v2, 16, v4
	v_xor_b32_e32 v6, 8, v4
	v_cndmask_b32_e32 v0, v4, v0, vcc
	v_lshlrev_b32_e32 v1, 2, v0
	ds_bpermute_b32 v0, v1, v10
	ds_bpermute_b32 v1, v1, v11
	v_cmp_lt_i32_e32 vcc, v2, v5
	s_waitcnt lgkmcnt(0)
	v_pk_add_f32 v[0:1], v[10:11], v[0:1]
	v_cndmask_b32_e32 v2, v4, v2, vcc
	v_lshlrev_b32_e32 v3, 2, v2
	ds_bpermute_b32 v2, v3, v0
	ds_bpermute_b32 v3, v3, v1
	v_cmp_lt_i32_e32 vcc, v6, v5
	s_waitcnt lgkmcnt(0)
	v_pk_add_f32 v[0:1], v[0:1], v[2:3]
	v_cndmask_b32_e32 v6, v4, v6, vcc
	v_lshlrev_b32_e32 v6, 2, v6
	ds_bpermute_b32 v2, v6, v0
	ds_bpermute_b32 v3, v6, v1
	v_xor_b32_e32 v6, 4, v4
	v_cmp_lt_i32_e32 vcc, v6, v5
	s_waitcnt lgkmcnt(0)
	v_pk_add_f32 v[0:1], v[0:1], v[2:3]
	v_cndmask_b32_e32 v6, v4, v6, vcc
	v_lshlrev_b32_e32 v6, 2, v6
	ds_bpermute_b32 v2, v6, v0
	ds_bpermute_b32 v3, v6, v1
	v_xor_b32_e32 v6, 2, v4
	;; [unrolled: 8-line block ×3, first 2 shown]
	v_cmp_lt_i32_e32 vcc, v6, v5
	s_waitcnt lgkmcnt(0)
	v_pk_add_f32 v[0:1], v[0:1], v[2:3]
	v_cndmask_b32_e32 v4, v4, v6, vcc
	v_lshlrev_b32_e32 v4, 2, v4
	ds_bpermute_b32 v2, v4, v0
	ds_bpermute_b32 v3, v4, v1
	v_add_u32_e32 v4, s2, v23
	v_cmp_gt_u32_e32 vcc, 2, v23
	v_cmp_gt_u32_e64 s[0:1], s4, v4
	s_and_b64 s[0:1], vcc, s[0:1]
	s_and_b64 exec, exec, s[0:1]
	s_cbranch_execz .LBB252_7
; %bb.6:
	v_cmp_eq_u32_e32 vcc, 1, v23
	s_mul_i32 s3, s3, s10
	v_mov_b32_e32 v4, s18
	s_waitcnt lgkmcnt(0)
	v_cndmask_b32_e32 v2, v2, v3, vcc
	v_cndmask_b32_e32 v0, v0, v1, vcc
	v_add_f32_e32 v2, v0, v2
	v_mul_lo_u32 v0, v22, s7
	v_or_b32_e32 v1, s2, v23
	v_mov_b32_e32 v5, s19
	v_add3_u32 v0, v1, v0, s3
	v_mov_b32_e32 v1, 0
	v_lshl_add_u64 v[0:1], v[0:1], 2, v[4:5]
	global_store_dword v[0:1], v2, off
.LBB252_7:
	s_endpgm
	.section	.rodata,"a",@progbits
	.p2align	6, 0x0
	.amdhsa_kernel _ZL17mul_mat_vec_q_moeIL9ggml_type21ELi2EEvPKvS2_PKiPfj15HIP_vector_typeIjLj3EEjjjjjjjjj
		.amdhsa_group_segment_fixed_size 0
		.amdhsa_private_segment_fixed_size 0
		.amdhsa_kernarg_size 84
		.amdhsa_user_sgpr_count 2
		.amdhsa_user_sgpr_dispatch_ptr 0
		.amdhsa_user_sgpr_queue_ptr 0
		.amdhsa_user_sgpr_kernarg_segment_ptr 1
		.amdhsa_user_sgpr_dispatch_id 0
		.amdhsa_user_sgpr_kernarg_preload_length 0
		.amdhsa_user_sgpr_kernarg_preload_offset 0
		.amdhsa_user_sgpr_private_segment_size 0
		.amdhsa_uses_dynamic_stack 0
		.amdhsa_enable_private_segment 0
		.amdhsa_system_sgpr_workgroup_id_x 1
		.amdhsa_system_sgpr_workgroup_id_y 1
		.amdhsa_system_sgpr_workgroup_id_z 0
		.amdhsa_system_sgpr_workgroup_info 0
		.amdhsa_system_vgpr_workitem_id 1
		.amdhsa_next_free_vgpr 128
		.amdhsa_next_free_sgpr 29
		.amdhsa_accum_offset 128
		.amdhsa_reserve_vcc 1
		.amdhsa_float_round_mode_32 0
		.amdhsa_float_round_mode_16_64 0
		.amdhsa_float_denorm_mode_32 3
		.amdhsa_float_denorm_mode_16_64 3
		.amdhsa_dx10_clamp 1
		.amdhsa_ieee_mode 1
		.amdhsa_fp16_overflow 0
		.amdhsa_tg_split 0
		.amdhsa_exception_fp_ieee_invalid_op 0
		.amdhsa_exception_fp_denorm_src 0
		.amdhsa_exception_fp_ieee_div_zero 0
		.amdhsa_exception_fp_ieee_overflow 0
		.amdhsa_exception_fp_ieee_underflow 0
		.amdhsa_exception_fp_ieee_inexact 0
		.amdhsa_exception_int_div_zero 0
	.end_amdhsa_kernel
	.section	.text._ZL17mul_mat_vec_q_moeIL9ggml_type21ELi2EEvPKvS2_PKiPfj15HIP_vector_typeIjLj3EEjjjjjjjjj,"axG",@progbits,_ZL17mul_mat_vec_q_moeIL9ggml_type21ELi2EEvPKvS2_PKiPfj15HIP_vector_typeIjLj3EEjjjjjjjjj,comdat
.Lfunc_end252:
	.size	_ZL17mul_mat_vec_q_moeIL9ggml_type21ELi2EEvPKvS2_PKiPfj15HIP_vector_typeIjLj3EEjjjjjjjjj, .Lfunc_end252-_ZL17mul_mat_vec_q_moeIL9ggml_type21ELi2EEvPKvS2_PKiPfj15HIP_vector_typeIjLj3EEjjjjjjjjj
                                        ; -- End function
	.section	.AMDGPU.csdata,"",@progbits
; Kernel info:
; codeLenInByte = 4984
; NumSgprs: 35
; NumVgprs: 128
; NumAgprs: 0
; TotalNumVgprs: 128
; ScratchSize: 0
; MemoryBound: 0
; FloatMode: 240
; IeeeMode: 1
; LDSByteSize: 0 bytes/workgroup (compile time only)
; SGPRBlocks: 4
; VGPRBlocks: 15
; NumSGPRsForWavesPerEU: 35
; NumVGPRsForWavesPerEU: 128
; AccumOffset: 128
; Occupancy: 4
; WaveLimiterHint : 1
; COMPUTE_PGM_RSRC2:SCRATCH_EN: 0
; COMPUTE_PGM_RSRC2:USER_SGPR: 2
; COMPUTE_PGM_RSRC2:TRAP_HANDLER: 0
; COMPUTE_PGM_RSRC2:TGID_X_EN: 1
; COMPUTE_PGM_RSRC2:TGID_Y_EN: 1
; COMPUTE_PGM_RSRC2:TGID_Z_EN: 0
; COMPUTE_PGM_RSRC2:TIDIG_COMP_CNT: 1
; COMPUTE_PGM_RSRC3_GFX90A:ACCUM_OFFSET: 31
; COMPUTE_PGM_RSRC3_GFX90A:TG_SPLIT: 0
	.section	.text._ZL13mul_mat_vec_qIL9ggml_type21ELi1ELb1ELb1EEvPKvS2_PKi31ggml_cuda_mm_fusion_args_devicePfj15HIP_vector_typeIjLj3EEjjjS8_jjjS8_jjjj,"axG",@progbits,_ZL13mul_mat_vec_qIL9ggml_type21ELi1ELb1ELb1EEvPKvS2_PKi31ggml_cuda_mm_fusion_args_devicePfj15HIP_vector_typeIjLj3EEjjjS8_jjjS8_jjjj,comdat
	.globl	_ZL13mul_mat_vec_qIL9ggml_type21ELi1ELb1ELb1EEvPKvS2_PKi31ggml_cuda_mm_fusion_args_devicePfj15HIP_vector_typeIjLj3EEjjjS8_jjjS8_jjjj ; -- Begin function _ZL13mul_mat_vec_qIL9ggml_type21ELi1ELb1ELb1EEvPKvS2_PKi31ggml_cuda_mm_fusion_args_devicePfj15HIP_vector_typeIjLj3EEjjjS8_jjjS8_jjjj
	.p2align	8
	.type	_ZL13mul_mat_vec_qIL9ggml_type21ELi1ELb1ELb1EEvPKvS2_PKi31ggml_cuda_mm_fusion_args_devicePfj15HIP_vector_typeIjLj3EEjjjS8_jjjS8_jjjj,@function
_ZL13mul_mat_vec_qIL9ggml_type21ELi1ELb1ELb1EEvPKvS2_PKi31ggml_cuda_mm_fusion_args_devicePfj15HIP_vector_typeIjLj3EEjjjS8_jjjS8_jjjj: ; @_ZL13mul_mat_vec_qIL9ggml_type21ELi1ELb1ELb1EEvPKvS2_PKi31ggml_cuda_mm_fusion_args_devicePfj15HIP_vector_typeIjLj3EEjjjS8_jjjS8_jjjj
; %bb.0:
	s_load_dwordx8 s[16:23], s[2:3], 0x0
	s_load_dwordx4 s[36:39], s[2:3], 0x20
	s_load_dwordx4 s[40:43], s[2:3], 0x40
	;; [unrolled: 1-line block ×3, first 2 shown]
	s_mov_b32 s14, s5
	s_waitcnt lgkmcnt(0)
	s_cmp_lg_u64 s[20:21], 0
	s_cselect_b64 s[8:9], -1, 0
	s_cmp_eq_u64 s[20:21], 0
	s_mov_b64 s[10:11], 0
	s_cbranch_scc1 .LBB253_5
; %bb.1:
	s_mov_b32 s15, 0
	s_lshl_b64 s[12:13], s[14:15], 2
	s_add_u32 s12, s20, s12
	s_addc_u32 s13, s21, s13
	s_load_dword s44, s[12:13], 0x0
	s_load_dword s33, s[2:3], 0x50
	;; [unrolled: 1-line block ×3, first 2 shown]
	s_andn2_b64 vcc, exec, s[10:11]
	s_cbranch_vccnz .LBB253_3
.LBB253_2:
	s_load_dwordx2 s[10:11], s[2:3], 0x5c
	s_waitcnt lgkmcnt(0)
	s_mul_hi_u32 s5, s10, s14
	s_add_i32 s5, s14, s5
	s_lshr_b32 s44, s5, s11
.LBB253_3:
	s_andn2_b64 vcc, exec, s[8:9]
	s_cbranch_vccnz .LBB253_6
; %bb.4:
	s_mul_hi_u32 s5, s41, s14
	s_add_i32 s5, s14, s5
	s_lshr_b32 s5, s5, s42
	s_mul_i32 s5, s5, s43
	s_sub_i32 s41, s14, s5
	s_waitcnt lgkmcnt(0)
	s_mov_b32 s15, s44
	s_branch .LBB253_7
.LBB253_5:
                                        ; implicit-def: $sgpr44
	s_load_dword s33, s[2:3], 0x50
	s_load_dword s45, s[2:3], 0x78
	s_branch .LBB253_2
.LBB253_6:
	s_mov_b32 s15, s14
	s_mov_b32 s41, s14
.LBB253_7:
	s_load_dword s7, s[2:3], 0x58
	s_load_dwordx4 s[28:31], s[2:3], 0x80
	s_lshl_b32 s20, s4, 1
	s_cmp_eq_u64 s[22:23], 0
	v_and_b32_e32 v26, 0x3ff, v0
	v_bfe_u32 v31, v0, 10, 10
	s_cselect_b64 s[8:9], -1, 0
	s_and_b64 vcc, exec, s[8:9]
	v_mov_b32_e32 v27, 0
	v_cmp_gt_u32_e64 s[4:5], 2, v26
	v_cmp_eq_u32_e64 s[10:11], 0, v31
	v_or_b32_e32 v1, s20, v26
	v_mov_b32_e32 v28, 0
	s_cbranch_vccnz .LBB253_11
; %bb.8:
	s_waitcnt lgkmcnt(0)
	v_cmp_gt_u32_e32 vcc, s7, v1
	s_and_b64 s[4:5], s[4:5], vcc
	s_mov_b32 s13, 0
	s_and_b64 s[10:11], s[4:5], s[10:11]
	v_mov_b32_e32 v28, 0
	s_and_saveexec_b64 s[4:5], s[10:11]
	s_cbranch_execz .LBB253_10
; %bb.9:
	s_mul_i32 s12, s6, s30
	s_lshl_b64 s[10:11], s[12:13], 2
	s_add_u32 s21, s22, s10
	s_mul_i32 s12, s15, s26
	s_addc_u32 s22, s23, s11
	s_lshl_b64 s[10:11], s[12:13], 2
	s_add_u32 s12, s21, s10
	s_addc_u32 s13, s22, s11
	s_ashr_i32 s21, s20, 31
	s_lshl_b64 s[10:11], s[20:21], 2
	s_add_u32 s10, s12, s10
	s_addc_u32 s11, s13, s11
	v_lshlrev_b32_e32 v2, 2, v26
	global_load_dword v28, v2, s[10:11]
.LBB253_10:
	s_or_b64 exec, exec, s[4:5]
.LBB253_11:
	s_cmp_lg_u64 s[36:37], 0
	s_cselect_b64 s[34:35], -1, 0
	s_cmp_eq_u64 s[36:37], 0
	s_cselect_b64 s[22:23], -1, 0
	s_cmp_lg_u64 s[38:39], 0
	s_cselect_b64 s[4:5], -1, 0
	s_and_b64 s[10:11], s[4:5], s[34:35]
	s_andn2_b64 vcc, exec, s[10:11]
	s_cbranch_vccnz .LBB253_15
; %bb.12:
	v_cmp_gt_u32_e32 vcc, 2, v26
	s_waitcnt lgkmcnt(0)
	v_cmp_gt_u32_e64 s[12:13], s7, v1
	v_cmp_eq_u32_e64 s[10:11], 0, v31
	s_and_b64 s[12:13], vcc, s[12:13]
	s_mov_b32 s43, 0
	s_and_b64 s[12:13], s[12:13], s[10:11]
	v_mov_b32_e32 v27, 0
	s_and_saveexec_b64 s[10:11], s[12:13]
	s_cbranch_execz .LBB253_14
; %bb.13:
	s_mul_i32 s42, s6, s30
	s_lshl_b64 s[12:13], s[42:43], 2
	s_add_u32 s21, s38, s12
	s_mul_i32 s42, s15, s26
	s_addc_u32 s31, s39, s13
	s_lshl_b64 s[12:13], s[42:43], 2
	s_add_u32 s15, s21, s12
	s_addc_u32 s31, s31, s13
	s_ashr_i32 s21, s20, 31
	s_lshl_b64 s[12:13], s[20:21], 2
	s_add_u32 s12, s15, s12
	s_addc_u32 s13, s31, s13
	v_lshlrev_b32_e32 v1, 2, v26
	global_load_dword v27, v1, s[12:13]
.LBB253_14:
	s_or_b64 exec, exec, s[10:11]
.LBB253_15:
	s_load_dwordx2 s[0:1], s[0:1], 0x4
	v_bfe_u32 v1, v0, 20, 10
	v_lshl_add_u32 v0, v31, 6, v26
	s_lshr_b32 s15, s40, 8
	v_lshrrev_b32_e32 v32, 3, v0
	s_waitcnt lgkmcnt(0)
	s_lshr_b32 s0, s0, 16
	v_mul_u32_u24_e32 v2, s1, v31
	s_mul_i32 s0, s0, s1
	v_mad_u32_u24 v2, s0, v26, v2
	v_add_lshl_u32 v1, v2, v1, 3
	v_add_u32_e32 v30, 0x800, v1
	v_add_u32_e32 v29, 0x400, v1
	v_cndmask_b32_e64 v1, 0, 1, s[34:35]
	v_mov_b32_e32 v36, 0
	v_cmp_gt_u32_e32 vcc, s15, v32
	v_cmp_ne_u32_e64 s[10:11], 1, v1
	v_mov_b32_e32 v33, 0
	v_mov_b32_e32 v35, 0
	;; [unrolled: 1-line block ×3, first 2 shown]
	ds_write2_b32 v30, v36, v36 offset1:1
	ds_write2_b32 v29, v36, v36 offset1:1
	s_and_saveexec_b64 s[0:1], vcc
	s_cbranch_execz .LBB253_23
; %bb.16:
	s_mul_hi_u32 s13, s27, s6
	s_add_i32 s13, s6, s13
	s_lshr_b32 s13, s13, s45
	s_mul_i32 s21, s44, s24
	s_mul_i32 s13, s13, s28
	s_mul_i32 s12, s41, s25
	s_add_i32 s27, s13, s21
	s_add_i32 s13, s20, 1
	v_lshlrev_b32_e32 v1, 1, v26
	s_mul_i32 s24, s20, s33
	s_mul_i32 s33, s33, s13
	s_mul_hi_u32 s13, s12, 36
	s_mul_i32 s12, s12, 36
	v_and_b32_e32 v2, 14, v1
	v_bfe_u32 v12, v1, 2, 2
	v_lshrrev_b32_e32 v3, 3, v0
	v_mov_b32_e32 v0, s12
	v_mov_b32_e32 v1, s13
	s_movk_i32 s12, 0x120
	s_mul_i32 s29, s6, s29
	v_mad_u64_u32 v[0:1], s[12:13], v3, s12, v[0:1]
	v_and_b32_e32 v10, 7, v26
	v_mad_u64_u32 v[0:1], s[12:13], s29, 36, v[0:1]
	v_mad_u64_u32 v[0:1], s[12:13], v10, 36, v[0:1]
	v_lshlrev_b32_e32 v4, 1, v2
	v_mov_b32_e32 v9, 0
	v_lshl_add_u64 v[0:1], v[0:1], 0, s[18:19]
	v_lshlrev_b32_e32 v18, 1, v2
	v_mov_b32_e32 v11, v9
	v_mov_b32_e32 v13, v9
	v_and_b32_e32 v37, 4, v4
	s_add_i32 s21, s27, s24
	s_add_i32 s27, s27, s33
	v_lshl_add_u64 v[14:15], v[0:1], 0, 16
	s_mov_b64 s[12:13], 0
	s_movk_i32 s28, 0x6e
	v_mov_b64_e32 v[16:17], s[16:17]
	v_lshlrev_b32_e32 v8, 1, v4
	s_movk_i32 s29, 0x100
	s_movk_i32 s31, 0xff00
	s_mov_b64 s[18:19], 0x1200
	v_mov_b32_e32 v20, v18
	v_mov_b32_e32 v21, v9
	;; [unrolled: 1-line block ×9, first 2 shown]
	s_branch .LBB253_18
.LBB253_17:                             ;   in Loop: Header=BB253_18 Depth=1
	s_waitcnt vmcnt(10)
	v_bfe_u32 v64, v55, 3, 1
	v_lshlrev_b32_sdwa v23, v38, v55 dst_sel:DWORD dst_unused:UNUSED_PAD src0_sel:DWORD src1_sel:BYTE_0
	v_bfe_u32 v25, v55, 1, 7
	v_cmp_ne_u16_e32 vcc, 0, v64
	v_and_b32_e32 v24, 1, v55
	v_bfe_i32 v25, v25, 0, 1
	v_lshrrev_b16_e32 v23, 7, v23
	v_cndmask_b32_e64 v64, 0, -1, vcc
	v_sub_u16_e32 v24, 0, v24
	v_bfe_i32 v23, v23, 0, 1
	v_lshlrev_b16_e32 v25, 8, v25
	v_lshlrev_b16_e32 v64, 8, v64
	v_or_b32_sdwa v65, v24, v25 dst_sel:DWORD dst_unused:UNUSED_PAD src0_sel:BYTE_0 src1_sel:DWORD
	v_or_b32_sdwa v66, v23, v64 dst_sel:WORD_1 dst_unused:UNUSED_PAD src0_sel:BYTE_0 src1_sel:DWORD
	v_bfe_u32 v69, v55, 7, 1
	v_or_b32_sdwa v65, v65, v66 dst_sel:DWORD dst_unused:UNUSED_PAD src0_sel:WORD_0 src1_sel:DWORD
	s_waitcnt vmcnt(7)
	v_xor_b32_e32 v63, v63, v65
	v_and_b32_e32 v65, 0xffffff00, v63
	v_sub_i16 v25, v65, v25 clamp
	v_lshlrev_b16_e32 v65, 8, v63
	v_lshlrev_b16_e32 v24, 8, v24
	v_lshlrev_b32_sdwa v66, v39, v55 dst_sel:DWORD dst_unused:UNUSED_PAD src0_sel:DWORD src1_sel:BYTE_0
	v_bfe_u32 v68, v55, 5, 3
	v_cmp_ne_u16_e32 vcc, 0, v69
	v_and_b32_e32 v25, 0xffffff00, v25
	v_sub_i16 v24, v65, v24 clamp
	v_bfe_i32 v68, v68, 0, 1
	v_lshrrev_b16_e32 v66, 7, v66
	v_cndmask_b32_e64 v69, 0, -1, vcc
	v_or_b32_sdwa v24, v24, v25 dst_sel:DWORD dst_unused:UNUSED_PAD src0_sel:BYTE_1 src1_sel:DWORD
	v_and_b32_sdwa v25, v63, s31 dst_sel:DWORD dst_unused:UNUSED_PAD src0_sel:WORD_1 src1_sel:DWORD
	v_bfe_i32 v67, v55, 4, 1
	v_bfe_i32 v66, v66, 0, 1
	v_lshlrev_b16_e32 v68, 8, v68
	v_lshlrev_b16_e32 v69, 8, v69
	v_sub_i16 v25, v25, v64 clamp
	v_lshlrev_b16_sdwa v63, v40, v63 dst_sel:DWORD dst_unused:UNUSED_PAD src0_sel:DWORD src1_sel:WORD_1
	v_lshlrev_b16_e32 v23, 8, v23
	v_or_b32_sdwa v70, v67, v68 dst_sel:DWORD dst_unused:UNUSED_PAD src0_sel:BYTE_0 src1_sel:DWORD
	v_or_b32_sdwa v71, v66, v69 dst_sel:WORD_1 dst_unused:UNUSED_PAD src0_sel:BYTE_0 src1_sel:DWORD
	v_and_b32_e32 v25, 0xffffff00, v25
	v_sub_i16 v23, v63, v23 clamp
	v_or_b32_sdwa v70, v70, v71 dst_sel:DWORD dst_unused:UNUSED_PAD src0_sel:WORD_0 src1_sel:DWORD
	v_or_b32_sdwa v23, v23, v25 dst_sel:WORD_1 dst_unused:UNUSED_PAD src0_sel:BYTE_1 src1_sel:DWORD
	v_lshlrev_b16_e32 v63, 8, v67
	v_or_b32_sdwa v23, v24, v23 dst_sel:DWORD dst_unused:UNUSED_PAD src0_sel:WORD_0 src1_sel:DWORD
	s_waitcnt vmcnt(6)
	v_xor_b32_e32 v24, v62, v70
	v_and_b32_e32 v25, 0xffffff00, v24
	v_sub_i16 v25, v25, v68 clamp
	v_lshlrev_b16_e32 v62, 8, v24
	v_and_b32_e32 v25, 0xffffff00, v25
	v_sub_i16 v62, v62, v63 clamp
	v_or_b32_sdwa v25, v62, v25 dst_sel:DWORD dst_unused:UNUSED_PAD src0_sel:BYTE_1 src1_sel:DWORD
	v_and_b32_sdwa v62, v24, s31 dst_sel:DWORD dst_unused:UNUSED_PAD src0_sel:WORD_1 src1_sel:DWORD
	v_sub_i16 v62, v62, v69 clamp
	v_lshlrev_b16_sdwa v24, v40, v24 dst_sel:DWORD dst_unused:UNUSED_PAD src0_sel:DWORD src1_sel:WORD_1
	v_lshlrev_b16_e32 v63, 8, v66
	v_and_b32_e32 v62, 0xffffff00, v62
	v_sub_i16 v24, v24, v63 clamp
	v_or_b32_sdwa v24, v24, v62 dst_sel:WORD_1 dst_unused:UNUSED_PAD src0_sel:BYTE_1 src1_sel:DWORD
	v_lshlrev_b16_e32 v62, 7, v55
	v_or_b32_sdwa v24, v25, v24 dst_sel:DWORD dst_unused:UNUSED_PAD src0_sel:WORD_0 src1_sel:DWORD
	v_mov_b32_e32 v25, v9
	v_dot4c_i32_i8_e32 v25, v23, v5
	v_lshrrev_b16_e32 v23, 8, v55
	v_bfe_u32 v64, v23, 3, 1
	v_dot4c_i32_i8_e32 v25, v24, v6
	v_lshlrev_b32_e32 v24, 5, v23
	v_lshrrev_b32_e32 v63, 1, v23
	v_cmp_ne_u16_e32 vcc, 0, v64
	v_bfe_i32 v63, v63, 0, 1
	v_lshrrev_b16_e32 v24, 7, v24
	v_cndmask_b32_e64 v64, 0, -1, vcc
	v_ashrrev_i16_e32 v62, 15, v62
	v_bfe_i32 v24, v24, 0, 1
	v_lshlrev_b16_e32 v63, 8, v63
	v_lshlrev_b16_e32 v64, 8, v64
	v_or_b32_sdwa v65, v62, v63 dst_sel:DWORD dst_unused:UNUSED_PAD src0_sel:BYTE_0 src1_sel:DWORD
	v_or_b32_sdwa v66, v24, v64 dst_sel:WORD_1 dst_unused:UNUSED_PAD src0_sel:BYTE_0 src1_sel:DWORD
	v_bfe_i32 v67, v23, 4, 1
	v_or_b32_sdwa v65, v65, v66 dst_sel:DWORD dst_unused:UNUSED_PAD src0_sel:WORD_0 src1_sel:DWORD
	v_lshlrev_b32_e32 v66, 1, v23
	v_lshrrev_b32_e32 v68, 5, v23
	v_lshrrev_b32_e32 v23, 7, v23
	s_waitcnt vmcnt(5)
	v_xor_b32_e32 v61, v61, v65
	v_cmp_ne_u16_e32 vcc, 0, v23
	v_and_b32_e32 v65, 0xffffff00, v61
	v_bfe_i32 v68, v68, 0, 1
	v_lshrrev_b16_e32 v66, 7, v66
	v_cndmask_b32_e64 v23, 0, -1, vcc
	v_sub_i16 v63, v65, v63 clamp
	v_lshlrev_b16_e32 v65, 8, v61
	v_lshlrev_b16_e32 v62, 8, v62
	v_bfe_i32 v66, v66, 0, 1
	v_lshlrev_b16_e32 v68, 8, v68
	v_lshlrev_b16_e32 v23, 8, v23
	v_and_b32_e32 v63, 0xffffff00, v63
	v_sub_i16 v62, v65, v62 clamp
	v_or_b32_sdwa v69, v67, v68 dst_sel:DWORD dst_unused:UNUSED_PAD src0_sel:BYTE_0 src1_sel:DWORD
	v_or_b32_sdwa v70, v66, v23 dst_sel:WORD_1 dst_unused:UNUSED_PAD src0_sel:BYTE_0 src1_sel:DWORD
	v_or_b32_sdwa v62, v62, v63 dst_sel:DWORD dst_unused:UNUSED_PAD src0_sel:BYTE_1 src1_sel:DWORD
	v_and_b32_sdwa v63, v61, s31 dst_sel:DWORD dst_unused:UNUSED_PAD src0_sel:WORD_1 src1_sel:DWORD
	v_or_b32_sdwa v69, v69, v70 dst_sel:DWORD dst_unused:UNUSED_PAD src0_sel:WORD_0 src1_sel:DWORD
	v_sub_i16 v63, v63, v64 clamp
	v_lshlrev_b16_sdwa v61, v40, v61 dst_sel:DWORD dst_unused:UNUSED_PAD src0_sel:DWORD src1_sel:WORD_1
	v_lshlrev_b16_e32 v24, 8, v24
	v_and_b32_e32 v63, 0xffffff00, v63
	v_sub_i16 v24, v61, v24 clamp
	s_waitcnt vmcnt(4)
	v_xor_b32_e32 v60, v60, v69
	v_or_b32_sdwa v24, v24, v63 dst_sel:WORD_1 dst_unused:UNUSED_PAD src0_sel:BYTE_1 src1_sel:DWORD
	v_and_b32_e32 v61, 0xffffff00, v60
	v_or_b32_sdwa v24, v62, v24 dst_sel:DWORD dst_unused:UNUSED_PAD src0_sel:WORD_0 src1_sel:DWORD
	v_sub_i16 v61, v61, v68 clamp
	v_lshlrev_b16_e32 v62, 8, v60
	v_lshlrev_b16_e32 v63, 8, v67
	v_and_b32_e32 v61, 0xffffff00, v61
	v_sub_i16 v62, v62, v63 clamp
	v_or_b32_sdwa v61, v62, v61 dst_sel:DWORD dst_unused:UNUSED_PAD src0_sel:BYTE_1 src1_sel:DWORD
	v_and_b32_sdwa v62, v60, s31 dst_sel:DWORD dst_unused:UNUSED_PAD src0_sel:WORD_1 src1_sel:DWORD
	v_sub_i16 v23, v62, v23 clamp
	v_lshlrev_b16_sdwa v60, v40, v60 dst_sel:DWORD dst_unused:UNUSED_PAD src0_sel:DWORD src1_sel:WORD_1
	v_lshlrev_b16_e32 v62, 8, v66
	v_and_b32_e32 v23, 0xffffff00, v23
	v_sub_i16 v60, v60, v62 clamp
	v_or_b32_sdwa v23, v60, v23 dst_sel:WORD_1 dst_unused:UNUSED_PAD src0_sel:BYTE_1 src1_sel:DWORD
	v_lshrrev_b32_e32 v19, 16, v55
	v_or_b32_sdwa v23, v61, v23 dst_sel:DWORD dst_unused:UNUSED_PAD src0_sel:WORD_0 src1_sel:DWORD
	v_dot4c_i32_i8_e32 v25, v24, v7
	v_bfe_u32 v61, v55, 19, 1
	v_dot4c_i32_i8_e32 v25, v23, v0
	v_lshlrev_b32_sdwa v23, v38, v55 dst_sel:DWORD dst_unused:UNUSED_PAD src0_sel:DWORD src1_sel:BYTE_2
	v_bfe_u32 v60, v19, 1, 7
	v_cmp_ne_u16_e32 vcc, 0, v61
	v_and_b32_e32 v24, 1, v19
	v_bfe_i32 v60, v60, 0, 1
	v_lshrrev_b16_e32 v23, 7, v23
	v_cndmask_b32_e64 v61, 0, -1, vcc
	v_sub_u16_e32 v24, 0, v24
	v_bfe_i32 v23, v23, 0, 1
	v_lshlrev_b16_e32 v60, 8, v60
	v_lshlrev_b16_e32 v61, 8, v61
	v_or_b32_sdwa v62, v24, v60 dst_sel:DWORD dst_unused:UNUSED_PAD src0_sel:BYTE_0 src1_sel:DWORD
	v_or_b32_sdwa v63, v23, v61 dst_sel:WORD_1 dst_unused:UNUSED_PAD src0_sel:BYTE_0 src1_sel:DWORD
	v_bfe_u32 v66, v19, 7, 1
	v_or_b32_sdwa v62, v62, v63 dst_sel:DWORD dst_unused:UNUSED_PAD src0_sel:WORD_0 src1_sel:DWORD
	s_waitcnt vmcnt(3)
	v_xor_b32_e32 v59, v59, v62
	v_and_b32_e32 v62, 0xffffff00, v59
	v_sub_i16 v60, v62, v60 clamp
	v_lshlrev_b16_e32 v62, 8, v59
	v_lshlrev_b16_e32 v24, 8, v24
	v_lshlrev_b32_sdwa v63, v39, v55 dst_sel:DWORD dst_unused:UNUSED_PAD src0_sel:DWORD src1_sel:BYTE_2
	v_bfe_u32 v65, v19, 5, 3
	v_cmp_ne_u16_e32 vcc, 0, v66
	v_and_b32_e32 v60, 0xffffff00, v60
	v_sub_i16 v24, v62, v24 clamp
	v_bfe_i32 v65, v65, 0, 1
	v_lshrrev_b16_e32 v63, 7, v63
	v_cndmask_b32_e64 v66, 0, -1, vcc
	v_or_b32_sdwa v24, v24, v60 dst_sel:DWORD dst_unused:UNUSED_PAD src0_sel:BYTE_1 src1_sel:DWORD
	v_and_b32_sdwa v60, v59, s31 dst_sel:DWORD dst_unused:UNUSED_PAD src0_sel:WORD_1 src1_sel:DWORD
	v_bfe_i32 v64, v55, 20, 1
	v_bfe_i32 v63, v63, 0, 1
	v_lshlrev_b16_e32 v65, 8, v65
	v_lshlrev_b16_e32 v66, 8, v66
	v_sub_i16 v60, v60, v61 clamp
	v_lshlrev_b16_sdwa v59, v40, v59 dst_sel:DWORD dst_unused:UNUSED_PAD src0_sel:DWORD src1_sel:WORD_1
	v_lshlrev_b16_e32 v23, 8, v23
	v_or_b32_sdwa v67, v64, v65 dst_sel:DWORD dst_unused:UNUSED_PAD src0_sel:BYTE_0 src1_sel:DWORD
	v_or_b32_sdwa v68, v63, v66 dst_sel:WORD_1 dst_unused:UNUSED_PAD src0_sel:BYTE_0 src1_sel:DWORD
	v_and_b32_e32 v60, 0xffffff00, v60
	v_sub_i16 v23, v59, v23 clamp
	v_or_b32_sdwa v67, v67, v68 dst_sel:DWORD dst_unused:UNUSED_PAD src0_sel:WORD_0 src1_sel:DWORD
	v_or_b32_sdwa v23, v23, v60 dst_sel:WORD_1 dst_unused:UNUSED_PAD src0_sel:BYTE_1 src1_sel:DWORD
	v_lshlrev_b16_e32 v60, 8, v64
	v_or_b32_sdwa v23, v24, v23 dst_sel:DWORD dst_unused:UNUSED_PAD src0_sel:WORD_0 src1_sel:DWORD
	s_waitcnt vmcnt(2)
	v_xor_b32_e32 v24, v58, v67
	v_and_b32_e32 v58, 0xffffff00, v24
	v_sub_i16 v58, v58, v65 clamp
	v_lshlrev_b16_e32 v59, 8, v24
	v_and_b32_e32 v58, 0xffffff00, v58
	v_sub_i16 v59, v59, v60 clamp
	v_or_b32_sdwa v58, v59, v58 dst_sel:DWORD dst_unused:UNUSED_PAD src0_sel:BYTE_1 src1_sel:DWORD
	v_and_b32_sdwa v59, v24, s31 dst_sel:DWORD dst_unused:UNUSED_PAD src0_sel:WORD_1 src1_sel:DWORD
	v_sub_i16 v59, v59, v66 clamp
	v_lshlrev_b16_sdwa v24, v40, v24 dst_sel:DWORD dst_unused:UNUSED_PAD src0_sel:DWORD src1_sel:WORD_1
	v_lshlrev_b16_e32 v60, 8, v63
	v_and_b32_e32 v59, 0xffffff00, v59
	v_sub_i16 v24, v24, v60 clamp
	v_or_b32_sdwa v24, v24, v59 dst_sel:WORD_1 dst_unused:UNUSED_PAD src0_sel:BYTE_1 src1_sel:DWORD
	v_lshrrev_b32_e32 v22, 24, v55
	v_or_b32_sdwa v24, v58, v24 dst_sel:DWORD dst_unused:UNUSED_PAD src0_sel:WORD_0 src1_sel:DWORD
	v_dot4c_i32_i8_e32 v25, v23, v1
	v_bfe_u32 v58, v55, 27, 1
	v_dot4c_i32_i8_e32 v25, v24, v2
	v_lshlrev_b32_e32 v23, 5, v22
	v_lshrrev_b32_e32 v24, 25, v55
	v_cmp_ne_u16_e32 vcc, 0, v58
	v_lshlrev_b16_e32 v19, 7, v19
	v_bfe_i32 v24, v24, 0, 1
	v_lshrrev_b16_e32 v23, 7, v23
	v_cndmask_b32_e64 v58, 0, -1, vcc
	v_ashrrev_i16_e32 v19, 15, v19
	v_bfe_i32 v23, v23, 0, 1
	v_lshlrev_b16_e32 v24, 8, v24
	v_lshlrev_b16_e32 v58, 8, v58
	v_or_b32_sdwa v59, v19, v24 dst_sel:DWORD dst_unused:UNUSED_PAD src0_sel:BYTE_0 src1_sel:DWORD
	v_or_b32_sdwa v60, v23, v58 dst_sel:WORD_1 dst_unused:UNUSED_PAD src0_sel:BYTE_0 src1_sel:DWORD
	v_lshrrev_b32_e32 v61, 29, v55
	v_or_b32_sdwa v59, v59, v60 dst_sel:DWORD dst_unused:UNUSED_PAD src0_sel:WORD_0 src1_sel:DWORD
	s_waitcnt vmcnt(1)
	v_xor_b32_e32 v57, v57, v59
	v_and_b32_e32 v59, 0xffffff00, v57
	v_lshrrev_b32_e32 v55, 31, v55
	v_sub_i16 v24, v59, v24 clamp
	v_lshlrev_b16_e32 v59, 8, v57
	v_lshlrev_b16_e32 v19, 8, v19
	v_lshlrev_b32_e32 v60, 1, v22
	v_cmp_ne_u16_e32 vcc, 0, v55
	v_and_b32_e32 v24, 0xffffff00, v24
	v_sub_i16 v19, v59, v19 clamp
	v_bfe_i32 v61, v61, 0, 1
	v_lshrrev_b16_e32 v60, 7, v60
	v_cndmask_b32_e64 v55, 0, -1, vcc
	v_or_b32_sdwa v19, v19, v24 dst_sel:DWORD dst_unused:UNUSED_PAD src0_sel:BYTE_1 src1_sel:DWORD
	v_and_b32_sdwa v24, v57, s31 dst_sel:DWORD dst_unused:UNUSED_PAD src0_sel:WORD_1 src1_sel:DWORD
	v_bfe_i32 v22, v22, 4, 1
	v_bfe_i32 v60, v60, 0, 1
	v_lshlrev_b16_e32 v61, 8, v61
	v_lshlrev_b16_e32 v55, 8, v55
	v_sub_i16 v24, v24, v58 clamp
	v_lshlrev_b16_sdwa v57, v40, v57 dst_sel:DWORD dst_unused:UNUSED_PAD src0_sel:DWORD src1_sel:WORD_1
	v_lshlrev_b16_e32 v23, 8, v23
	v_or_b32_sdwa v62, v22, v61 dst_sel:DWORD dst_unused:UNUSED_PAD src0_sel:BYTE_0 src1_sel:DWORD
	v_or_b32_sdwa v63, v60, v55 dst_sel:WORD_1 dst_unused:UNUSED_PAD src0_sel:BYTE_0 src1_sel:DWORD
	v_and_b32_e32 v24, 0xffffff00, v24
	v_sub_i16 v23, v57, v23 clamp
	v_or_b32_sdwa v62, v62, v63 dst_sel:DWORD dst_unused:UNUSED_PAD src0_sel:WORD_0 src1_sel:DWORD
	v_or_b32_sdwa v23, v23, v24 dst_sel:WORD_1 dst_unused:UNUSED_PAD src0_sel:BYTE_1 src1_sel:DWORD
	v_lshlrev_b16_e32 v22, 8, v22
	v_or_b32_sdwa v19, v19, v23 dst_sel:DWORD dst_unused:UNUSED_PAD src0_sel:WORD_0 src1_sel:DWORD
	s_waitcnt vmcnt(0)
	v_xor_b32_e32 v23, v56, v62
	v_and_b32_e32 v24, 0xffffff00, v23
	v_sub_i16 v24, v24, v61 clamp
	v_lshlrev_b16_e32 v56, 8, v23
	v_and_b32_e32 v24, 0xffffff00, v24
	v_sub_i16 v22, v56, v22 clamp
	v_or_b32_sdwa v22, v22, v24 dst_sel:DWORD dst_unused:UNUSED_PAD src0_sel:BYTE_1 src1_sel:DWORD
	v_and_b32_sdwa v24, v23, s31 dst_sel:DWORD dst_unused:UNUSED_PAD src0_sel:WORD_1 src1_sel:DWORD
	v_sub_i16 v24, v24, v55 clamp
	v_lshlrev_b16_sdwa v23, v40, v23 dst_sel:DWORD dst_unused:UNUSED_PAD src0_sel:DWORD src1_sel:WORD_1
	v_lshlrev_b16_e32 v55, 8, v60
	v_and_b32_e32 v24, 0xffffff00, v24
	v_sub_i16 v23, v23, v55 clamp
	v_or_b32_sdwa v23, v23, v24 dst_sel:WORD_1 dst_unused:UNUSED_PAD src0_sel:BYTE_1 src1_sel:DWORD
	v_dot4c_i32_i8_e32 v25, v19, v3
	v_lshrrev_b32_sdwa v19, v37, v54 dst_sel:DWORD dst_unused:UNUSED_PAD src0_sel:DWORD src1_sel:BYTE_0
	v_or_b32_sdwa v22, v22, v23 dst_sel:DWORD dst_unused:UNUSED_PAD src0_sel:WORD_0 src1_sel:DWORD
	v_lshlrev_b32_e32 v19, 1, v19
	v_dot4c_i32_i8_e32 v25, v22, v41
	v_and_or_b32 v19, v19, 30, 1
	v_bfe_u32 v55, v44, 3, 1
	v_bfe_u32 v54, v44, 1, 7
	v_mul_lo_u32 v19, v25, v19
	v_lshlrev_b32_sdwa v25, v38, v44 dst_sel:DWORD dst_unused:UNUSED_PAD src0_sel:DWORD src1_sel:BYTE_0
	v_cmp_ne_u16_e32 vcc, 0, v55
	v_cvt_f32_f16_e32 v22, v53
	v_and_b32_e32 v53, 1, v44
	v_bfe_i32 v54, v54, 0, 1
	v_lshrrev_b16_e32 v25, 7, v25
	v_cndmask_b32_e64 v55, 0, -1, vcc
	v_sub_u16_e32 v53, 0, v53
	v_bfe_i32 v25, v25, 0, 1
	v_lshlrev_b16_e32 v54, 8, v54
	v_lshlrev_b16_e32 v55, 8, v55
	v_or_b32_sdwa v56, v53, v54 dst_sel:DWORD dst_unused:UNUSED_PAD src0_sel:BYTE_0 src1_sel:DWORD
	v_or_b32_sdwa v57, v25, v55 dst_sel:WORD_1 dst_unused:UNUSED_PAD src0_sel:BYTE_0 src1_sel:DWORD
	v_bfe_u32 v60, v44, 7, 1
	v_or_b32_sdwa v56, v56, v57 dst_sel:DWORD dst_unused:UNUSED_PAD src0_sel:WORD_0 src1_sel:DWORD
	v_xor_b32_e32 v52, v52, v56
	v_lshlrev_b32_sdwa v57, v39, v44 dst_sel:DWORD dst_unused:UNUSED_PAD src0_sel:DWORD src1_sel:BYTE_0
	v_bfe_u32 v59, v44, 5, 3
	v_cmp_ne_u16_e32 vcc, 0, v60
	v_and_b32_e32 v56, 0xffffff00, v52
	v_bfe_i32 v59, v59, 0, 1
	v_lshrrev_b16_e32 v57, 7, v57
	v_cndmask_b32_e64 v60, 0, -1, vcc
	v_sub_i16 v54, v56, v54 clamp
	v_lshlrev_b16_e32 v56, 8, v52
	v_lshlrev_b16_e32 v53, 8, v53
	v_bfe_i32 v58, v44, 4, 1
	v_bfe_i32 v57, v57, 0, 1
	v_lshlrev_b16_e32 v59, 8, v59
	v_lshlrev_b16_e32 v60, 8, v60
	v_and_b32_e32 v54, 0xffffff00, v54
	v_sub_i16 v53, v56, v53 clamp
	v_or_b32_sdwa v61, v58, v59 dst_sel:DWORD dst_unused:UNUSED_PAD src0_sel:BYTE_0 src1_sel:DWORD
	v_or_b32_sdwa v62, v57, v60 dst_sel:WORD_1 dst_unused:UNUSED_PAD src0_sel:BYTE_0 src1_sel:DWORD
	v_or_b32_sdwa v53, v53, v54 dst_sel:DWORD dst_unused:UNUSED_PAD src0_sel:BYTE_1 src1_sel:DWORD
	v_and_b32_sdwa v54, v52, s31 dst_sel:DWORD dst_unused:UNUSED_PAD src0_sel:WORD_1 src1_sel:DWORD
	v_or_b32_sdwa v61, v61, v62 dst_sel:DWORD dst_unused:UNUSED_PAD src0_sel:WORD_0 src1_sel:DWORD
	v_sub_i16 v54, v54, v55 clamp
	v_lshlrev_b16_sdwa v52, v40, v52 dst_sel:DWORD dst_unused:UNUSED_PAD src0_sel:DWORD src1_sel:WORD_1
	v_lshlrev_b16_e32 v25, 8, v25
	v_and_b32_e32 v54, 0xffffff00, v54
	v_sub_i16 v25, v52, v25 clamp
	v_xor_b32_e32 v51, v51, v61
	v_or_b32_sdwa v25, v25, v54 dst_sel:WORD_1 dst_unused:UNUSED_PAD src0_sel:BYTE_1 src1_sel:DWORD
	v_and_b32_e32 v52, 0xffffff00, v51
	v_or_b32_sdwa v25, v53, v25 dst_sel:DWORD dst_unused:UNUSED_PAD src0_sel:WORD_0 src1_sel:DWORD
	v_sub_i16 v52, v52, v59 clamp
	v_lshlrev_b16_e32 v53, 8, v51
	v_lshlrev_b16_e32 v54, 8, v58
	v_and_b32_e32 v52, 0xffffff00, v52
	v_sub_i16 v53, v53, v54 clamp
	v_or_b32_sdwa v52, v53, v52 dst_sel:DWORD dst_unused:UNUSED_PAD src0_sel:BYTE_1 src1_sel:DWORD
	v_and_b32_sdwa v53, v51, s31 dst_sel:DWORD dst_unused:UNUSED_PAD src0_sel:WORD_1 src1_sel:DWORD
	v_sub_i16 v53, v53, v60 clamp
	v_lshlrev_b16_sdwa v51, v40, v51 dst_sel:DWORD dst_unused:UNUSED_PAD src0_sel:DWORD src1_sel:WORD_1
	v_lshlrev_b16_e32 v54, 8, v57
	v_and_b32_e32 v53, 0xffffff00, v53
	v_sub_i16 v51, v51, v54 clamp
	v_or_b32_sdwa v51, v51, v53 dst_sel:WORD_1 dst_unused:UNUSED_PAD src0_sel:BYTE_1 src1_sel:DWORD
	v_lshrrev_b32_e32 v23, 16, v44
	v_or_b32_sdwa v51, v52, v51 dst_sel:DWORD dst_unused:UNUSED_PAD src0_sel:WORD_0 src1_sel:DWORD
	v_mov_b32_e32 v52, v9
	v_dot4c_i32_i8_e32 v52, v25, v5
	v_lshrrev_b16_e32 v5, 8, v44
	v_bfe_u32 v53, v5, 3, 1
	v_dot4c_i32_i8_e32 v52, v51, v6
	v_lshlrev_b32_e32 v6, 5, v5
	v_lshrrev_b32_e32 v51, 1, v5
	v_cmp_ne_u16_e32 vcc, 0, v53
	v_lshlrev_b16_e32 v25, 7, v44
	v_bfe_i32 v51, v51, 0, 1
	v_lshrrev_b16_e32 v6, 7, v6
	v_cndmask_b32_e64 v53, 0, -1, vcc
	v_ashrrev_i16_e32 v25, 15, v25
	v_bfe_i32 v6, v6, 0, 1
	v_lshlrev_b16_e32 v51, 8, v51
	v_lshlrev_b16_e32 v53, 8, v53
	v_or_b32_sdwa v54, v25, v51 dst_sel:DWORD dst_unused:UNUSED_PAD src0_sel:BYTE_0 src1_sel:DWORD
	v_or_b32_sdwa v55, v6, v53 dst_sel:WORD_1 dst_unused:UNUSED_PAD src0_sel:BYTE_0 src1_sel:DWORD
	v_bfe_i32 v56, v5, 4, 1
	v_or_b32_sdwa v54, v54, v55 dst_sel:DWORD dst_unused:UNUSED_PAD src0_sel:WORD_0 src1_sel:DWORD
	v_xor_b32_e32 v50, v50, v54
	v_and_b32_e32 v54, 0xffffff00, v50
	v_lshlrev_b32_e32 v55, 1, v5
	v_lshrrev_b32_e32 v57, 5, v5
	v_lshrrev_b32_e32 v5, 7, v5
	v_sub_i16 v51, v54, v51 clamp
	v_lshlrev_b16_e32 v54, 8, v50
	v_lshlrev_b16_e32 v25, 8, v25
	v_cmp_ne_u16_e32 vcc, 0, v5
	v_and_b32_e32 v51, 0xffffff00, v51
	v_sub_i16 v25, v54, v25 clamp
	v_bfe_i32 v57, v57, 0, 1
	v_lshrrev_b16_e32 v55, 7, v55
	v_cndmask_b32_e64 v5, 0, -1, vcc
	v_or_b32_sdwa v25, v25, v51 dst_sel:DWORD dst_unused:UNUSED_PAD src0_sel:BYTE_1 src1_sel:DWORD
	v_and_b32_sdwa v51, v50, s31 dst_sel:DWORD dst_unused:UNUSED_PAD src0_sel:WORD_1 src1_sel:DWORD
	v_bfe_i32 v55, v55, 0, 1
	v_lshlrev_b16_e32 v57, 8, v57
	v_lshlrev_b16_e32 v5, 8, v5
	v_sub_i16 v51, v51, v53 clamp
	v_lshlrev_b16_sdwa v50, v40, v50 dst_sel:DWORD dst_unused:UNUSED_PAD src0_sel:DWORD src1_sel:WORD_1
	v_lshlrev_b16_e32 v6, 8, v6
	v_or_b32_sdwa v58, v56, v57 dst_sel:DWORD dst_unused:UNUSED_PAD src0_sel:BYTE_0 src1_sel:DWORD
	v_or_b32_sdwa v59, v55, v5 dst_sel:WORD_1 dst_unused:UNUSED_PAD src0_sel:BYTE_0 src1_sel:DWORD
	v_and_b32_e32 v51, 0xffffff00, v51
	v_sub_i16 v6, v50, v6 clamp
	v_or_b32_sdwa v58, v58, v59 dst_sel:DWORD dst_unused:UNUSED_PAD src0_sel:WORD_0 src1_sel:DWORD
	v_or_b32_sdwa v6, v6, v51 dst_sel:WORD_1 dst_unused:UNUSED_PAD src0_sel:BYTE_1 src1_sel:DWORD
	v_lshlrev_b16_e32 v51, 8, v56
	v_or_b32_sdwa v6, v25, v6 dst_sel:DWORD dst_unused:UNUSED_PAD src0_sel:WORD_0 src1_sel:DWORD
	v_xor_b32_e32 v25, v49, v58
	v_and_b32_e32 v49, 0xffffff00, v25
	v_sub_i16 v49, v49, v57 clamp
	v_lshlrev_b16_e32 v50, 8, v25
	v_and_b32_e32 v49, 0xffffff00, v49
	v_sub_i16 v50, v50, v51 clamp
	v_or_b32_sdwa v49, v50, v49 dst_sel:DWORD dst_unused:UNUSED_PAD src0_sel:BYTE_1 src1_sel:DWORD
	v_and_b32_sdwa v50, v25, s31 dst_sel:DWORD dst_unused:UNUSED_PAD src0_sel:WORD_1 src1_sel:DWORD
	v_sub_i16 v5, v50, v5 clamp
	v_lshlrev_b16_sdwa v25, v40, v25 dst_sel:DWORD dst_unused:UNUSED_PAD src0_sel:DWORD src1_sel:WORD_1
	v_lshlrev_b16_e32 v50, 8, v55
	v_and_b32_e32 v5, 0xffffff00, v5
	v_sub_i16 v25, v25, v50 clamp
	v_or_b32_sdwa v5, v25, v5 dst_sel:WORD_1 dst_unused:UNUSED_PAD src0_sel:BYTE_1 src1_sel:DWORD
	v_dot4c_i32_i8_e32 v52, v6, v7
	v_or_b32_sdwa v5, v49, v5 dst_sel:DWORD dst_unused:UNUSED_PAD src0_sel:WORD_0 src1_sel:DWORD
	v_bfe_u32 v7, v44, 19, 1
	v_dot4c_i32_i8_e32 v52, v5, v0
	v_lshlrev_b32_sdwa v0, v38, v44 dst_sel:DWORD dst_unused:UNUSED_PAD src0_sel:DWORD src1_sel:BYTE_2
	v_bfe_u32 v6, v23, 1, 7
	v_cmp_ne_u16_e32 vcc, 0, v7
	v_and_b32_e32 v5, 1, v23
	v_bfe_i32 v6, v6, 0, 1
	v_lshrrev_b16_e32 v0, 7, v0
	v_cndmask_b32_e64 v7, 0, -1, vcc
	v_sub_u16_e32 v5, 0, v5
	v_bfe_i32 v0, v0, 0, 1
	v_lshlrev_b16_e32 v6, 8, v6
	v_lshlrev_b16_e32 v7, 8, v7
	v_or_b32_sdwa v25, v5, v6 dst_sel:DWORD dst_unused:UNUSED_PAD src0_sel:BYTE_0 src1_sel:DWORD
	v_or_b32_sdwa v49, v0, v7 dst_sel:WORD_1 dst_unused:UNUSED_PAD src0_sel:BYTE_0 src1_sel:DWORD
	v_bfe_u32 v53, v23, 7, 1
	v_or_b32_sdwa v25, v25, v49 dst_sel:DWORD dst_unused:UNUSED_PAD src0_sel:WORD_0 src1_sel:DWORD
	v_xor_b32_e32 v25, v48, v25
	v_and_b32_e32 v48, 0xffffff00, v25
	v_sub_i16 v6, v48, v6 clamp
	v_lshlrev_b16_e32 v48, 8, v25
	v_lshlrev_b16_e32 v5, 8, v5
	v_lshlrev_b32_sdwa v49, v39, v44 dst_sel:DWORD dst_unused:UNUSED_PAD src0_sel:DWORD src1_sel:BYTE_2
	v_bfe_u32 v51, v23, 5, 3
	v_cmp_ne_u16_e32 vcc, 0, v53
	v_and_b32_e32 v6, 0xffffff00, v6
	v_sub_i16 v5, v48, v5 clamp
	v_bfe_i32 v51, v51, 0, 1
	v_lshrrev_b16_e32 v49, 7, v49
	v_cndmask_b32_e64 v53, 0, -1, vcc
	v_or_b32_sdwa v5, v5, v6 dst_sel:DWORD dst_unused:UNUSED_PAD src0_sel:BYTE_1 src1_sel:DWORD
	v_and_b32_sdwa v6, v25, s31 dst_sel:DWORD dst_unused:UNUSED_PAD src0_sel:WORD_1 src1_sel:DWORD
	v_bfe_i32 v50, v44, 20, 1
	v_bfe_i32 v49, v49, 0, 1
	v_lshlrev_b16_e32 v51, 8, v51
	v_lshlrev_b16_e32 v53, 8, v53
	v_sub_i16 v6, v6, v7 clamp
	v_lshlrev_b16_sdwa v7, v40, v25 dst_sel:DWORD dst_unused:UNUSED_PAD src0_sel:DWORD src1_sel:WORD_1
	v_lshlrev_b16_e32 v0, 8, v0
	v_or_b32_sdwa v54, v50, v51 dst_sel:DWORD dst_unused:UNUSED_PAD src0_sel:BYTE_0 src1_sel:DWORD
	v_or_b32_sdwa v55, v49, v53 dst_sel:WORD_1 dst_unused:UNUSED_PAD src0_sel:BYTE_0 src1_sel:DWORD
	v_and_b32_e32 v6, 0xffffff00, v6
	v_sub_i16 v0, v7, v0 clamp
	v_or_b32_sdwa v54, v54, v55 dst_sel:DWORD dst_unused:UNUSED_PAD src0_sel:WORD_0 src1_sel:DWORD
	v_or_b32_sdwa v0, v0, v6 dst_sel:WORD_1 dst_unused:UNUSED_PAD src0_sel:BYTE_1 src1_sel:DWORD
	v_lshlrev_b16_e32 v25, 8, v50
	v_or_b32_sdwa v0, v5, v0 dst_sel:DWORD dst_unused:UNUSED_PAD src0_sel:WORD_0 src1_sel:DWORD
	v_xor_b32_e32 v5, v47, v54
	v_and_b32_e32 v6, 0xffffff00, v5
	v_sub_i16 v6, v6, v51 clamp
	v_lshlrev_b16_e32 v7, 8, v5
	v_and_b32_e32 v6, 0xffffff00, v6
	v_sub_i16 v7, v7, v25 clamp
	v_or_b32_sdwa v6, v7, v6 dst_sel:DWORD dst_unused:UNUSED_PAD src0_sel:BYTE_1 src1_sel:DWORD
	v_and_b32_sdwa v7, v5, s31 dst_sel:DWORD dst_unused:UNUSED_PAD src0_sel:WORD_1 src1_sel:DWORD
	v_sub_i16 v7, v7, v53 clamp
	v_lshlrev_b16_sdwa v5, v40, v5 dst_sel:DWORD dst_unused:UNUSED_PAD src0_sel:DWORD src1_sel:WORD_1
	v_lshlrev_b16_e32 v25, 8, v49
	v_and_b32_e32 v7, 0xffffff00, v7
	v_sub_i16 v5, v5, v25 clamp
	v_or_b32_sdwa v5, v5, v7 dst_sel:WORD_1 dst_unused:UNUSED_PAD src0_sel:BYTE_1 src1_sel:DWORD
	v_dot4c_i32_i8_e32 v52, v0, v1
	v_or_b32_sdwa v5, v6, v5 dst_sel:DWORD dst_unused:UNUSED_PAD src0_sel:WORD_0 src1_sel:DWORD
	v_lshrrev_b32_e32 v24, 24, v44
	v_dot4c_i32_i8_e32 v52, v5, v2
	v_bfe_u32 v5, v44, 27, 1
	v_lshlrev_b32_e32 v0, 5, v24
	v_lshrrev_b32_e32 v2, 25, v44
	v_cmp_ne_u16_e32 vcc, 0, v5
	v_lshlrev_b16_e32 v1, 7, v23
	v_bfe_i32 v2, v2, 0, 1
	v_lshrrev_b16_e32 v0, 7, v0
	v_cndmask_b32_e64 v5, 0, -1, vcc
	v_ashrrev_i16_e32 v1, 15, v1
	v_bfe_i32 v0, v0, 0, 1
	v_lshlrev_b16_e32 v2, 8, v2
	v_lshlrev_b16_e32 v5, 8, v5
	v_or_b32_sdwa v6, v1, v2 dst_sel:DWORD dst_unused:UNUSED_PAD src0_sel:BYTE_0 src1_sel:DWORD
	v_or_b32_sdwa v7, v0, v5 dst_sel:WORD_1 dst_unused:UNUSED_PAD src0_sel:BYTE_0 src1_sel:DWORD
	v_lshrrev_b32_e32 v25, 31, v44
	v_or_b32_sdwa v6, v6, v7 dst_sel:DWORD dst_unused:UNUSED_PAD src0_sel:WORD_0 src1_sel:DWORD
	v_xor_b32_e32 v6, v46, v6
	v_and_b32_e32 v46, 0xffffff00, v6
	v_sub_i16 v2, v46, v2 clamp
	v_lshlrev_b16_e32 v46, 8, v6
	v_lshlrev_b16_e32 v1, 8, v1
	v_lshlrev_b32_e32 v7, 1, v24
	v_bfe_i32 v23, v24, 4, 1
	v_lshrrev_b32_e32 v24, 29, v44
	v_cmp_ne_u16_e32 vcc, 0, v25
	v_and_b32_e32 v2, 0xffffff00, v2
	v_sub_i16 v1, v46, v1 clamp
	v_bfe_i32 v24, v24, 0, 1
	v_lshrrev_b16_e32 v7, 7, v7
	v_cndmask_b32_e64 v25, 0, -1, vcc
	v_or_b32_sdwa v1, v1, v2 dst_sel:DWORD dst_unused:UNUSED_PAD src0_sel:BYTE_1 src1_sel:DWORD
	v_and_b32_sdwa v2, v6, s31 dst_sel:DWORD dst_unused:UNUSED_PAD src0_sel:WORD_1 src1_sel:DWORD
	v_bfe_i32 v7, v7, 0, 1
	v_lshlrev_b16_e32 v24, 8, v24
	v_lshlrev_b16_e32 v25, 8, v25
	v_sub_i16 v2, v2, v5 clamp
	v_lshlrev_b16_sdwa v5, v40, v6 dst_sel:DWORD dst_unused:UNUSED_PAD src0_sel:DWORD src1_sel:WORD_1
	v_lshlrev_b16_e32 v0, 8, v0
	v_or_b32_sdwa v44, v23, v24 dst_sel:DWORD dst_unused:UNUSED_PAD src0_sel:BYTE_0 src1_sel:DWORD
	v_or_b32_sdwa v47, v7, v25 dst_sel:WORD_1 dst_unused:UNUSED_PAD src0_sel:BYTE_0 src1_sel:DWORD
	v_and_b32_e32 v2, 0xffffff00, v2
	v_sub_i16 v0, v5, v0 clamp
	v_or_b32_sdwa v44, v44, v47 dst_sel:DWORD dst_unused:UNUSED_PAD src0_sel:WORD_0 src1_sel:DWORD
	v_or_b32_sdwa v0, v0, v2 dst_sel:WORD_1 dst_unused:UNUSED_PAD src0_sel:BYTE_1 src1_sel:DWORD
	v_lshlrev_b16_e32 v6, 8, v23
	v_or_b32_sdwa v0, v1, v0 dst_sel:DWORD dst_unused:UNUSED_PAD src0_sel:WORD_0 src1_sel:DWORD
	v_xor_b32_e32 v1, v45, v44
	v_and_b32_e32 v2, 0xffffff00, v1
	v_sub_i16 v2, v2, v24 clamp
	v_lshlrev_b16_e32 v5, 8, v1
	v_and_b32_e32 v2, 0xffffff00, v2
	v_sub_i16 v5, v5, v6 clamp
	v_or_b32_sdwa v2, v5, v2 dst_sel:DWORD dst_unused:UNUSED_PAD src0_sel:BYTE_1 src1_sel:DWORD
	v_and_b32_sdwa v5, v1, s31 dst_sel:DWORD dst_unused:UNUSED_PAD src0_sel:WORD_1 src1_sel:DWORD
	v_sub_i16 v5, v5, v25 clamp
	v_lshlrev_b16_sdwa v1, v40, v1 dst_sel:DWORD dst_unused:UNUSED_PAD src0_sel:DWORD src1_sel:WORD_1
	v_lshlrev_b16_e32 v6, 8, v7
	v_and_b32_e32 v5, 0xffffff00, v5
	v_sub_i16 v1, v1, v6 clamp
	v_or_b32_sdwa v1, v1, v5 dst_sel:WORD_1 dst_unused:UNUSED_PAD src0_sel:BYTE_1 src1_sel:DWORD
	v_dot4c_i32_i8_e32 v52, v0, v3
	v_lshrrev_b32_sdwa v0, v37, v43 dst_sel:DWORD dst_unused:UNUSED_PAD src0_sel:DWORD src1_sel:BYTE_0
	v_or_b32_sdwa v1, v2, v1 dst_sel:DWORD dst_unused:UNUSED_PAD src0_sel:WORD_0 src1_sel:DWORD
	v_lshlrev_b32_e32 v0, 1, v0
	v_dot4c_i32_i8_e32 v52, v1, v41
	v_and_or_b32 v0, v0, 30, 1
	v_cvt_f32_f16_e32 v1, v42
	v_cvt_f32_i32_e32 v19, v19
	v_mul_lo_u32 v0, v52, v0
	v_cvt_f32_i32_e32 v0, v0
	v_add_u32_e32 v32, 16, v32
	v_mul_f32_e32 v2, v22, v4
	v_mul_f32_e32 v1, v1, v4
	v_cmp_le_u32_e32 vcc, s15, v32
	v_fmac_f32_e32 v33, v2, v19
	v_fmac_f32_e32 v36, v1, v0
	s_or_b64 s[12:13], vcc, s[12:13]
	v_lshl_add_u64 v[14:15], v[14:15], 0, s[18:19]
	s_andn2_b64 exec, exec, s[12:13]
	s_cbranch_execz .LBB253_22
.LBB253_18:                             ; =>This Inner Loop Header: Depth=1
	v_add_u32_e32 v19, s21, v32
	v_mad_i64_i32 v[22:23], s[24:25], v19, s28, v[16:17]
	v_lshl_add_u64 v[24:25], v[22:23], 0, v[8:9]
	v_lshl_add_u64 v[42:43], v[22:23], 0, v[10:11]
	global_load_dwordx2 v[46:47], v[24:25], off offset:2
	global_load_ubyte v45, v[42:43], off offset:66
	global_load_dwordx4 v[4:7], v[14:15], off offset:-16
	global_load_dwordx4 v[0:3], v[14:15], off
	global_load_dword v41, v[14:15], off offset:16
	v_lshl_add_u64 v[24:25], v[22:23], 0, v[20:21]
	v_lshl_add_u64 v[48:49], v[22:23], 0, v[12:13]
	global_load_dword v44, v[24:25], off offset:74
	global_load_ubyte v43, v[48:49], off offset:106
	global_load_ushort v42, v[22:23], off
	s_getpc_b64 s[24:25]
	s_add_u32 s24, s24, _ZL9iq3s_grid@rel32@lo+4
	s_addc_u32 s25, s25, _ZL9iq3s_grid@rel32@hi+12
	s_and_b64 vcc, exec, s[10:11]
	s_waitcnt vmcnt(7)
	v_and_b32_e32 v22, 0xff, v46
	s_waitcnt vmcnt(6)
	v_lshlrev_b32_e32 v23, 8, v45
	v_lshrrev_b16_e32 v24, 8, v46
	v_lshlrev_b32_e32 v25, 7, v45
	v_bfe_u32 v48, v46, 16, 8
	v_lshlrev_b32_e32 v49, 6, v45
	v_lshrrev_b32_e32 v46, 24, v46
	v_lshlrev_b32_e32 v50, 5, v45
	v_and_b32_e32 v51, 0xff, v47
	v_lshlrev_b32_e32 v52, 4, v45
	v_lshrrev_b16_e32 v53, 8, v47
	v_lshlrev_b32_e32 v54, 3, v45
	v_bfe_u32 v55, v47, 16, 8
	v_lshlrev_b32_e32 v56, 2, v45
	v_lshrrev_b32_e32 v47, 24, v47
	v_lshlrev_b32_e32 v45, 1, v45
	v_and_or_b32 v22, v23, s29, v22
	v_and_or_b32 v23, v25, s29, v24
	;; [unrolled: 1-line block ×8, first 2 shown]
	v_lshlrev_b32_e32 v22, 2, v22
	v_lshlrev_b32_e32 v23, 2, v23
	;; [unrolled: 1-line block ×8, first 2 shown]
	global_load_dword v52, v22, s[24:25]
	global_load_dword v51, v23, s[24:25]
	global_load_dword v50, v24, s[24:25]
	global_load_dword v49, v25, s[24:25]
	global_load_dword v48, v53, s[24:25]
	global_load_dword v47, v54, s[24:25]
	global_load_dword v46, v55, s[24:25]
	global_load_dword v45, v56, s[24:25]
	s_waitcnt vmcnt(13)
	v_cvt_f32_f16_e32 v4, v4
	s_cbranch_vccnz .LBB253_20
; %bb.19:                               ;   in Loop: Header=BB253_18 Depth=1
	v_mov_b64_e32 v[22:23], s[36:37]
	v_mad_i64_i32 v[24:25], s[34:35], v19, s28, v[22:23]
	v_mov_b32_e32 v19, v9
	v_lshl_add_u64 v[56:57], v[24:25], 0, v[8:9]
	v_lshl_add_u64 v[22:23], v[24:25], 0, v[18:19]
	global_load_dword v19, v[22:23], off offset:74
	v_lshl_add_u64 v[58:59], v[24:25], 0, v[10:11]
	global_load_dwordx2 v[22:23], v[56:57], off offset:2
	global_load_ubyte v54, v[58:59], off offset:66
	v_lshl_add_u64 v[56:57], v[24:25], 0, v[12:13]
	global_load_ubyte v58, v[56:57], off offset:106
	global_load_ushort v55, v[24:25], off
	v_mov_b32_e32 v53, v9
	s_waitcnt vmcnt(4)
	v_bfe_u32 v64, v19, 3, 1
	s_waitcnt vmcnt(3)
	v_and_b32_e32 v56, 0xff, v22
	s_waitcnt vmcnt(2)
	v_lshlrev_b32_e32 v57, 8, v54
	v_lshrrev_b16_e32 v59, 8, v22
	v_lshlrev_b32_e32 v60, 7, v54
	v_bfe_u32 v69, v22, 16, 8
	v_lshlrev_b32_e32 v70, 6, v54
	v_lshrrev_b32_e32 v22, 24, v22
	v_lshlrev_b32_e32 v71, 5, v54
	v_and_or_b32 v56, v57, s29, v56
	v_and_or_b32 v57, v60, s29, v59
	;; [unrolled: 1-line block ×4, first 2 shown]
	v_lshlrev_b32_e32 v56, 2, v56
	v_lshlrev_b32_e32 v57, 2, v57
	;; [unrolled: 1-line block ×4, first 2 shown]
	global_load_dword v60, v56, s[24:25]
	global_load_dword v69, v57, s[24:25]
	;; [unrolled: 1-line block ×4, first 2 shown]
	v_and_b32_e32 v22, 0xff, v23
	v_lshlrev_b32_e32 v56, 4, v54
	v_lshrrev_b16_e32 v57, 8, v23
	v_lshlrev_b32_e32 v59, 3, v54
	v_bfe_u32 v74, v23, 16, 8
	v_lshlrev_b32_e32 v75, 2, v54
	v_lshrrev_b32_e32 v23, 24, v23
	v_lshlrev_b32_e32 v54, 1, v54
	v_and_or_b32 v22, v56, s29, v22
	v_and_or_b32 v56, v59, s29, v57
	;; [unrolled: 1-line block ×4, first 2 shown]
	v_lshlrev_b32_e32 v22, 2, v22
	v_lshlrev_b32_e32 v56, 2, v56
	;; [unrolled: 1-line block ×4, first 2 shown]
	global_load_dword v84, v22, s[24:25]
	global_load_dword v85, v56, s[24:25]
	global_load_dword v86, v57, s[24:25]
	global_load_dword v87, v23, s[24:25]
	v_bfe_u32 v68, v19, 7, 1
	v_lshrrev_b16_e32 v72, 8, v19
	v_cmp_ne_u16_e32 vcc, 0, v64
	v_lshlrev_b32_sdwa v61, v38, v19 dst_sel:DWORD dst_unused:UNUSED_PAD src0_sel:DWORD src1_sel:BYTE_0
	v_bfe_u32 v63, v19, 1, 7
	v_cndmask_b32_e64 v64, 0, -1, vcc
	v_cmp_ne_u16_e32 vcc, 0, v68
	v_bfe_u32 v79, v72, 3, 1
	v_and_b32_e32 v62, 1, v19
	v_lshlrev_b32_sdwa v65, v39, v19 dst_sel:DWORD dst_unused:UNUSED_PAD src0_sel:DWORD src1_sel:BYTE_0
	v_bfe_u32 v67, v19, 5, 3
	v_bfe_i32 v63, v63, 0, 1
	v_lshrrev_b16_e32 v61, 7, v61
	v_cndmask_b32_e64 v68, 0, -1, vcc
	v_lshlrev_b32_e32 v77, 5, v72
	v_lshrrev_b32_e32 v78, 1, v72
	v_lshlrev_b32_e32 v80, 1, v72
	v_bfe_i32 v81, v72, 4, 1
	v_lshrrev_b32_e32 v82, 5, v72
	v_lshrrev_b32_e32 v72, 7, v72
	v_cmp_ne_u16_e32 vcc, 0, v79
	v_sub_u16_e32 v62, 0, v62
	v_bfe_i32 v67, v67, 0, 1
	v_lshrrev_b16_e32 v65, 7, v65
	v_bfe_i32 v54, v61, 0, 1
	v_lshlrev_b16_e32 v59, 8, v63
	v_lshlrev_b16_e32 v61, 8, v64
	v_cndmask_b32_e64 v75, 0, -1, vcc
	v_cmp_ne_u16_e32 vcc, 0, v72
	v_bfe_i32 v66, v19, 4, 1
	v_lshlrev_b16_e32 v73, 7, v19
	v_bfe_i32 v63, v65, 0, 1
	v_lshlrev_b16_e32 v64, 8, v67
	v_lshlrev_b16_e32 v65, 8, v68
	;; [unrolled: 1-line block ×3, first 2 shown]
	v_bfe_i32 v68, v78, 0, 1
	v_lshrrev_b16_e32 v74, 7, v77
	v_bfe_i32 v77, v82, 0, 1
	v_lshrrev_b16_e32 v78, 7, v80
	v_cndmask_b32_e64 v72, 0, -1, vcc
	v_or_b32_sdwa v62, v62, v59 dst_sel:DWORD dst_unused:UNUSED_PAD src0_sel:BYTE_0 src1_sel:DWORD
	v_or_b32_sdwa v82, v54, v61 dst_sel:WORD_1 dst_unused:UNUSED_PAD src0_sel:BYTE_0 src1_sel:DWORD
	v_lshlrev_b16_e32 v76, 8, v66
	v_ashrrev_i16_e32 v73, 15, v73
	v_or_b32_sdwa v66, v66, v64 dst_sel:DWORD dst_unused:UNUSED_PAD src0_sel:BYTE_0 src1_sel:DWORD
	v_or_b32_sdwa v83, v63, v65 dst_sel:WORD_1 dst_unused:UNUSED_PAD src0_sel:BYTE_0 src1_sel:DWORD
	v_bfe_i32 v74, v74, 0, 1
	v_lshlrev_b16_e32 v68, 8, v68
	v_lshlrev_b16_e32 v75, 8, v75
	v_bfe_i32 v78, v78, 0, 1
	v_lshlrev_b16_e32 v77, 8, v77
	v_lshlrev_b16_e32 v72, 8, v72
	v_or_b32_sdwa v22, v62, v82 dst_sel:DWORD dst_unused:UNUSED_PAD src0_sel:WORD_0 src1_sel:DWORD
	v_or_b32_sdwa v23, v66, v83 dst_sel:DWORD dst_unused:UNUSED_PAD src0_sel:WORD_0 src1_sel:DWORD
	v_or_b32_sdwa v56, v73, v68 dst_sel:DWORD dst_unused:UNUSED_PAD src0_sel:BYTE_0 src1_sel:DWORD
	v_or_b32_sdwa v57, v74, v75 dst_sel:WORD_1 dst_unused:UNUSED_PAD src0_sel:BYTE_0 src1_sel:DWORD
	v_or_b32_sdwa v62, v81, v77 dst_sel:DWORD dst_unused:UNUSED_PAD src0_sel:BYTE_0 src1_sel:DWORD
	v_or_b32_sdwa v66, v78, v72 dst_sel:WORD_1 dst_unused:UNUSED_PAD src0_sel:BYTE_0 src1_sel:DWORD
	v_or_b32_sdwa v56, v56, v57 dst_sel:DWORD dst_unused:UNUSED_PAD src0_sel:WORD_0 src1_sel:DWORD
	s_waitcnt vmcnt(7)
	v_xor_b32_e32 v22, v60, v22
	v_or_b32_sdwa v57, v62, v66 dst_sel:DWORD dst_unused:UNUSED_PAD src0_sel:WORD_0 src1_sel:DWORD
	s_waitcnt vmcnt(6)
	v_xor_b32_e32 v23, v69, v23
	v_and_b32_e32 v60, 0xffffff00, v22
	v_and_b32_sdwa v66, v22, s31 dst_sel:DWORD dst_unused:UNUSED_PAD src0_sel:WORD_1 src1_sel:DWORD
	v_lshlrev_b16_e32 v54, 8, v54
	s_waitcnt vmcnt(5)
	v_xor_b32_e32 v56, v70, v56
	s_waitcnt vmcnt(4)
	v_xor_b32_e32 v57, v71, v57
	v_lshlrev_b16_e32 v62, 8, v22
	v_lshlrev_b16_sdwa v22, v40, v22 dst_sel:DWORD dst_unused:UNUSED_PAD src0_sel:DWORD src1_sel:WORD_1
	v_and_b32_e32 v69, 0xffffff00, v23
	v_and_b32_sdwa v71, v23, s31 dst_sel:DWORD dst_unused:UNUSED_PAD src0_sel:WORD_1 src1_sel:DWORD
	v_sub_i16 v59, v60, v59 clamp
	v_sub_i16 v61, v66, v61 clamp
	v_lshlrev_b16_e32 v79, 8, v73
	v_lshlrev_b16_e32 v63, 8, v63
	;; [unrolled: 1-line block ×4, first 2 shown]
	v_lshlrev_b16_sdwa v23, v40, v23 dst_sel:DWORD dst_unused:UNUSED_PAD src0_sel:DWORD src1_sel:WORD_1
	v_and_b32_e32 v74, 0xffffff00, v56
	v_and_b32_sdwa v82, v56, s31 dst_sel:DWORD dst_unused:UNUSED_PAD src0_sel:WORD_1 src1_sel:DWORD
	v_sub_i16 v60, v62, v67 clamp
	v_sub_i16 v22, v22, v54 clamp
	;; [unrolled: 1-line block ×4, first 2 shown]
	v_and_b32_e32 v59, 0xffffff00, v59
	v_and_b32_e32 v61, 0xffffff00, v61
	v_lshlrev_b16_e32 v80, 8, v81
	v_lshlrev_b16_e32 v81, 8, v56
	v_lshlrev_b16_sdwa v56, v40, v56 dst_sel:DWORD dst_unused:UNUSED_PAD src0_sel:DWORD src1_sel:WORD_1
	v_sub_i16 v62, v70, v76 clamp
	v_sub_i16 v23, v23, v63 clamp
	v_sub_i16 v63, v74, v68 clamp
	v_sub_i16 v66, v82, v75 clamp
	v_and_b32_e32 v54, 0xffffff00, v54
	v_and_b32_e32 v64, 0xffffff00, v64
	v_or_b32_sdwa v59, v60, v59 dst_sel:DWORD dst_unused:UNUSED_PAD src0_sel:BYTE_1 src1_sel:DWORD
	v_or_b32_sdwa v22, v22, v61 dst_sel:WORD_1 dst_unused:UNUSED_PAD src0_sel:BYTE_1 src1_sel:DWORD
	v_sub_i16 v65, v81, v79 clamp
	v_sub_i16 v56, v56, v73 clamp
	v_and_b32_e32 v63, 0xffffff00, v63
	v_and_b32_e32 v66, 0xffffff00, v66
	v_or_b32_sdwa v54, v62, v54 dst_sel:DWORD dst_unused:UNUSED_PAD src0_sel:BYTE_1 src1_sel:DWORD
	v_or_b32_sdwa v23, v23, v64 dst_sel:WORD_1 dst_unused:UNUSED_PAD src0_sel:BYTE_1 src1_sel:DWORD
	v_or_b32_sdwa v22, v59, v22 dst_sel:DWORD dst_unused:UNUSED_PAD src0_sel:WORD_0 src1_sel:DWORD
	v_and_b32_e32 v83, 0xffffff00, v57
	v_and_b32_sdwa v89, v57, s31 dst_sel:DWORD dst_unused:UNUSED_PAD src0_sel:WORD_1 src1_sel:DWORD
	v_or_b32_sdwa v60, v65, v63 dst_sel:DWORD dst_unused:UNUSED_PAD src0_sel:BYTE_1 src1_sel:DWORD
	v_or_b32_sdwa v56, v56, v66 dst_sel:WORD_1 dst_unused:UNUSED_PAD src0_sel:BYTE_1 src1_sel:DWORD
	v_or_b32_sdwa v23, v54, v23 dst_sel:DWORD dst_unused:UNUSED_PAD src0_sel:WORD_0 src1_sel:DWORD
	v_dot4c_i32_i8_e32 v53, v22, v5
	v_lshlrev_b16_e32 v88, 8, v57
	v_sub_i16 v67, v83, v77 clamp
	v_or_b32_sdwa v54, v60, v56 dst_sel:DWORD dst_unused:UNUSED_PAD src0_sel:WORD_0 src1_sel:DWORD
	v_dot4c_i32_i8_e32 v53, v23, v6
	v_sub_i16 v22, v89, v72 clamp
	v_lshlrev_b16_sdwa v23, v40, v57 dst_sel:DWORD dst_unused:UNUSED_PAD src0_sel:DWORD src1_sel:WORD_1
	v_lshlrev_b16_e32 v56, 8, v78
	v_sub_i16 v68, v88, v80 clamp
	v_and_b32_e32 v67, 0xffffff00, v67
	v_and_b32_e32 v22, 0xffffff00, v22
	v_sub_i16 v23, v23, v56 clamp
	v_or_b32_sdwa v61, v68, v67 dst_sel:DWORD dst_unused:UNUSED_PAD src0_sel:BYTE_1 src1_sel:DWORD
	v_or_b32_sdwa v22, v23, v22 dst_sel:WORD_1 dst_unused:UNUSED_PAD src0_sel:BYTE_1 src1_sel:DWORD
	v_lshrrev_b32_e32 v24, 16, v19
	v_or_b32_sdwa v22, v61, v22 dst_sel:DWORD dst_unused:UNUSED_PAD src0_sel:WORD_0 src1_sel:DWORD
	v_dot4c_i32_i8_e32 v53, v54, v7
	v_bfe_u32 v56, v19, 19, 1
	v_dot4c_i32_i8_e32 v53, v22, v0
	v_lshlrev_b32_sdwa v22, v38, v19 dst_sel:DWORD dst_unused:UNUSED_PAD src0_sel:DWORD src1_sel:BYTE_2
	v_bfe_u32 v54, v24, 1, 7
	v_cmp_ne_u16_e32 vcc, 0, v56
	v_and_b32_e32 v23, 1, v24
	v_bfe_i32 v54, v54, 0, 1
	v_lshrrev_b16_e32 v22, 7, v22
	v_cndmask_b32_e64 v56, 0, -1, vcc
	v_sub_u16_e32 v23, 0, v23
	v_bfe_i32 v22, v22, 0, 1
	v_lshlrev_b16_e32 v54, 8, v54
	v_lshlrev_b16_e32 v56, 8, v56
	v_or_b32_sdwa v57, v23, v54 dst_sel:DWORD dst_unused:UNUSED_PAD src0_sel:BYTE_0 src1_sel:DWORD
	v_or_b32_sdwa v59, v22, v56 dst_sel:WORD_1 dst_unused:UNUSED_PAD src0_sel:BYTE_0 src1_sel:DWORD
	v_bfe_u32 v62, v24, 7, 1
	v_or_b32_sdwa v57, v57, v59 dst_sel:DWORD dst_unused:UNUSED_PAD src0_sel:WORD_0 src1_sel:DWORD
	v_lshlrev_b32_sdwa v59, v39, v19 dst_sel:DWORD dst_unused:UNUSED_PAD src0_sel:DWORD src1_sel:BYTE_2
	v_bfe_u32 v61, v24, 5, 3
	v_cmp_ne_u16_e32 vcc, 0, v62
	v_bfe_i32 v61, v61, 0, 1
	v_lshrrev_b16_e32 v59, 7, v59
	v_cndmask_b32_e64 v62, 0, -1, vcc
	v_bfe_i32 v60, v19, 20, 1
	v_bfe_i32 v59, v59, 0, 1
	v_lshlrev_b16_e32 v61, 8, v61
	v_lshlrev_b16_e32 v62, 8, v62
	v_or_b32_sdwa v63, v60, v61 dst_sel:DWORD dst_unused:UNUSED_PAD src0_sel:BYTE_0 src1_sel:DWORD
	v_or_b32_sdwa v64, v59, v62 dst_sel:WORD_1 dst_unused:UNUSED_PAD src0_sel:BYTE_0 src1_sel:DWORD
	s_waitcnt vmcnt(3)
	v_xor_b32_e32 v57, v84, v57
	v_or_b32_sdwa v63, v63, v64 dst_sel:DWORD dst_unused:UNUSED_PAD src0_sel:WORD_0 src1_sel:DWORD
	v_and_b32_e32 v64, 0xffffff00, v57
	v_sub_i16 v54, v64, v54 clamp
	v_lshlrev_b16_e32 v64, 8, v57
	v_lshlrev_b16_e32 v23, 8, v23
	v_and_b32_e32 v54, 0xffffff00, v54
	v_sub_i16 v23, v64, v23 clamp
	v_or_b32_sdwa v23, v23, v54 dst_sel:DWORD dst_unused:UNUSED_PAD src0_sel:BYTE_1 src1_sel:DWORD
	v_and_b32_sdwa v54, v57, s31 dst_sel:DWORD dst_unused:UNUSED_PAD src0_sel:WORD_1 src1_sel:DWORD
	v_sub_i16 v54, v54, v56 clamp
	v_lshlrev_b16_sdwa v56, v40, v57 dst_sel:DWORD dst_unused:UNUSED_PAD src0_sel:DWORD src1_sel:WORD_1
	v_lshlrev_b16_e32 v22, 8, v22
	v_and_b32_e32 v54, 0xffffff00, v54
	v_sub_i16 v22, v56, v22 clamp
	v_or_b32_sdwa v22, v22, v54 dst_sel:WORD_1 dst_unused:UNUSED_PAD src0_sel:BYTE_1 src1_sel:DWORD
	v_lshlrev_b16_e32 v57, 8, v60
	v_or_b32_sdwa v22, v23, v22 dst_sel:DWORD dst_unused:UNUSED_PAD src0_sel:WORD_0 src1_sel:DWORD
	s_waitcnt vmcnt(2)
	v_xor_b32_e32 v23, v85, v63
	v_and_b32_e32 v54, 0xffffff00, v23
	v_sub_i16 v54, v54, v61 clamp
	v_lshlrev_b16_e32 v56, 8, v23
	v_and_b32_e32 v54, 0xffffff00, v54
	v_sub_i16 v56, v56, v57 clamp
	v_or_b32_sdwa v54, v56, v54 dst_sel:DWORD dst_unused:UNUSED_PAD src0_sel:BYTE_1 src1_sel:DWORD
	v_and_b32_sdwa v56, v23, s31 dst_sel:DWORD dst_unused:UNUSED_PAD src0_sel:WORD_1 src1_sel:DWORD
	v_sub_i16 v56, v56, v62 clamp
	v_lshlrev_b16_sdwa v23, v40, v23 dst_sel:DWORD dst_unused:UNUSED_PAD src0_sel:DWORD src1_sel:WORD_1
	v_lshlrev_b16_e32 v57, 8, v59
	v_and_b32_e32 v56, 0xffffff00, v56
	v_sub_i16 v23, v23, v57 clamp
	v_or_b32_sdwa v23, v23, v56 dst_sel:WORD_1 dst_unused:UNUSED_PAD src0_sel:BYTE_1 src1_sel:DWORD
	v_lshrrev_b32_e32 v25, 24, v19
	v_or_b32_sdwa v23, v54, v23 dst_sel:DWORD dst_unused:UNUSED_PAD src0_sel:WORD_0 src1_sel:DWORD
	v_dot4c_i32_i8_e32 v53, v22, v1
	v_bfe_u32 v54, v19, 27, 1
	v_dot4c_i32_i8_e32 v53, v23, v2
	v_lshlrev_b32_e32 v22, 5, v25
	v_lshlrev_b16_e32 v23, 7, v24
	v_lshrrev_b32_e32 v24, 25, v19
	v_cmp_ne_u16_e32 vcc, 0, v54
	v_bfe_i32 v24, v24, 0, 1
	v_lshrrev_b16_e32 v22, 7, v22
	v_cndmask_b32_e64 v54, 0, -1, vcc
	v_ashrrev_i16_e32 v23, 15, v23
	v_bfe_i32 v22, v22, 0, 1
	v_lshlrev_b16_e32 v24, 8, v24
	v_lshlrev_b16_e32 v54, 8, v54
	v_or_b32_sdwa v56, v23, v24 dst_sel:DWORD dst_unused:UNUSED_PAD src0_sel:BYTE_0 src1_sel:DWORD
	v_or_b32_sdwa v57, v22, v54 dst_sel:WORD_1 dst_unused:UNUSED_PAD src0_sel:BYTE_0 src1_sel:DWORD
	v_lshrrev_b32_e32 v59, 29, v19
	v_lshrrev_b32_e32 v19, 31, v19
	v_or_b32_sdwa v56, v56, v57 dst_sel:DWORD dst_unused:UNUSED_PAD src0_sel:WORD_0 src1_sel:DWORD
	v_lshlrev_b32_e32 v57, 1, v25
	v_cmp_ne_u16_e32 vcc, 0, v19
	v_bfe_i32 v59, v59, 0, 1
	v_lshrrev_b16_e32 v57, 7, v57
	v_cndmask_b32_e64 v19, 0, -1, vcc
	v_bfe_i32 v25, v25, 4, 1
	v_bfe_i32 v57, v57, 0, 1
	v_lshlrev_b16_e32 v59, 8, v59
	v_lshlrev_b16_e32 v19, 8, v19
	v_or_b32_sdwa v60, v25, v59 dst_sel:DWORD dst_unused:UNUSED_PAD src0_sel:BYTE_0 src1_sel:DWORD
	v_or_b32_sdwa v61, v57, v19 dst_sel:WORD_1 dst_unused:UNUSED_PAD src0_sel:BYTE_0 src1_sel:DWORD
	s_waitcnt vmcnt(1)
	v_xor_b32_e32 v56, v86, v56
	v_or_b32_sdwa v60, v60, v61 dst_sel:DWORD dst_unused:UNUSED_PAD src0_sel:WORD_0 src1_sel:DWORD
	v_and_b32_e32 v61, 0xffffff00, v56
	v_sub_i16 v24, v61, v24 clamp
	v_lshlrev_b16_e32 v61, 8, v56
	v_lshlrev_b16_e32 v23, 8, v23
	v_and_b32_e32 v24, 0xffffff00, v24
	v_sub_i16 v23, v61, v23 clamp
	v_or_b32_sdwa v23, v23, v24 dst_sel:DWORD dst_unused:UNUSED_PAD src0_sel:BYTE_1 src1_sel:DWORD
	v_and_b32_sdwa v24, v56, s31 dst_sel:DWORD dst_unused:UNUSED_PAD src0_sel:WORD_1 src1_sel:DWORD
	v_sub_i16 v24, v24, v54 clamp
	v_lshlrev_b16_sdwa v54, v40, v56 dst_sel:DWORD dst_unused:UNUSED_PAD src0_sel:DWORD src1_sel:WORD_1
	v_lshlrev_b16_e32 v22, 8, v22
	v_and_b32_e32 v24, 0xffffff00, v24
	v_sub_i16 v22, v54, v22 clamp
	v_or_b32_sdwa v22, v22, v24 dst_sel:WORD_1 dst_unused:UNUSED_PAD src0_sel:BYTE_1 src1_sel:DWORD
	v_lshlrev_b16_e32 v25, 8, v25
	v_or_b32_sdwa v22, v23, v22 dst_sel:DWORD dst_unused:UNUSED_PAD src0_sel:WORD_0 src1_sel:DWORD
	s_waitcnt vmcnt(0)
	v_xor_b32_e32 v23, v87, v60
	v_and_b32_e32 v24, 0xffffff00, v23
	v_sub_i16 v24, v24, v59 clamp
	v_lshlrev_b16_e32 v54, 8, v23
	v_and_b32_e32 v24, 0xffffff00, v24
	v_sub_i16 v25, v54, v25 clamp
	v_or_b32_sdwa v24, v25, v24 dst_sel:DWORD dst_unused:UNUSED_PAD src0_sel:BYTE_1 src1_sel:DWORD
	v_and_b32_sdwa v25, v23, s31 dst_sel:DWORD dst_unused:UNUSED_PAD src0_sel:WORD_1 src1_sel:DWORD
	v_sub_i16 v19, v25, v19 clamp
	v_lshlrev_b16_sdwa v23, v40, v23 dst_sel:DWORD dst_unused:UNUSED_PAD src0_sel:DWORD src1_sel:WORD_1
	v_lshlrev_b16_e32 v25, 8, v57
	v_and_b32_e32 v19, 0xffffff00, v19
	v_sub_i16 v23, v23, v25 clamp
	v_or_b32_sdwa v19, v23, v19 dst_sel:WORD_1 dst_unused:UNUSED_PAD src0_sel:BYTE_1 src1_sel:DWORD
	v_dot4c_i32_i8_e32 v53, v22, v3
	v_or_b32_sdwa v19, v24, v19 dst_sel:DWORD dst_unused:UNUSED_PAD src0_sel:WORD_0 src1_sel:DWORD
	v_dot4c_i32_i8_e32 v53, v19, v41
	v_lshrrev_b32_e32 v19, v37, v58
	v_lshlrev_b32_e32 v19, 1, v19
	v_and_or_b32 v19, v19, 30, 1
	v_mul_lo_u32 v19, v53, v19
	v_cvt_f32_f16_e32 v22, v55
	v_cvt_f32_i32_e32 v19, v19
	v_mul_f32_e32 v22, v4, v22
	v_fmac_f32_e32 v35, v22, v19
.LBB253_20:                             ;   in Loop: Header=BB253_18 Depth=1
	v_add_u32_e32 v22, s27, v32
	v_mov_b64_e32 v[24:25], s[16:17]
	v_mad_i64_i32 v[24:25], s[34:35], v22, s28, v[24:25]
	v_lshl_add_u64 v[54:55], v[24:25], 0, v[8:9]
	v_lshl_add_u64 v[56:57], v[24:25], 0, v[10:11]
	global_load_dwordx2 v[58:59], v[54:55], off offset:2
	global_load_ubyte v23, v[56:57], off offset:66
	v_mov_b32_e32 v19, v9
	v_lshl_add_u64 v[56:57], v[24:25], 0, v[18:19]
	v_lshl_add_u64 v[60:61], v[24:25], 0, v[12:13]
	global_load_dword v55, v[56:57], off offset:74
	global_load_ubyte v54, v[60:61], off offset:106
	global_load_ushort v53, v[24:25], off
	s_and_b64 vcc, exec, s[10:11]
	s_waitcnt vmcnt(4)
	v_and_b32_e32 v24, 0xff, v58
	s_waitcnt vmcnt(3)
	v_lshlrev_b32_e32 v25, 8, v23
	v_lshrrev_b16_e32 v56, 8, v58
	v_lshlrev_b32_e32 v57, 7, v23
	v_bfe_u32 v60, v58, 16, 8
	v_lshlrev_b32_e32 v61, 6, v23
	v_lshrrev_b32_e32 v58, 24, v58
	v_lshlrev_b32_e32 v62, 5, v23
	v_and_b32_e32 v63, 0xff, v59
	v_lshlrev_b32_e32 v64, 4, v23
	v_lshrrev_b16_e32 v65, 8, v59
	v_lshlrev_b32_e32 v66, 3, v23
	v_bfe_u32 v67, v59, 16, 8
	v_lshlrev_b32_e32 v68, 2, v23
	v_lshrrev_b32_e32 v59, 24, v59
	v_lshlrev_b32_e32 v23, 1, v23
	v_and_or_b32 v24, v25, s29, v24
	v_and_or_b32 v25, v57, s29, v56
	v_and_or_b32 v56, v61, s29, v60
	v_and_or_b32 v57, v62, s29, v58
	v_and_or_b32 v58, v64, s29, v63
	v_and_or_b32 v60, v66, s29, v65
	v_and_or_b32 v61, v68, s29, v67
	v_and_or_b32 v23, v23, s29, v59
	v_lshlrev_b32_e32 v24, 2, v24
	v_lshlrev_b32_e32 v25, 2, v25
	;; [unrolled: 1-line block ×8, first 2 shown]
	global_load_dword v63, v24, s[24:25]
	global_load_dword v62, v25, s[24:25]
	global_load_dword v61, v64, s[24:25]
	global_load_dword v60, v65, s[24:25]
	global_load_dword v59, v66, s[24:25]
	global_load_dword v58, v67, s[24:25]
	global_load_dword v57, v68, s[24:25]
	global_load_dword v56, v23, s[24:25]
	s_cbranch_vccnz .LBB253_17
; %bb.21:                               ;   in Loop: Header=BB253_18 Depth=1
	v_mov_b64_e32 v[24:25], s[36:37]
	v_mad_i64_i32 v[22:23], s[24:25], v22, s28, v[24:25]
	v_lshl_add_u64 v[24:25], v[22:23], 0, v[8:9]
	v_lshl_add_u64 v[64:65], v[22:23], 0, v[10:11]
	global_load_dwordx2 v[24:25], v[24:25], off offset:2
	s_getpc_b64 s[24:25]
	s_add_u32 s24, s24, _ZL9iq3s_grid@rel32@lo+4
	s_addc_u32 s25, s25, _ZL9iq3s_grid@rel32@hi+12
	global_load_ubyte v66, v[64:65], off offset:66
	v_lshl_add_u64 v[64:65], v[22:23], 0, v[18:19]
	global_load_dword v64, v[64:65], off offset:74
	s_waitcnt vmcnt(2)
	v_and_b32_e32 v19, 0xff, v24
	s_waitcnt vmcnt(1)
	v_lshlrev_b32_e32 v68, 8, v66
	v_and_or_b32 v19, v68, s29, v19
	v_lshlrev_b32_e32 v19, 2, v19
	global_load_dword v19, v19, s[24:25]
	v_lshrrev_b16_e32 v68, 8, v24
	v_lshlrev_b32_e32 v69, 7, v66
	v_and_or_b32 v68, v69, s29, v68
	v_lshlrev_b32_e32 v68, 2, v68
	global_load_dword v68, v68, s[24:25]
	s_waitcnt vmcnt(2)
	v_bfe_u32 v72, v64, 3, 1
	v_lshlrev_b32_sdwa v69, v38, v64 dst_sel:DWORD dst_unused:UNUSED_PAD src0_sel:DWORD src1_sel:BYTE_0
	v_bfe_u32 v71, v64, 1, 7
	v_cmp_ne_u16_e32 vcc, 0, v72
	v_and_b32_e32 v70, 1, v64
	v_bfe_i32 v71, v71, 0, 1
	v_lshrrev_b16_e32 v69, 7, v69
	v_cndmask_b32_e64 v72, 0, -1, vcc
	v_sub_u16_e32 v70, 0, v70
	v_bfe_i32 v69, v69, 0, 1
	v_lshlrev_b16_e32 v71, 8, v71
	v_lshlrev_b16_e32 v72, 8, v72
	v_or_b32_sdwa v73, v70, v71 dst_sel:DWORD dst_unused:UNUSED_PAD src0_sel:BYTE_0 src1_sel:DWORD
	v_or_b32_sdwa v74, v69, v72 dst_sel:WORD_1 dst_unused:UNUSED_PAD src0_sel:BYTE_0 src1_sel:DWORD
	v_bfe_u32 v77, v64, 7, 1
	v_or_b32_sdwa v73, v73, v74 dst_sel:DWORD dst_unused:UNUSED_PAD src0_sel:WORD_0 src1_sel:DWORD
	v_lshlrev_b16_e32 v70, 8, v70
	v_lshlrev_b32_sdwa v74, v39, v64 dst_sel:DWORD dst_unused:UNUSED_PAD src0_sel:DWORD src1_sel:BYTE_0
	v_bfe_u32 v76, v64, 5, 3
	v_cmp_ne_u16_e32 vcc, 0, v77
	v_bfe_i32 v76, v76, 0, 1
	v_lshrrev_b16_e32 v74, 7, v74
	v_cndmask_b32_e64 v77, 0, -1, vcc
	v_bfe_i32 v75, v64, 4, 1
	v_bfe_i32 v74, v74, 0, 1
	v_lshlrev_b16_e32 v76, 8, v76
	v_lshlrev_b16_e32 v77, 8, v77
	;; [unrolled: 1-line block ×3, first 2 shown]
	v_or_b32_sdwa v78, v75, v76 dst_sel:DWORD dst_unused:UNUSED_PAD src0_sel:BYTE_0 src1_sel:DWORD
	v_or_b32_sdwa v79, v74, v77 dst_sel:WORD_1 dst_unused:UNUSED_PAD src0_sel:BYTE_0 src1_sel:DWORD
	v_lshrrev_b32_e32 v67, 16, v64
	v_or_b32_sdwa v78, v78, v79 dst_sel:DWORD dst_unused:UNUSED_PAD src0_sel:WORD_0 src1_sel:DWORD
	v_lshrrev_b32_e32 v65, 24, v64
	s_waitcnt vmcnt(1)
	v_xor_b32_e32 v19, v19, v73
	v_and_b32_e32 v73, 0xffffff00, v19
	v_sub_i16 v71, v73, v71 clamp
	v_lshlrev_b16_e32 v73, 8, v19
	v_and_b32_e32 v71, 0xffffff00, v71
	v_sub_i16 v70, v73, v70 clamp
	v_or_b32_sdwa v70, v70, v71 dst_sel:DWORD dst_unused:UNUSED_PAD src0_sel:BYTE_1 src1_sel:DWORD
	v_and_b32_sdwa v71, v19, s31 dst_sel:DWORD dst_unused:UNUSED_PAD src0_sel:WORD_1 src1_sel:DWORD
	v_sub_i16 v71, v71, v72 clamp
	v_lshlrev_b16_sdwa v19, v40, v19 dst_sel:DWORD dst_unused:UNUSED_PAD src0_sel:DWORD src1_sel:WORD_1
	v_and_b32_e32 v71, 0xffffff00, v71
	v_sub_i16 v19, v19, v69 clamp
	v_or_b32_sdwa v19, v19, v71 dst_sel:WORD_1 dst_unused:UNUSED_PAD src0_sel:BYTE_1 src1_sel:DWORD
	v_lshlrev_b16_e32 v71, 8, v75
	v_or_b32_sdwa v69, v70, v19 dst_sel:DWORD dst_unused:UNUSED_PAD src0_sel:WORD_0 src1_sel:DWORD
	s_waitcnt vmcnt(0)
	v_xor_b32_e32 v19, v68, v78
	v_and_b32_e32 v68, 0xffffff00, v19
	v_sub_i16 v68, v68, v76 clamp
	v_lshlrev_b16_e32 v70, 8, v19
	v_and_b32_e32 v68, 0xffffff00, v68
	v_sub_i16 v70, v70, v71 clamp
	v_or_b32_sdwa v68, v70, v68 dst_sel:DWORD dst_unused:UNUSED_PAD src0_sel:BYTE_1 src1_sel:DWORD
	v_and_b32_sdwa v70, v19, s31 dst_sel:DWORD dst_unused:UNUSED_PAD src0_sel:WORD_1 src1_sel:DWORD
	v_sub_i16 v70, v70, v77 clamp
	v_lshlrev_b16_sdwa v19, v40, v19 dst_sel:DWORD dst_unused:UNUSED_PAD src0_sel:DWORD src1_sel:WORD_1
	v_lshlrev_b16_e32 v71, 8, v74
	v_and_b32_e32 v70, 0xffffff00, v70
	v_sub_i16 v19, v19, v71 clamp
	v_or_b32_sdwa v19, v19, v70 dst_sel:WORD_1 dst_unused:UNUSED_PAD src0_sel:BYTE_1 src1_sel:DWORD
	v_lshlrev_b16_e32 v71, 7, v64
	v_or_b32_sdwa v68, v68, v19 dst_sel:DWORD dst_unused:UNUSED_PAD src0_sel:WORD_0 src1_sel:DWORD
	v_mov_b32_e32 v19, v9
	v_dot4c_i32_i8_e32 v19, v69, v5
	v_dot4c_i32_i8_e32 v19, v68, v6
	v_bfe_u32 v68, v24, 16, 8
	v_lshlrev_b32_e32 v69, 6, v66
	v_and_or_b32 v68, v69, s29, v68
	v_lshlrev_b32_e32 v68, 2, v68
	global_load_dword v68, v68, s[24:25]
	v_lshrrev_b32_e32 v24, 24, v24
	v_lshlrev_b32_e32 v69, 5, v66
	v_and_or_b32 v24, v69, s29, v24
	v_lshlrev_b32_e32 v24, 2, v24
	global_load_dword v24, v24, s[24:25]
	v_lshrrev_b16_e32 v69, 8, v64
	v_bfe_u32 v73, v69, 3, 1
	v_lshlrev_b32_e32 v70, 5, v69
	v_lshrrev_b32_e32 v72, 1, v69
	v_cmp_ne_u16_e32 vcc, 0, v73
	v_bfe_i32 v72, v72, 0, 1
	v_lshrrev_b16_e32 v70, 7, v70
	v_cndmask_b32_e64 v73, 0, -1, vcc
	v_ashrrev_i16_e32 v71, 15, v71
	v_bfe_i32 v70, v70, 0, 1
	v_lshlrev_b16_e32 v72, 8, v72
	v_lshlrev_b16_e32 v73, 8, v73
	v_or_b32_sdwa v74, v71, v72 dst_sel:DWORD dst_unused:UNUSED_PAD src0_sel:BYTE_0 src1_sel:DWORD
	v_or_b32_sdwa v75, v70, v73 dst_sel:WORD_1 dst_unused:UNUSED_PAD src0_sel:BYTE_0 src1_sel:DWORD
	v_bfe_i32 v76, v69, 4, 1
	v_or_b32_sdwa v74, v74, v75 dst_sel:DWORD dst_unused:UNUSED_PAD src0_sel:WORD_0 src1_sel:DWORD
	v_lshlrev_b32_e32 v75, 1, v69
	v_lshrrev_b32_e32 v77, 5, v69
	v_lshrrev_b32_e32 v69, 7, v69
	v_cmp_ne_u16_e32 vcc, 0, v69
	v_bfe_i32 v77, v77, 0, 1
	v_lshrrev_b16_e32 v75, 7, v75
	v_cndmask_b32_e64 v69, 0, -1, vcc
	v_lshlrev_b16_e32 v71, 8, v71
	v_bfe_i32 v75, v75, 0, 1
	v_lshlrev_b16_e32 v77, 8, v77
	v_lshlrev_b16_e32 v69, 8, v69
	v_or_b32_sdwa v78, v76, v77 dst_sel:DWORD dst_unused:UNUSED_PAD src0_sel:BYTE_0 src1_sel:DWORD
	v_or_b32_sdwa v79, v75, v69 dst_sel:WORD_1 dst_unused:UNUSED_PAD src0_sel:BYTE_0 src1_sel:DWORD
	v_lshlrev_b16_e32 v70, 8, v70
	v_or_b32_sdwa v78, v78, v79 dst_sel:DWORD dst_unused:UNUSED_PAD src0_sel:WORD_0 src1_sel:DWORD
	s_waitcnt vmcnt(1)
	v_xor_b32_e32 v68, v68, v74
	v_and_b32_e32 v74, 0xffffff00, v68
	v_sub_i16 v72, v74, v72 clamp
	v_lshlrev_b16_e32 v74, 8, v68
	v_and_b32_e32 v72, 0xffffff00, v72
	v_sub_i16 v71, v74, v71 clamp
	v_or_b32_sdwa v71, v71, v72 dst_sel:DWORD dst_unused:UNUSED_PAD src0_sel:BYTE_1 src1_sel:DWORD
	v_and_b32_sdwa v72, v68, s31 dst_sel:DWORD dst_unused:UNUSED_PAD src0_sel:WORD_1 src1_sel:DWORD
	v_sub_i16 v72, v72, v73 clamp
	v_lshlrev_b16_sdwa v68, v40, v68 dst_sel:DWORD dst_unused:UNUSED_PAD src0_sel:DWORD src1_sel:WORD_1
	v_and_b32_e32 v72, 0xffffff00, v72
	v_sub_i16 v68, v68, v70 clamp
	s_waitcnt vmcnt(0)
	v_xor_b32_e32 v24, v24, v78
	v_or_b32_sdwa v68, v68, v72 dst_sel:WORD_1 dst_unused:UNUSED_PAD src0_sel:BYTE_1 src1_sel:DWORD
	v_and_b32_e32 v70, 0xffffff00, v24
	v_or_b32_sdwa v68, v71, v68 dst_sel:DWORD dst_unused:UNUSED_PAD src0_sel:WORD_0 src1_sel:DWORD
	v_sub_i16 v70, v70, v77 clamp
	v_lshlrev_b16_e32 v71, 8, v24
	v_lshlrev_b16_e32 v72, 8, v76
	v_and_b32_e32 v70, 0xffffff00, v70
	v_sub_i16 v71, v71, v72 clamp
	v_or_b32_sdwa v70, v71, v70 dst_sel:DWORD dst_unused:UNUSED_PAD src0_sel:BYTE_1 src1_sel:DWORD
	v_and_b32_sdwa v71, v24, s31 dst_sel:DWORD dst_unused:UNUSED_PAD src0_sel:WORD_1 src1_sel:DWORD
	v_sub_i16 v69, v71, v69 clamp
	v_lshlrev_b16_sdwa v24, v40, v24 dst_sel:DWORD dst_unused:UNUSED_PAD src0_sel:DWORD src1_sel:WORD_1
	v_lshlrev_b16_e32 v71, 8, v75
	v_and_b32_e32 v69, 0xffffff00, v69
	v_sub_i16 v24, v24, v71 clamp
	v_or_b32_sdwa v24, v24, v69 dst_sel:WORD_1 dst_unused:UNUSED_PAD src0_sel:BYTE_1 src1_sel:DWORD
	v_dot4c_i32_i8_e32 v19, v68, v7
	v_or_b32_sdwa v24, v70, v24 dst_sel:DWORD dst_unused:UNUSED_PAD src0_sel:WORD_0 src1_sel:DWORD
	v_dot4c_i32_i8_e32 v19, v24, v0
	v_and_b32_e32 v24, 0xff, v25
	v_lshlrev_b32_e32 v68, 4, v66
	v_and_or_b32 v24, v68, s29, v24
	v_lshlrev_b32_e32 v24, 2, v24
	global_load_dword v24, v24, s[24:25]
	v_lshrrev_b16_e32 v68, 8, v25
	v_lshlrev_b32_e32 v69, 3, v66
	v_and_or_b32 v68, v69, s29, v68
	v_lshlrev_b32_e32 v68, 2, v68
	global_load_dword v68, v68, s[24:25]
	v_bfe_u32 v72, v64, 19, 1
	v_lshlrev_b32_sdwa v69, v38, v64 dst_sel:DWORD dst_unused:UNUSED_PAD src0_sel:DWORD src1_sel:BYTE_2
	v_bfe_u32 v71, v67, 1, 7
	v_cmp_ne_u16_e32 vcc, 0, v72
	v_and_b32_e32 v70, 1, v67
	v_bfe_i32 v71, v71, 0, 1
	v_lshrrev_b16_e32 v69, 7, v69
	v_cndmask_b32_e64 v72, 0, -1, vcc
	v_sub_u16_e32 v70, 0, v70
	v_bfe_i32 v69, v69, 0, 1
	v_lshlrev_b16_e32 v71, 8, v71
	v_lshlrev_b16_e32 v72, 8, v72
	v_or_b32_sdwa v73, v70, v71 dst_sel:DWORD dst_unused:UNUSED_PAD src0_sel:BYTE_0 src1_sel:DWORD
	v_or_b32_sdwa v74, v69, v72 dst_sel:WORD_1 dst_unused:UNUSED_PAD src0_sel:BYTE_0 src1_sel:DWORD
	v_bfe_u32 v77, v67, 7, 1
	v_or_b32_sdwa v73, v73, v74 dst_sel:DWORD dst_unused:UNUSED_PAD src0_sel:WORD_0 src1_sel:DWORD
	v_lshlrev_b32_sdwa v74, v39, v64 dst_sel:DWORD dst_unused:UNUSED_PAD src0_sel:DWORD src1_sel:BYTE_2
	v_bfe_u32 v76, v67, 5, 3
	v_cmp_ne_u16_e32 vcc, 0, v77
	v_bfe_i32 v76, v76, 0, 1
	v_lshrrev_b16_e32 v74, 7, v74
	v_cndmask_b32_e64 v77, 0, -1, vcc
	v_lshlrev_b16_e32 v70, 8, v70
	v_bfe_i32 v75, v64, 20, 1
	v_bfe_i32 v74, v74, 0, 1
	v_lshlrev_b16_e32 v76, 8, v76
	v_lshlrev_b16_e32 v77, 8, v77
	v_or_b32_sdwa v78, v75, v76 dst_sel:DWORD dst_unused:UNUSED_PAD src0_sel:BYTE_0 src1_sel:DWORD
	v_or_b32_sdwa v79, v74, v77 dst_sel:WORD_1 dst_unused:UNUSED_PAD src0_sel:BYTE_0 src1_sel:DWORD
	v_lshlrev_b16_e32 v69, 8, v69
	v_or_b32_sdwa v78, v78, v79 dst_sel:DWORD dst_unused:UNUSED_PAD src0_sel:WORD_0 src1_sel:DWORD
	v_lshlrev_b16_e32 v67, 7, v67
	v_ashrrev_i16_e32 v67, 15, v67
	s_waitcnt vmcnt(1)
	v_xor_b32_e32 v24, v24, v73
	v_and_b32_e32 v73, 0xffffff00, v24
	v_sub_i16 v71, v73, v71 clamp
	v_lshlrev_b16_e32 v73, 8, v24
	v_and_b32_e32 v71, 0xffffff00, v71
	v_sub_i16 v70, v73, v70 clamp
	v_or_b32_sdwa v70, v70, v71 dst_sel:DWORD dst_unused:UNUSED_PAD src0_sel:BYTE_1 src1_sel:DWORD
	v_and_b32_sdwa v71, v24, s31 dst_sel:DWORD dst_unused:UNUSED_PAD src0_sel:WORD_1 src1_sel:DWORD
	v_sub_i16 v71, v71, v72 clamp
	v_lshlrev_b16_sdwa v24, v40, v24 dst_sel:DWORD dst_unused:UNUSED_PAD src0_sel:DWORD src1_sel:WORD_1
	v_and_b32_e32 v71, 0xffffff00, v71
	v_sub_i16 v24, v24, v69 clamp
	s_waitcnt vmcnt(0)
	v_xor_b32_e32 v68, v68, v78
	v_or_b32_sdwa v24, v24, v71 dst_sel:WORD_1 dst_unused:UNUSED_PAD src0_sel:BYTE_1 src1_sel:DWORD
	v_and_b32_e32 v69, 0xffffff00, v68
	v_or_b32_sdwa v24, v70, v24 dst_sel:DWORD dst_unused:UNUSED_PAD src0_sel:WORD_0 src1_sel:DWORD
	v_sub_i16 v69, v69, v76 clamp
	v_lshlrev_b16_e32 v70, 8, v68
	v_lshlrev_b16_e32 v71, 8, v75
	v_and_b32_e32 v69, 0xffffff00, v69
	v_sub_i16 v70, v70, v71 clamp
	v_or_b32_sdwa v69, v70, v69 dst_sel:DWORD dst_unused:UNUSED_PAD src0_sel:BYTE_1 src1_sel:DWORD
	v_and_b32_sdwa v70, v68, s31 dst_sel:DWORD dst_unused:UNUSED_PAD src0_sel:WORD_1 src1_sel:DWORD
	v_sub_i16 v70, v70, v77 clamp
	v_lshlrev_b16_sdwa v68, v40, v68 dst_sel:DWORD dst_unused:UNUSED_PAD src0_sel:DWORD src1_sel:WORD_1
	v_lshlrev_b16_e32 v71, 8, v74
	v_and_b32_e32 v70, 0xffffff00, v70
	v_sub_i16 v68, v68, v71 clamp
	v_or_b32_sdwa v68, v68, v70 dst_sel:WORD_1 dst_unused:UNUSED_PAD src0_sel:BYTE_1 src1_sel:DWORD
	v_dot4c_i32_i8_e32 v19, v24, v1
	v_or_b32_sdwa v68, v69, v68 dst_sel:DWORD dst_unused:UNUSED_PAD src0_sel:WORD_0 src1_sel:DWORD
	v_dot4c_i32_i8_e32 v19, v68, v2
	v_bfe_u32 v24, v25, 16, 8
	v_lshlrev_b32_e32 v68, 2, v66
	v_and_or_b32 v24, v68, s29, v24
	v_lshlrev_b32_e32 v24, 2, v24
	global_load_dword v24, v24, s[24:25]
	v_lshrrev_b32_e32 v25, 24, v25
	v_lshlrev_b32_e32 v66, 1, v66
	v_and_or_b32 v25, v66, s29, v25
	v_lshlrev_b32_e32 v25, 2, v25
	global_load_dword v25, v25, s[24:25]
	v_bfe_u32 v69, v64, 27, 1
	v_lshlrev_b32_e32 v66, 5, v65
	v_lshrrev_b32_e32 v68, 25, v64
	v_cmp_ne_u16_e32 vcc, 0, v69
	v_bfe_i32 v68, v68, 0, 1
	v_lshrrev_b16_e32 v66, 7, v66
	v_cndmask_b32_e64 v69, 0, -1, vcc
	v_bfe_i32 v66, v66, 0, 1
	v_lshlrev_b16_e32 v68, 8, v68
	v_lshlrev_b16_e32 v69, 8, v69
	v_or_b32_sdwa v70, v67, v68 dst_sel:DWORD dst_unused:UNUSED_PAD src0_sel:BYTE_0 src1_sel:DWORD
	v_or_b32_sdwa v71, v66, v69 dst_sel:WORD_1 dst_unused:UNUSED_PAD src0_sel:BYTE_0 src1_sel:DWORD
	v_lshrrev_b32_e32 v72, 29, v64
	v_or_b32_sdwa v70, v70, v71 dst_sel:DWORD dst_unused:UNUSED_PAD src0_sel:WORD_0 src1_sel:DWORD
	v_lshrrev_b32_e32 v64, 31, v64
	v_lshlrev_b32_e32 v71, 1, v65
	v_cmp_ne_u16_e32 vcc, 0, v64
	v_bfe_i32 v72, v72, 0, 1
	v_lshrrev_b16_e32 v71, 7, v71
	v_cndmask_b32_e64 v64, 0, -1, vcc
	v_lshlrev_b16_e32 v67, 8, v67
	v_bfe_i32 v65, v65, 4, 1
	v_bfe_i32 v71, v71, 0, 1
	v_lshlrev_b16_e32 v72, 8, v72
	v_lshlrev_b16_e32 v64, 8, v64
	v_or_b32_sdwa v73, v65, v72 dst_sel:DWORD dst_unused:UNUSED_PAD src0_sel:BYTE_0 src1_sel:DWORD
	v_or_b32_sdwa v74, v71, v64 dst_sel:WORD_1 dst_unused:UNUSED_PAD src0_sel:BYTE_0 src1_sel:DWORD
	v_lshlrev_b16_e32 v66, 8, v66
	v_or_b32_sdwa v73, v73, v74 dst_sel:DWORD dst_unused:UNUSED_PAD src0_sel:WORD_0 src1_sel:DWORD
	v_lshlrev_b16_e32 v65, 8, v65
	s_waitcnt vmcnt(1)
	v_xor_b32_e32 v24, v24, v70
	v_and_b32_e32 v70, 0xffffff00, v24
	v_sub_i16 v68, v70, v68 clamp
	v_lshlrev_b16_e32 v70, 8, v24
	v_and_b32_e32 v68, 0xffffff00, v68
	v_sub_i16 v67, v70, v67 clamp
	v_or_b32_sdwa v67, v67, v68 dst_sel:DWORD dst_unused:UNUSED_PAD src0_sel:BYTE_1 src1_sel:DWORD
	v_and_b32_sdwa v68, v24, s31 dst_sel:DWORD dst_unused:UNUSED_PAD src0_sel:WORD_1 src1_sel:DWORD
	v_sub_i16 v68, v68, v69 clamp
	v_lshlrev_b16_sdwa v24, v40, v24 dst_sel:DWORD dst_unused:UNUSED_PAD src0_sel:DWORD src1_sel:WORD_1
	v_and_b32_e32 v68, 0xffffff00, v68
	v_sub_i16 v24, v24, v66 clamp
	s_waitcnt vmcnt(0)
	v_xor_b32_e32 v25, v25, v73
	v_or_b32_sdwa v24, v24, v68 dst_sel:WORD_1 dst_unused:UNUSED_PAD src0_sel:BYTE_1 src1_sel:DWORD
	v_and_b32_e32 v66, 0xffffff00, v25
	v_or_b32_sdwa v24, v67, v24 dst_sel:DWORD dst_unused:UNUSED_PAD src0_sel:WORD_0 src1_sel:DWORD
	v_sub_i16 v66, v66, v72 clamp
	v_lshlrev_b16_e32 v67, 8, v25
	v_and_b32_e32 v66, 0xffffff00, v66
	v_sub_i16 v65, v67, v65 clamp
	v_or_b32_sdwa v65, v65, v66 dst_sel:DWORD dst_unused:UNUSED_PAD src0_sel:BYTE_1 src1_sel:DWORD
	v_and_b32_sdwa v66, v25, s31 dst_sel:DWORD dst_unused:UNUSED_PAD src0_sel:WORD_1 src1_sel:DWORD
	v_sub_i16 v64, v66, v64 clamp
	v_lshlrev_b16_sdwa v25, v40, v25 dst_sel:DWORD dst_unused:UNUSED_PAD src0_sel:DWORD src1_sel:WORD_1
	v_lshlrev_b16_e32 v66, 8, v71
	v_and_b32_e32 v64, 0xffffff00, v64
	v_sub_i16 v25, v25, v66 clamp
	v_or_b32_sdwa v25, v25, v64 dst_sel:WORD_1 dst_unused:UNUSED_PAD src0_sel:BYTE_1 src1_sel:DWORD
	v_dot4c_i32_i8_e32 v19, v24, v3
	v_or_b32_sdwa v25, v65, v25 dst_sel:DWORD dst_unused:UNUSED_PAD src0_sel:WORD_0 src1_sel:DWORD
	v_dot4c_i32_i8_e32 v19, v25, v41
	v_lshl_add_u64 v[24:25], v[22:23], 0, v[12:13]
	global_load_ubyte v24, v[24:25], off offset:106
	s_nop 0
	global_load_ushort v22, v[22:23], off
	s_waitcnt vmcnt(1)
	v_lshrrev_b32_e32 v24, v37, v24
	v_lshlrev_b32_e32 v24, 1, v24
	v_and_or_b32 v24, v24, 30, 1
	v_mul_lo_u32 v19, v19, v24
	s_waitcnt vmcnt(0)
	v_cvt_f32_f16_e32 v22, v22
	v_cvt_f32_i32_e32 v19, v19
	v_mul_f32_e32 v22, v4, v22
	v_fmac_f32_e32 v34, v22, v19
	s_branch .LBB253_17
.LBB253_22:
	s_or_b64 exec, exec, s[12:13]
	ds_write2_b32 v30, v36, v33 offset1:1
	ds_write2_b32 v29, v35, v34 offset1:1
.LBB253_23:
	s_or_b64 exec, exec, s[0:1]
	s_load_dword s15, s[2:3], 0x30
	v_cmp_eq_u32_e64 s[0:1], 0, v31
	v_cmp_ne_u32_e32 vcc, 0, v31
	v_lshlrev_b32_e32 v0, 2, v26
	s_and_saveexec_b64 s[12:13], vcc
	s_cbranch_execz .LBB253_28
; %bb.24:
	v_add_u32_e32 v1, -1, v31
	v_lshl_or_b32 v1, v1, 9, v0
	s_mov_b64 s[16:17], -1
	s_and_b64 vcc, exec, s[22:23]
	ds_write_b32 v1, v36
	s_cbranch_vccz .LBB253_26
; %bb.25:
	ds_write_b32 v1, v33 offset:256
	s_mov_b64 s[16:17], 0
.LBB253_26:
	s_andn2_b64 vcc, exec, s[16:17]
	s_cbranch_vccnz .LBB253_28
; %bb.27:
	ds_write_b32 v1, v33 offset:256
	ds_write2st64_b32 v1, v35, v34 offset0:2 offset1:3
.LBB253_28:
	s_or_b64 exec, exec, s[12:13]
	s_waitcnt lgkmcnt(0)
	s_barrier
	s_and_saveexec_b64 s[12:13], s[0:1]
	s_cbranch_execz .LBB253_61
; %bb.29:
	ds_read_b32 v2, v0
	ds_read_b32 v3, v30
	s_and_b64 vcc, exec, s[10:11]
	s_cbranch_vccnz .LBB253_31
; %bb.30:
	ds_read_b32 v1, v0 offset:512
	ds_read_b32 v4, v29
	s_waitcnt lgkmcnt(0)
	v_add_f32_e32 v1, v1, v4
	ds_write_b32 v29, v1
.LBB253_31:
	v_mbcnt_lo_u32_b32 v1, -1, 0
	v_mbcnt_hi_u32_b32 v6, -1, v1
	v_and_b32_e32 v1, 64, v6
	v_add_u32_e32 v7, 64, v1
	v_xor_b32_e32 v1, 32, v6
	v_cmp_lt_i32_e32 vcc, v1, v7
	s_waitcnt lgkmcnt(0)
	v_add_f32_e32 v3, v2, v3
	v_xor_b32_e32 v2, 16, v6
	v_cndmask_b32_e32 v1, v6, v1, vcc
	v_lshlrev_b32_e32 v1, 2, v1
	ds_bpermute_b32 v4, v1, v3
	v_cmp_lt_i32_e32 vcc, v2, v7
	v_xor_b32_e32 v10, 1, v6
	s_waitcnt lgkmcnt(0)
	v_add_f32_e32 v4, v3, v4
	v_cndmask_b32_e32 v2, v6, v2, vcc
	v_lshlrev_b32_e32 v2, 2, v2
	ds_bpermute_b32 v5, v2, v4
	v_xor_b32_e32 v3, 8, v6
	v_cmp_lt_i32_e32 vcc, v3, v7
	s_waitcnt lgkmcnt(0)
	v_add_f32_e32 v5, v4, v5
	v_cndmask_b32_e32 v3, v6, v3, vcc
	v_lshlrev_b32_e32 v3, 2, v3
	ds_bpermute_b32 v8, v3, v5
	v_xor_b32_e32 v4, 4, v6
	v_cmp_lt_i32_e32 vcc, v4, v7
	;; [unrolled: 7-line block ×3, first 2 shown]
	s_waitcnt lgkmcnt(0)
	v_add_f32_e32 v8, v8, v9
	v_cndmask_b32_e32 v5, v6, v5, vcc
	v_lshlrev_b32_e32 v5, 2, v5
	ds_bpermute_b32 v9, v5, v8
	v_cmp_lt_i32_e32 vcc, v10, v7
	s_waitcnt lgkmcnt(0)
	v_add_f32_e32 v7, v8, v9
	v_cndmask_b32_e32 v6, v6, v10, vcc
	v_lshlrev_b32_e32 v6, 2, v6
	ds_bpermute_b32 v8, v6, v7
	s_and_b64 vcc, exec, s[10:11]
	s_waitcnt lgkmcnt(0)
	v_add_f32_e32 v7, v7, v8
	ds_write_b32 v30, v7
	s_cbranch_vccnz .LBB253_33
; %bb.32:
	ds_read_b32 v7, v29
	s_waitcnt lgkmcnt(0)
	ds_bpermute_b32 v8, v1, v7
	s_waitcnt lgkmcnt(0)
	v_add_f32_e32 v7, v7, v8
	ds_bpermute_b32 v8, v2, v7
	s_waitcnt lgkmcnt(0)
	v_add_f32_e32 v7, v7, v8
	ds_bpermute_b32 v8, v3, v7
	s_waitcnt lgkmcnt(0)
	v_add_f32_e32 v7, v7, v8
	ds_bpermute_b32 v8, v4, v7
	s_waitcnt lgkmcnt(0)
	v_add_f32_e32 v7, v7, v8
	ds_bpermute_b32 v8, v5, v7
	s_waitcnt lgkmcnt(0)
	v_add_f32_e32 v7, v7, v8
	ds_bpermute_b32 v8, v6, v7
	s_waitcnt lgkmcnt(0)
	v_add_f32_e32 v7, v7, v8
	ds_write_b32 v29, v7
.LBB253_33:
	ds_read_b32 v7, v0 offset:256
	ds_read_b32 v8, v30 offset:4
	s_and_b64 vcc, exec, s[10:11]
	s_cbranch_vccnz .LBB253_35
; %bb.34:
	ds_read_b32 v9, v0 offset:768
	ds_read_b32 v10, v29 offset:4
	s_waitcnt lgkmcnt(0)
	v_add_f32_e32 v9, v9, v10
	ds_write_b32 v29, v9 offset:4
.LBB253_35:
	s_waitcnt lgkmcnt(0)
	v_add_f32_e32 v7, v7, v8
	ds_bpermute_b32 v8, v1, v7
	s_and_b64 vcc, exec, s[10:11]
	s_waitcnt lgkmcnt(0)
	v_add_f32_e32 v7, v7, v8
	ds_bpermute_b32 v8, v2, v7
	s_waitcnt lgkmcnt(0)
	v_add_f32_e32 v7, v7, v8
	ds_bpermute_b32 v8, v3, v7
	;; [unrolled: 3-line block ×5, first 2 shown]
	s_waitcnt lgkmcnt(0)
	v_add_f32_e32 v7, v7, v8
	ds_write_b32 v30, v7 offset:4
	s_cbranch_vccnz .LBB253_37
; %bb.36:
	ds_read_b32 v7, v29 offset:4
	s_waitcnt lgkmcnt(0)
	ds_bpermute_b32 v1, v1, v7
	s_waitcnt lgkmcnt(0)
	v_add_f32_e32 v1, v7, v1
	ds_bpermute_b32 v2, v2, v1
	s_waitcnt lgkmcnt(0)
	v_add_f32_e32 v1, v1, v2
	;; [unrolled: 3-line block ×6, first 2 shown]
	ds_write_b32 v29, v1 offset:4
.LBB253_37:
	v_add_u32_e32 v1, s20, v26
	v_cmp_gt_u32_e32 vcc, 2, v26
	v_cmp_gt_u32_e64 s[0:1], s7, v1
	s_and_b64 s[0:1], vcc, s[0:1]
	s_and_b64 exec, exec, s[0:1]
	s_cbranch_execz .LBB253_61
; %bb.38:
	v_lshl_add_u32 v1, v26, 2, v30
	ds_read_b32 v1, v1
	s_and_b64 vcc, exec, s[10:11]
	s_waitcnt vmcnt(0) lgkmcnt(0)
	v_add_f32_e32 v2, v28, v1
	v_cndmask_b32_e64 v1, v2, v1, s[8:9]
	s_cbranch_vccnz .LBB253_60
; %bb.39:
	v_lshl_add_u32 v2, v26, 2, v29
	ds_read_b32 v2, v2
	s_cmp_lt_i32 s15, 2
	s_mov_b64 s[0:1], 0
	s_waitcnt lgkmcnt(0)
	v_add_f32_e32 v3, v27, v2
	v_cndmask_b32_e64 v2, v2, v3, s[4:5]
	s_cbranch_scc1 .LBB253_43
; %bb.40:
	s_cmp_gt_i32 s15, 2
	s_cbranch_scc0 .LBB253_44
; %bb.41:
	s_cmp_eq_u32 s15, 3
	s_cbranch_scc0 .LBB253_45
; %bb.42:
	v_max_f32_e32 v3, v2, v2
	v_min_f32_e32 v3, 0x40e00000, v3
	v_mul_f32_e32 v5, 0xbfd9db23, v3
	s_mov_b32 s4, 0x3fb8aa3b
	v_mul_f32_e32 v4, 0x3fb8aa3b, v5
	v_fma_f32 v6, v5, s4, -v4
	v_rndne_f32_e32 v7, v4
	v_fmamk_f32 v6, v5, 0x32a5705f, v6
	v_sub_f32_e32 v4, v4, v7
	v_add_f32_e32 v4, v4, v6
	v_exp_f32_e32 v6, v4
	v_cvt_i32_f32_e32 v7, v7
	s_mov_b32 s4, 0xc2ce8ed0
	v_max_f32_e32 v4, v1, v1
	v_cmp_ngt_f32_e32 vcc, s4, v5
	v_ldexp_f32 v6, v6, v7
	s_mov_b32 s4, 0x42b17218
	v_min_f32_e32 v4, 0x40e00000, v4
	v_cndmask_b32_e32 v6, 0, v6, vcc
	v_mov_b32_e32 v7, 0x7f800000
	v_cmp_nlt_f32_e32 vcc, s4, v5
	v_max_f32_e32 v4, 0xc0e00000, v4
	s_nop 0
	v_cndmask_b32_e32 v5, v7, v6, vcc
	v_pk_add_f32 v[4:5], v[4:5], 1.0 op_sel_hi:[1,0]
	s_nop 0
	v_div_scale_f32 v6, s[4:5], v5, v5, v3
	v_rcp_f32_e32 v7, v6
	s_mov_b64 s[4:5], 0
	v_fma_f32 v8, -v6, v7, 1.0
	v_fmac_f32_e32 v7, v8, v7
	v_div_scale_f32 v8, vcc, v3, v5, v3
	v_mul_f32_e32 v9, v8, v7
	v_fma_f32 v10, -v6, v9, v8
	v_fmac_f32_e32 v9, v10, v7
	v_fma_f32 v6, -v6, v9, v8
	v_div_fmas_f32 v6, v6, v7, v9
	v_div_fixup_f32 v3, v6, v5, v3
	v_mul_f32_e32 v3, v4, v3
	s_branch .LBB253_46
.LBB253_43:
                                        ; implicit-def: $vgpr3
	s_mov_b64 s[4:5], 0
	s_cbranch_execnz .LBB253_50
	s_branch .LBB253_51
.LBB253_44:
	s_mov_b64 s[8:9], -1
	s_mov_b64 s[4:5], 0
                                        ; implicit-def: $vgpr3
	s_branch .LBB253_47
.LBB253_45:
	s_mov_b64 s[4:5], -1
                                        ; implicit-def: $vgpr3
.LBB253_46:
	s_mov_b64 s[8:9], 0
.LBB253_47:
	s_and_b64 vcc, exec, s[8:9]
	s_cbranch_vccz .LBB253_49
; %bb.48:
	v_mul_f32_e32 v3, 0xbfb8aa3b, v2
	s_mov_b32 s7, 0xbfb8aa3b
	v_rndne_f32_e32 v4, v3
	v_sub_f32_e32 v5, v3, v4
	v_fma_f32 v3, v2, s7, -v3
	v_fmamk_f32 v3, v2, 0xb2a5705f, v3
	v_add_f32_e32 v3, v5, v3
	v_exp_f32_e32 v3, v3
	v_cvt_i32_f32_e32 v4, v4
	s_mov_b32 s7, 0x42ce8ed0
	v_cmp_nlt_f32_e32 vcc, s7, v2
	s_mov_b32 s7, 0xc2b17218
	v_ldexp_f32 v3, v3, v4
	v_cndmask_b32_e32 v3, 0, v3, vcc
	v_mov_b32_e32 v4, 0x7f800000
	v_cmp_ngt_f32_e32 vcc, s7, v2
	s_nop 1
	v_cndmask_b32_e32 v3, v4, v3, vcc
	v_add_f32_e32 v3, 1.0, v3
	v_div_scale_f32 v4, s[8:9], v3, v3, v2
	v_rcp_f32_e32 v5, v4
	s_nop 0
	v_fma_f32 v6, -v4, v5, 1.0
	v_fmac_f32_e32 v5, v6, v5
	v_div_scale_f32 v6, vcc, v2, v3, v2
	v_mul_f32_e32 v7, v6, v5
	v_fma_f32 v8, -v4, v7, v6
	v_fmac_f32_e32 v7, v8, v5
	v_fma_f32 v4, -v4, v7, v6
	v_div_fmas_f32 v4, v4, v5, v7
	v_div_fixup_f32 v3, v4, v3, v2
	v_mul_f32_e32 v3, v1, v3
.LBB253_49:
	s_branch .LBB253_51
.LBB253_50:
	s_cmp_lg_u32 s15, 1
	s_mov_b64 s[0:1], -1
	s_cselect_b64 s[4:5], -1, 0
                                        ; implicit-def: $vgpr3
.LBB253_51:
	s_andn2_b64 vcc, exec, s[4:5]
	s_cbranch_vccz .LBB253_53
; %bb.52:
	s_andn2_b64 vcc, exec, s[0:1]
	s_cbranch_vccz .LBB253_54
	s_branch .LBB253_59
.LBB253_53:
	v_mul_f32_e32 v3, v1, v2
	s_cbranch_execnz .LBB253_59
.LBB253_54:
	v_mul_f32_e32 v4, 0x3d372713, v2
	v_mul_f32_e32 v3, 0x3f4c422a, v2
	v_fma_f32 v4, v2, v4, 1.0
	v_mul_f32_e32 v3, v3, v4
	s_mov_b32 s0, 0x3f200000
	v_cmp_nlt_f32_e64 s[0:1], |v3|, s0
                                        ; implicit-def: $vgpr4
	s_and_saveexec_b64 s[4:5], s[0:1]
	s_xor_b64 s[0:1], exec, s[4:5]
	s_cbranch_execz .LBB253_56
; %bb.55:
	v_add_f32_e64 v4, |v3|, |v3|
	v_mul_f32_e32 v5, 0x3fb8aa3b, v4
	s_mov_b32 s4, 0x3fb8aa3b
	v_rndne_f32_e32 v6, v5
	v_sub_f32_e32 v7, v5, v6
	v_fma_f32 v5, v4, s4, -v5
	v_fmamk_f32 v5, v4, 0x32a5705f, v5
	v_add_f32_e32 v5, v7, v5
	v_exp_f32_e32 v5, v5
	v_cvt_i32_f32_e32 v6, v6
	s_mov_b32 s4, 0xc2ce8ed0
	v_cmp_ngt_f32_e32 vcc, s4, v4
	s_mov_b32 s4, 0x42b17218
	v_ldexp_f32 v5, v5, v6
	v_cndmask_b32_e32 v5, 0, v5, vcc
	v_mov_b32_e32 v6, 0x7f800000
	v_cmp_nlt_f32_e32 vcc, s4, v4
	s_nop 1
	v_cndmask_b32_e32 v4, v6, v5, vcc
	v_add_f32_e32 v4, 1.0, v4
	v_rcp_f32_e32 v4, v4
	s_nop 0
	v_fma_f32 v4, v4, -2.0, 1.0
.LBB253_56:
	s_andn2_saveexec_b64 s[0:1], s[0:1]
; %bb.57:
	v_mul_f32_e32 v4, v3, v3
	v_mov_b32_e32 v5, 0x3ca908c9
	v_fmac_f32_e32 v5, 0xbbbac73d, v4
	v_fmaak_f32 v5, v4, v5, 0xbd5c1c4e
	v_fmaak_f32 v5, v4, v5, 0x3e088382
	;; [unrolled: 1-line block ×3, first 2 shown]
	v_mul_f32_e64 v5, |v3|, v5
	v_fma_f32 v4, v4, v5, |v3|
; %bb.58:
	s_or_b64 exec, exec, s[0:1]
	s_brev_b32 s0, -2
	v_bfi_b32 v3, s0, v4, v3
	v_mul_f32_e32 v2, 0.5, v2
	v_add_f32_e32 v3, 1.0, v3
	v_mul_f32_e32 v2, v2, v3
	v_mul_f32_e32 v3, v1, v2
.LBB253_59:
	v_mov_b32_e32 v1, v3
.LBB253_60:
	s_load_dwordx2 s[0:1], s[2:3], 0x38
	s_mul_i32 s4, s14, s26
	s_mul_i32 s6, s6, s30
	s_add_i32 s2, s4, s20
	s_add_i32 s2, s2, s6
	s_mov_b32 s3, 0
	s_lshl_b64 s[2:3], s[2:3], 2
	s_waitcnt lgkmcnt(0)
	s_add_u32 s0, s0, s2
	s_addc_u32 s1, s1, s3
	global_store_dword v0, v1, s[0:1]
.LBB253_61:
	s_endpgm
	.section	.rodata,"a",@progbits
	.p2align	6, 0x0
	.amdhsa_kernel _ZL13mul_mat_vec_qIL9ggml_type21ELi1ELb1ELb1EEvPKvS2_PKi31ggml_cuda_mm_fusion_args_devicePfj15HIP_vector_typeIjLj3EEjjjS8_jjjS8_jjjj
		.amdhsa_group_segment_fixed_size 3072
		.amdhsa_private_segment_fixed_size 0
		.amdhsa_kernarg_size 144
		.amdhsa_user_sgpr_count 4
		.amdhsa_user_sgpr_dispatch_ptr 1
		.amdhsa_user_sgpr_queue_ptr 0
		.amdhsa_user_sgpr_kernarg_segment_ptr 1
		.amdhsa_user_sgpr_dispatch_id 0
		.amdhsa_user_sgpr_kernarg_preload_length 0
		.amdhsa_user_sgpr_kernarg_preload_offset 0
		.amdhsa_user_sgpr_private_segment_size 0
		.amdhsa_uses_dynamic_stack 0
		.amdhsa_enable_private_segment 0
		.amdhsa_system_sgpr_workgroup_id_x 1
		.amdhsa_system_sgpr_workgroup_id_y 1
		.amdhsa_system_sgpr_workgroup_id_z 1
		.amdhsa_system_sgpr_workgroup_info 0
		.amdhsa_system_vgpr_workitem_id 2
		.amdhsa_next_free_vgpr 90
		.amdhsa_next_free_sgpr 46
		.amdhsa_accum_offset 92
		.amdhsa_reserve_vcc 1
		.amdhsa_float_round_mode_32 0
		.amdhsa_float_round_mode_16_64 0
		.amdhsa_float_denorm_mode_32 3
		.amdhsa_float_denorm_mode_16_64 3
		.amdhsa_dx10_clamp 1
		.amdhsa_ieee_mode 1
		.amdhsa_fp16_overflow 0
		.amdhsa_tg_split 0
		.amdhsa_exception_fp_ieee_invalid_op 0
		.amdhsa_exception_fp_denorm_src 0
		.amdhsa_exception_fp_ieee_div_zero 0
		.amdhsa_exception_fp_ieee_overflow 0
		.amdhsa_exception_fp_ieee_underflow 0
		.amdhsa_exception_fp_ieee_inexact 0
		.amdhsa_exception_int_div_zero 0
	.end_amdhsa_kernel
	.section	.text._ZL13mul_mat_vec_qIL9ggml_type21ELi1ELb1ELb1EEvPKvS2_PKi31ggml_cuda_mm_fusion_args_devicePfj15HIP_vector_typeIjLj3EEjjjS8_jjjS8_jjjj,"axG",@progbits,_ZL13mul_mat_vec_qIL9ggml_type21ELi1ELb1ELb1EEvPKvS2_PKi31ggml_cuda_mm_fusion_args_devicePfj15HIP_vector_typeIjLj3EEjjjS8_jjjS8_jjjj,comdat
.Lfunc_end253:
	.size	_ZL13mul_mat_vec_qIL9ggml_type21ELi1ELb1ELb1EEvPKvS2_PKi31ggml_cuda_mm_fusion_args_devicePfj15HIP_vector_typeIjLj3EEjjjS8_jjjS8_jjjj, .Lfunc_end253-_ZL13mul_mat_vec_qIL9ggml_type21ELi1ELb1ELb1EEvPKvS2_PKi31ggml_cuda_mm_fusion_args_devicePfj15HIP_vector_typeIjLj3EEjjjS8_jjjS8_jjjj
                                        ; -- End function
	.section	.AMDGPU.csdata,"",@progbits
; Kernel info:
; codeLenInByte = 11164
; NumSgprs: 52
; NumVgprs: 90
; NumAgprs: 0
; TotalNumVgprs: 90
; ScratchSize: 0
; MemoryBound: 0
; FloatMode: 240
; IeeeMode: 1
; LDSByteSize: 3072 bytes/workgroup (compile time only)
; SGPRBlocks: 6
; VGPRBlocks: 11
; NumSGPRsForWavesPerEU: 52
; NumVGPRsForWavesPerEU: 90
; AccumOffset: 92
; Occupancy: 5
; WaveLimiterHint : 0
; COMPUTE_PGM_RSRC2:SCRATCH_EN: 0
; COMPUTE_PGM_RSRC2:USER_SGPR: 4
; COMPUTE_PGM_RSRC2:TRAP_HANDLER: 0
; COMPUTE_PGM_RSRC2:TGID_X_EN: 1
; COMPUTE_PGM_RSRC2:TGID_Y_EN: 1
; COMPUTE_PGM_RSRC2:TGID_Z_EN: 1
; COMPUTE_PGM_RSRC2:TIDIG_COMP_CNT: 2
; COMPUTE_PGM_RSRC3_GFX90A:ACCUM_OFFSET: 22
; COMPUTE_PGM_RSRC3_GFX90A:TG_SPLIT: 0
	.section	.text._ZL13mul_mat_vec_qIL9ggml_type21ELi1ELb0ELb1EEvPKvS2_PKi31ggml_cuda_mm_fusion_args_devicePfj15HIP_vector_typeIjLj3EEjjjS8_jjjS8_jjjj,"axG",@progbits,_ZL13mul_mat_vec_qIL9ggml_type21ELi1ELb0ELb1EEvPKvS2_PKi31ggml_cuda_mm_fusion_args_devicePfj15HIP_vector_typeIjLj3EEjjjS8_jjjS8_jjjj,comdat
	.globl	_ZL13mul_mat_vec_qIL9ggml_type21ELi1ELb0ELb1EEvPKvS2_PKi31ggml_cuda_mm_fusion_args_devicePfj15HIP_vector_typeIjLj3EEjjjS8_jjjS8_jjjj ; -- Begin function _ZL13mul_mat_vec_qIL9ggml_type21ELi1ELb0ELb1EEvPKvS2_PKi31ggml_cuda_mm_fusion_args_devicePfj15HIP_vector_typeIjLj3EEjjjS8_jjjS8_jjjj
	.p2align	8
	.type	_ZL13mul_mat_vec_qIL9ggml_type21ELi1ELb0ELb1EEvPKvS2_PKi31ggml_cuda_mm_fusion_args_devicePfj15HIP_vector_typeIjLj3EEjjjS8_jjjS8_jjjj,@function
_ZL13mul_mat_vec_qIL9ggml_type21ELi1ELb0ELb1EEvPKvS2_PKi31ggml_cuda_mm_fusion_args_devicePfj15HIP_vector_typeIjLj3EEjjjS8_jjjS8_jjjj: ; @_ZL13mul_mat_vec_qIL9ggml_type21ELi1ELb0ELb1EEvPKvS2_PKi31ggml_cuda_mm_fusion_args_devicePfj15HIP_vector_typeIjLj3EEjjjS8_jjjS8_jjjj
; %bb.0:
	s_load_dwordx2 s[8:9], s[2:3], 0x10
	s_load_dwordx4 s[16:19], s[2:3], 0x40
	s_mov_b32 s20, s5
	s_mov_b64 s[14:15], 0
	s_waitcnt lgkmcnt(0)
	s_cmp_lg_u64 s[8:9], 0
	s_cselect_b64 s[12:13], -1, 0
	s_cmp_eq_u64 s[8:9], 0
	s_cbranch_scc1 .LBB254_5
; %bb.1:
	s_mov_b32 s21, 0
	s_lshl_b64 s[10:11], s[20:21], 2
	s_add_u32 s8, s8, s10
	s_addc_u32 s9, s9, s11
	s_load_dword s21, s[8:9], 0x0
	s_nop 0
	s_load_dwordx4 s[8:11], s[2:3], 0x68
	s_load_dword s5, s[2:3], 0x50
	s_andn2_b64 vcc, exec, s[14:15]
	s_cbranch_vccnz .LBB254_3
.LBB254_2:
	s_load_dwordx2 s[14:15], s[2:3], 0x5c
	s_waitcnt lgkmcnt(0)
	s_mul_hi_u32 s7, s14, s20
	s_add_i32 s7, s20, s7
	s_lshr_b32 s21, s7, s15
.LBB254_3:
	s_load_dword s22, s[2:3], 0x78
	s_andn2_b64 vcc, exec, s[12:13]
	s_cbranch_vccnz .LBB254_6
; %bb.4:
	s_mul_hi_u32 s7, s17, s20
	s_add_i32 s7, s20, s7
	s_lshr_b32 s7, s7, s18
	s_mul_i32 s7, s7, s19
	s_sub_i32 s23, s20, s7
	s_branch .LBB254_7
.LBB254_5:
                                        ; implicit-def: $sgpr21
	s_load_dwordx4 s[8:11], s[2:3], 0x68
	s_load_dword s5, s[2:3], 0x50
	s_branch .LBB254_2
.LBB254_6:
	s_mov_b32 s23, s20
.LBB254_7:
	s_load_dwordx2 s[18:19], s[0:1], 0x4
	s_load_dwordx4 s[12:15], s[2:3], 0x80
	v_bfe_u32 v30, v0, 10, 10
	v_and_b32_e32 v29, 0x3ff, v0
	v_bfe_u32 v0, v0, 20, 10
	s_waitcnt lgkmcnt(0)
	s_lshr_b32 s0, s18, 16
	v_mul_u32_u24_e32 v1, s19, v30
	s_mul_i32 s0, s0, s19
	v_mad_u32_u24 v1, s0, v29, v1
	v_add_lshl_u32 v1, v1, v0, 3
	v_lshl_add_u32 v0, v30, 6, v29
	s_lshr_b32 s15, s16, 8
	v_lshrrev_b32_e32 v31, 3, v0
	v_add_u32_e32 v28, 0x200, v1
	s_lshl_b32 s7, s4, 1
	v_mov_b32_e32 v15, 0
	v_cmp_gt_u32_e32 vcc, s15, v31
	v_mov_b32_e32 v14, 0
	ds_write2_b32 v1, v15, v15 offset0:128 offset1:129
	s_and_saveexec_b64 s[0:1], vcc
	s_cbranch_execz .LBB254_11
; %bb.8:
	s_mul_i32 s4, s23, s9
	s_mul_hi_u32 s9, s11, s6
	s_add_i32 s9, s6, s9
	s_lshr_b32 s9, s9, s22
	s_mul_i32 s8, s21, s8
	s_mul_i32 s9, s9, s12
	s_add_i32 s21, s9, s8
	s_add_i32 s8, s7, 1
	s_mul_i32 s11, s7, s5
	s_mul_i32 s5, s5, s8
	s_load_dwordx4 s[16:19], s[2:3], 0x0
	v_lshlrev_b32_e32 v1, 1, v29
	s_add_i32 s11, s21, s11
	s_add_i32 s21, s21, s5
	s_mul_hi_u32 s5, s4, 36
	s_mul_i32 s4, s4, 36
	v_and_b32_e32 v2, 14, v1
	v_bfe_u32 v10, v1, 2, 2
	v_lshrrev_b32_e32 v3, 3, v0
	v_mov_b32_e32 v0, s4
	v_mov_b32_e32 v1, s5
	s_movk_i32 s4, 0x120
	s_mul_i32 s13, s6, s13
	v_mad_u64_u32 v[0:1], s[4:5], v3, s4, v[0:1]
	v_and_b32_e32 v8, 7, v29
	v_mad_u64_u32 v[0:1], s[4:5], s13, 36, v[0:1]
	v_lshlrev_b32_e32 v4, 1, v2
	v_mad_u64_u32 v[0:1], s[4:5], v8, 36, v[0:1]
	v_mov_b32_e32 v9, 0
	v_and_b32_e32 v12, 4, v4
	s_waitcnt lgkmcnt(0)
	v_lshl_add_u64 v[0:1], v[0:1], 0, s[18:19]
	v_mov_b32_e32 v11, v9
	v_mov_b32_e32 v13, v12
	v_lshl_add_u64 v[16:17], v[0:1], 0, 16
	s_mov_b64 s[4:5], 0
	s_movk_i32 s18, 0x6e
	v_mov_b64_e32 v[18:19], s[16:17]
	v_lshlrev_b32_e32 v20, 1, v4
	v_lshlrev_b32_e32 v22, 1, v2
	s_movk_i32 s16, 0x100
	s_movk_i32 s17, 0xff00
	s_mov_b64 s[8:9], 0x1200
	v_mov_b32_e32 v21, v9
	v_mov_b32_e32 v23, v9
	;; [unrolled: 1-line block ×7, first 2 shown]
.LBB254_9:                              ; =>This Inner Loop Header: Depth=1
	v_add_u32_e32 v24, s11, v31
	v_mad_i64_i32 v[26:27], s[12:13], v24, s18, v[18:19]
	v_lshl_add_u64 v[24:25], v[26:27], 0, v[20:21]
	v_lshl_add_u64 v[38:39], v[26:27], 0, v[8:9]
	global_load_dword v37, v[16:17], off offset:16
	global_load_dwordx4 v[0:3], v[16:17], off
	global_load_dwordx4 v[4:7], v[16:17], off offset:-16
	global_load_ubyte v36, v[38:39], off offset:66
	v_lshl_add_u64 v[38:39], v[26:27], 0, v[22:23]
	global_load_dwordx2 v[24:25], v[24:25], off offset:2
	s_getpc_b64 s[12:13]
	s_add_u32 s12, s12, _ZL9iq3s_grid@rel32@lo+4
	s_addc_u32 s13, s13, _ZL9iq3s_grid@rel32@hi+12
	global_load_dword v38, v[38:39], off offset:74
	v_lshl_add_u64 v[16:17], v[16:17], 0, s[8:9]
	s_waitcnt vmcnt(3)
	v_cvt_f32_f16_e32 v4, v4
	s_waitcnt vmcnt(2)
	v_lshlrev_b32_e32 v41, 8, v36
	v_lshlrev_b32_e32 v42, 7, v36
	s_waitcnt vmcnt(1)
	v_and_b32_e32 v35, 0xff, v24
	v_and_or_b32 v35, v41, s16, v35
	v_lshlrev_b32_e32 v35, 2, v35
	global_load_dword v35, v35, s[12:13]
	v_lshrrev_b16_e32 v41, 8, v24
	v_and_or_b32 v41, v42, s16, v41
	v_lshlrev_b32_e32 v41, 2, v41
	global_load_dword v41, v41, s[12:13]
	s_waitcnt vmcnt(2)
	v_bfe_u32 v45, v38, 3, 1
	v_lshlrev_b32_sdwa v42, v32, v38 dst_sel:DWORD dst_unused:UNUSED_PAD src0_sel:DWORD src1_sel:BYTE_0
	v_bfe_u32 v44, v38, 1, 7
	v_cmp_ne_u16_e32 vcc, 0, v45
	v_and_b32_e32 v43, 1, v38
	v_bfe_i32 v44, v44, 0, 1
	v_lshrrev_b16_e32 v42, 7, v42
	v_cndmask_b32_e64 v45, 0, -1, vcc
	v_sub_u16_e32 v43, 0, v43
	v_bfe_i32 v42, v42, 0, 1
	v_lshlrev_b16_e32 v44, 8, v44
	v_lshlrev_b16_e32 v45, 8, v45
	v_or_b32_sdwa v46, v43, v44 dst_sel:DWORD dst_unused:UNUSED_PAD src0_sel:BYTE_0 src1_sel:DWORD
	v_or_b32_sdwa v47, v42, v45 dst_sel:WORD_1 dst_unused:UNUSED_PAD src0_sel:BYTE_0 src1_sel:DWORD
	v_bfe_u32 v50, v38, 7, 1
	v_or_b32_sdwa v46, v46, v47 dst_sel:DWORD dst_unused:UNUSED_PAD src0_sel:WORD_0 src1_sel:DWORD
	v_lshlrev_b16_e32 v43, 8, v43
	v_lshlrev_b32_sdwa v47, v33, v38 dst_sel:DWORD dst_unused:UNUSED_PAD src0_sel:DWORD src1_sel:BYTE_0
	v_bfe_u32 v49, v38, 5, 3
	v_cmp_ne_u16_e32 vcc, 0, v50
	v_bfe_i32 v49, v49, 0, 1
	v_lshrrev_b16_e32 v47, 7, v47
	v_cndmask_b32_e64 v50, 0, -1, vcc
	v_bfe_i32 v48, v38, 4, 1
	v_bfe_i32 v47, v47, 0, 1
	v_lshlrev_b16_e32 v49, 8, v49
	v_lshlrev_b16_e32 v50, 8, v50
	v_lshlrev_b16_e32 v42, 8, v42
	v_or_b32_sdwa v51, v48, v49 dst_sel:DWORD dst_unused:UNUSED_PAD src0_sel:BYTE_0 src1_sel:DWORD
	v_or_b32_sdwa v52, v47, v50 dst_sel:WORD_1 dst_unused:UNUSED_PAD src0_sel:BYTE_0 src1_sel:DWORD
	v_lshrrev_b32_e32 v39, 16, v38
	v_or_b32_sdwa v51, v51, v52 dst_sel:DWORD dst_unused:UNUSED_PAD src0_sel:WORD_0 src1_sel:DWORD
	v_lshrrev_b32_e32 v40, 24, v38
	s_waitcnt vmcnt(1)
	v_xor_b32_e32 v35, v35, v46
	v_and_b32_e32 v46, 0xffffff00, v35
	v_sub_i16 v44, v46, v44 clamp
	v_lshlrev_b16_e32 v46, 8, v35
	v_and_b32_e32 v44, 0xffffff00, v44
	v_sub_i16 v43, v46, v43 clamp
	v_or_b32_sdwa v43, v43, v44 dst_sel:DWORD dst_unused:UNUSED_PAD src0_sel:BYTE_1 src1_sel:DWORD
	v_and_b32_sdwa v44, v35, s17 dst_sel:DWORD dst_unused:UNUSED_PAD src0_sel:WORD_1 src1_sel:DWORD
	v_sub_i16 v44, v44, v45 clamp
	v_lshlrev_b16_sdwa v35, v34, v35 dst_sel:DWORD dst_unused:UNUSED_PAD src0_sel:DWORD src1_sel:WORD_1
	v_and_b32_e32 v44, 0xffffff00, v44
	v_sub_i16 v35, v35, v42 clamp
	v_or_b32_sdwa v35, v35, v44 dst_sel:WORD_1 dst_unused:UNUSED_PAD src0_sel:BYTE_1 src1_sel:DWORD
	v_lshlrev_b16_e32 v44, 8, v48
	v_or_b32_sdwa v42, v43, v35 dst_sel:DWORD dst_unused:UNUSED_PAD src0_sel:WORD_0 src1_sel:DWORD
	s_waitcnt vmcnt(0)
	v_xor_b32_e32 v35, v41, v51
	v_and_b32_e32 v41, 0xffffff00, v35
	v_sub_i16 v41, v41, v49 clamp
	v_lshlrev_b16_e32 v43, 8, v35
	v_and_b32_e32 v41, 0xffffff00, v41
	v_sub_i16 v43, v43, v44 clamp
	v_or_b32_sdwa v41, v43, v41 dst_sel:DWORD dst_unused:UNUSED_PAD src0_sel:BYTE_1 src1_sel:DWORD
	v_and_b32_sdwa v43, v35, s17 dst_sel:DWORD dst_unused:UNUSED_PAD src0_sel:WORD_1 src1_sel:DWORD
	v_sub_i16 v43, v43, v50 clamp
	v_lshlrev_b16_sdwa v35, v34, v35 dst_sel:DWORD dst_unused:UNUSED_PAD src0_sel:DWORD src1_sel:WORD_1
	v_lshlrev_b16_e32 v44, 8, v47
	v_and_b32_e32 v43, 0xffffff00, v43
	v_sub_i16 v35, v35, v44 clamp
	v_or_b32_sdwa v35, v35, v43 dst_sel:WORD_1 dst_unused:UNUSED_PAD src0_sel:BYTE_1 src1_sel:DWORD
	v_lshlrev_b16_e32 v44, 7, v38
	v_or_b32_sdwa v41, v41, v35 dst_sel:DWORD dst_unused:UNUSED_PAD src0_sel:WORD_0 src1_sel:DWORD
	v_mov_b32_e32 v35, 0
	v_dot4c_i32_i8_e32 v35, v42, v5
	v_dot4c_i32_i8_e32 v35, v41, v6
	v_bfe_u32 v41, v24, 16, 8
	v_lshlrev_b32_e32 v42, 6, v36
	v_and_or_b32 v41, v42, s16, v41
	v_lshlrev_b32_e32 v41, 2, v41
	global_load_dword v41, v41, s[12:13]
	v_lshrrev_b32_e32 v24, 24, v24
	v_lshlrev_b32_e32 v42, 5, v36
	v_and_or_b32 v24, v42, s16, v24
	v_lshlrev_b32_e32 v24, 2, v24
	global_load_dword v24, v24, s[12:13]
	v_lshrrev_b16_e32 v42, 8, v38
	v_bfe_u32 v46, v42, 3, 1
	v_lshlrev_b32_e32 v43, 5, v42
	v_lshrrev_b32_e32 v45, 1, v42
	v_cmp_ne_u16_e32 vcc, 0, v46
	v_bfe_i32 v45, v45, 0, 1
	v_lshrrev_b16_e32 v43, 7, v43
	v_cndmask_b32_e64 v46, 0, -1, vcc
	v_ashrrev_i16_e32 v44, 15, v44
	v_bfe_i32 v43, v43, 0, 1
	v_lshlrev_b16_e32 v45, 8, v45
	v_lshlrev_b16_e32 v46, 8, v46
	v_or_b32_sdwa v47, v44, v45 dst_sel:DWORD dst_unused:UNUSED_PAD src0_sel:BYTE_0 src1_sel:DWORD
	v_or_b32_sdwa v48, v43, v46 dst_sel:WORD_1 dst_unused:UNUSED_PAD src0_sel:BYTE_0 src1_sel:DWORD
	v_bfe_i32 v49, v42, 4, 1
	v_or_b32_sdwa v47, v47, v48 dst_sel:DWORD dst_unused:UNUSED_PAD src0_sel:WORD_0 src1_sel:DWORD
	v_lshlrev_b32_e32 v48, 1, v42
	v_lshrrev_b32_e32 v50, 5, v42
	v_lshrrev_b32_e32 v42, 7, v42
	v_cmp_ne_u16_e32 vcc, 0, v42
	v_bfe_i32 v50, v50, 0, 1
	v_lshrrev_b16_e32 v48, 7, v48
	v_cndmask_b32_e64 v42, 0, -1, vcc
	v_lshlrev_b16_e32 v44, 8, v44
	v_bfe_i32 v48, v48, 0, 1
	v_lshlrev_b16_e32 v50, 8, v50
	v_lshlrev_b16_e32 v42, 8, v42
	v_or_b32_sdwa v51, v49, v50 dst_sel:DWORD dst_unused:UNUSED_PAD src0_sel:BYTE_0 src1_sel:DWORD
	v_or_b32_sdwa v52, v48, v42 dst_sel:WORD_1 dst_unused:UNUSED_PAD src0_sel:BYTE_0 src1_sel:DWORD
	v_lshlrev_b16_e32 v43, 8, v43
	v_or_b32_sdwa v51, v51, v52 dst_sel:DWORD dst_unused:UNUSED_PAD src0_sel:WORD_0 src1_sel:DWORD
	s_waitcnt vmcnt(1)
	v_xor_b32_e32 v41, v41, v47
	v_and_b32_e32 v47, 0xffffff00, v41
	v_sub_i16 v45, v47, v45 clamp
	v_lshlrev_b16_e32 v47, 8, v41
	v_and_b32_e32 v45, 0xffffff00, v45
	v_sub_i16 v44, v47, v44 clamp
	v_or_b32_sdwa v44, v44, v45 dst_sel:DWORD dst_unused:UNUSED_PAD src0_sel:BYTE_1 src1_sel:DWORD
	v_and_b32_sdwa v45, v41, s17 dst_sel:DWORD dst_unused:UNUSED_PAD src0_sel:WORD_1 src1_sel:DWORD
	v_sub_i16 v45, v45, v46 clamp
	v_lshlrev_b16_sdwa v41, v34, v41 dst_sel:DWORD dst_unused:UNUSED_PAD src0_sel:DWORD src1_sel:WORD_1
	v_and_b32_e32 v45, 0xffffff00, v45
	v_sub_i16 v41, v41, v43 clamp
	s_waitcnt vmcnt(0)
	v_xor_b32_e32 v24, v24, v51
	v_or_b32_sdwa v41, v41, v45 dst_sel:WORD_1 dst_unused:UNUSED_PAD src0_sel:BYTE_1 src1_sel:DWORD
	v_and_b32_e32 v43, 0xffffff00, v24
	v_or_b32_sdwa v41, v44, v41 dst_sel:DWORD dst_unused:UNUSED_PAD src0_sel:WORD_0 src1_sel:DWORD
	v_sub_i16 v43, v43, v50 clamp
	v_lshlrev_b16_e32 v44, 8, v24
	v_lshlrev_b16_e32 v45, 8, v49
	v_and_b32_e32 v43, 0xffffff00, v43
	v_sub_i16 v44, v44, v45 clamp
	v_or_b32_sdwa v43, v44, v43 dst_sel:DWORD dst_unused:UNUSED_PAD src0_sel:BYTE_1 src1_sel:DWORD
	v_and_b32_sdwa v44, v24, s17 dst_sel:DWORD dst_unused:UNUSED_PAD src0_sel:WORD_1 src1_sel:DWORD
	v_sub_i16 v42, v44, v42 clamp
	v_lshlrev_b16_sdwa v24, v34, v24 dst_sel:DWORD dst_unused:UNUSED_PAD src0_sel:DWORD src1_sel:WORD_1
	v_lshlrev_b16_e32 v44, 8, v48
	v_and_b32_e32 v42, 0xffffff00, v42
	v_sub_i16 v24, v24, v44 clamp
	v_or_b32_sdwa v24, v24, v42 dst_sel:WORD_1 dst_unused:UNUSED_PAD src0_sel:BYTE_1 src1_sel:DWORD
	v_dot4c_i32_i8_e32 v35, v41, v7
	v_or_b32_sdwa v24, v43, v24 dst_sel:DWORD dst_unused:UNUSED_PAD src0_sel:WORD_0 src1_sel:DWORD
	v_dot4c_i32_i8_e32 v35, v24, v0
	v_and_b32_e32 v24, 0xff, v25
	v_lshlrev_b32_e32 v41, 4, v36
	v_and_or_b32 v24, v41, s16, v24
	v_lshlrev_b32_e32 v24, 2, v24
	global_load_dword v24, v24, s[12:13]
	v_lshrrev_b16_e32 v41, 8, v25
	v_lshlrev_b32_e32 v42, 3, v36
	v_and_or_b32 v41, v42, s16, v41
	v_lshlrev_b32_e32 v41, 2, v41
	global_load_dword v41, v41, s[12:13]
	v_bfe_u32 v45, v38, 19, 1
	v_lshlrev_b32_sdwa v42, v32, v38 dst_sel:DWORD dst_unused:UNUSED_PAD src0_sel:DWORD src1_sel:BYTE_2
	v_bfe_u32 v44, v39, 1, 7
	v_cmp_ne_u16_e32 vcc, 0, v45
	v_and_b32_e32 v43, 1, v39
	v_bfe_i32 v44, v44, 0, 1
	v_lshrrev_b16_e32 v42, 7, v42
	v_cndmask_b32_e64 v45, 0, -1, vcc
	v_sub_u16_e32 v43, 0, v43
	v_bfe_i32 v42, v42, 0, 1
	v_lshlrev_b16_e32 v44, 8, v44
	v_lshlrev_b16_e32 v45, 8, v45
	v_or_b32_sdwa v46, v43, v44 dst_sel:DWORD dst_unused:UNUSED_PAD src0_sel:BYTE_0 src1_sel:DWORD
	v_or_b32_sdwa v47, v42, v45 dst_sel:WORD_1 dst_unused:UNUSED_PAD src0_sel:BYTE_0 src1_sel:DWORD
	v_bfe_u32 v50, v39, 7, 1
	v_or_b32_sdwa v46, v46, v47 dst_sel:DWORD dst_unused:UNUSED_PAD src0_sel:WORD_0 src1_sel:DWORD
	v_lshlrev_b32_sdwa v47, v33, v38 dst_sel:DWORD dst_unused:UNUSED_PAD src0_sel:DWORD src1_sel:BYTE_2
	v_bfe_u32 v49, v39, 5, 3
	v_cmp_ne_u16_e32 vcc, 0, v50
	v_bfe_i32 v49, v49, 0, 1
	v_lshrrev_b16_e32 v47, 7, v47
	v_cndmask_b32_e64 v50, 0, -1, vcc
	v_lshlrev_b16_e32 v43, 8, v43
	v_bfe_i32 v48, v38, 20, 1
	v_bfe_i32 v47, v47, 0, 1
	v_lshlrev_b16_e32 v49, 8, v49
	v_lshlrev_b16_e32 v50, 8, v50
	v_or_b32_sdwa v51, v48, v49 dst_sel:DWORD dst_unused:UNUSED_PAD src0_sel:BYTE_0 src1_sel:DWORD
	v_or_b32_sdwa v52, v47, v50 dst_sel:WORD_1 dst_unused:UNUSED_PAD src0_sel:BYTE_0 src1_sel:DWORD
	v_lshlrev_b16_e32 v42, 8, v42
	v_or_b32_sdwa v51, v51, v52 dst_sel:DWORD dst_unused:UNUSED_PAD src0_sel:WORD_0 src1_sel:DWORD
	v_lshlrev_b16_e32 v39, 7, v39
	v_ashrrev_i16_e32 v39, 15, v39
	s_waitcnt vmcnt(1)
	v_xor_b32_e32 v24, v24, v46
	v_and_b32_e32 v46, 0xffffff00, v24
	v_sub_i16 v44, v46, v44 clamp
	v_lshlrev_b16_e32 v46, 8, v24
	v_and_b32_e32 v44, 0xffffff00, v44
	v_sub_i16 v43, v46, v43 clamp
	v_or_b32_sdwa v43, v43, v44 dst_sel:DWORD dst_unused:UNUSED_PAD src0_sel:BYTE_1 src1_sel:DWORD
	v_and_b32_sdwa v44, v24, s17 dst_sel:DWORD dst_unused:UNUSED_PAD src0_sel:WORD_1 src1_sel:DWORD
	v_sub_i16 v44, v44, v45 clamp
	v_lshlrev_b16_sdwa v24, v34, v24 dst_sel:DWORD dst_unused:UNUSED_PAD src0_sel:DWORD src1_sel:WORD_1
	v_and_b32_e32 v44, 0xffffff00, v44
	v_sub_i16 v24, v24, v42 clamp
	s_waitcnt vmcnt(0)
	v_xor_b32_e32 v41, v41, v51
	v_or_b32_sdwa v24, v24, v44 dst_sel:WORD_1 dst_unused:UNUSED_PAD src0_sel:BYTE_1 src1_sel:DWORD
	v_and_b32_e32 v42, 0xffffff00, v41
	v_or_b32_sdwa v24, v43, v24 dst_sel:DWORD dst_unused:UNUSED_PAD src0_sel:WORD_0 src1_sel:DWORD
	v_sub_i16 v42, v42, v49 clamp
	v_lshlrev_b16_e32 v43, 8, v41
	v_lshlrev_b16_e32 v44, 8, v48
	v_and_b32_e32 v42, 0xffffff00, v42
	v_sub_i16 v43, v43, v44 clamp
	v_or_b32_sdwa v42, v43, v42 dst_sel:DWORD dst_unused:UNUSED_PAD src0_sel:BYTE_1 src1_sel:DWORD
	v_and_b32_sdwa v43, v41, s17 dst_sel:DWORD dst_unused:UNUSED_PAD src0_sel:WORD_1 src1_sel:DWORD
	v_sub_i16 v43, v43, v50 clamp
	v_lshlrev_b16_sdwa v41, v34, v41 dst_sel:DWORD dst_unused:UNUSED_PAD src0_sel:DWORD src1_sel:WORD_1
	v_lshlrev_b16_e32 v44, 8, v47
	v_and_b32_e32 v43, 0xffffff00, v43
	v_sub_i16 v41, v41, v44 clamp
	v_or_b32_sdwa v41, v41, v43 dst_sel:WORD_1 dst_unused:UNUSED_PAD src0_sel:BYTE_1 src1_sel:DWORD
	v_dot4c_i32_i8_e32 v35, v24, v1
	v_or_b32_sdwa v41, v42, v41 dst_sel:DWORD dst_unused:UNUSED_PAD src0_sel:WORD_0 src1_sel:DWORD
	v_dot4c_i32_i8_e32 v35, v41, v2
	v_bfe_u32 v24, v25, 16, 8
	v_lshlrev_b32_e32 v41, 2, v36
	v_and_or_b32 v24, v41, s16, v24
	v_lshlrev_b32_e32 v24, 2, v24
	global_load_dword v24, v24, s[12:13]
	v_lshrrev_b32_e32 v25, 24, v25
	v_lshlrev_b32_e32 v36, 1, v36
	v_and_or_b32 v25, v36, s16, v25
	v_lshlrev_b32_e32 v25, 2, v25
	global_load_dword v25, v25, s[12:13]
	v_bfe_u32 v42, v38, 27, 1
	v_lshlrev_b32_e32 v36, 5, v40
	v_lshrrev_b32_e32 v41, 25, v38
	v_cmp_ne_u16_e32 vcc, 0, v42
	v_bfe_i32 v41, v41, 0, 1
	v_lshrrev_b16_e32 v36, 7, v36
	v_cndmask_b32_e64 v42, 0, -1, vcc
	v_bfe_i32 v36, v36, 0, 1
	v_lshlrev_b16_e32 v41, 8, v41
	v_lshlrev_b16_e32 v42, 8, v42
	v_or_b32_sdwa v43, v39, v41 dst_sel:DWORD dst_unused:UNUSED_PAD src0_sel:BYTE_0 src1_sel:DWORD
	v_or_b32_sdwa v44, v36, v42 dst_sel:WORD_1 dst_unused:UNUSED_PAD src0_sel:BYTE_0 src1_sel:DWORD
	v_lshrrev_b32_e32 v45, 29, v38
	v_or_b32_sdwa v43, v43, v44 dst_sel:DWORD dst_unused:UNUSED_PAD src0_sel:WORD_0 src1_sel:DWORD
	v_lshrrev_b32_e32 v38, 31, v38
	v_lshlrev_b32_e32 v44, 1, v40
	v_cmp_ne_u16_e32 vcc, 0, v38
	v_bfe_i32 v45, v45, 0, 1
	v_lshrrev_b16_e32 v44, 7, v44
	v_cndmask_b32_e64 v38, 0, -1, vcc
	v_lshlrev_b16_e32 v39, 8, v39
	v_bfe_i32 v40, v40, 4, 1
	v_bfe_i32 v44, v44, 0, 1
	v_lshlrev_b16_e32 v45, 8, v45
	v_lshlrev_b16_e32 v38, 8, v38
	v_or_b32_sdwa v46, v40, v45 dst_sel:DWORD dst_unused:UNUSED_PAD src0_sel:BYTE_0 src1_sel:DWORD
	v_or_b32_sdwa v47, v44, v38 dst_sel:WORD_1 dst_unused:UNUSED_PAD src0_sel:BYTE_0 src1_sel:DWORD
	v_lshlrev_b16_e32 v36, 8, v36
	v_or_b32_sdwa v46, v46, v47 dst_sel:DWORD dst_unused:UNUSED_PAD src0_sel:WORD_0 src1_sel:DWORD
	v_lshlrev_b16_e32 v40, 8, v40
	s_waitcnt vmcnt(1)
	v_xor_b32_e32 v24, v24, v43
	v_and_b32_e32 v43, 0xffffff00, v24
	v_sub_i16 v41, v43, v41 clamp
	v_lshlrev_b16_e32 v43, 8, v24
	v_and_b32_e32 v41, 0xffffff00, v41
	v_sub_i16 v39, v43, v39 clamp
	v_or_b32_sdwa v39, v39, v41 dst_sel:DWORD dst_unused:UNUSED_PAD src0_sel:BYTE_1 src1_sel:DWORD
	v_and_b32_sdwa v41, v24, s17 dst_sel:DWORD dst_unused:UNUSED_PAD src0_sel:WORD_1 src1_sel:DWORD
	v_sub_i16 v41, v41, v42 clamp
	v_lshlrev_b16_sdwa v24, v34, v24 dst_sel:DWORD dst_unused:UNUSED_PAD src0_sel:DWORD src1_sel:WORD_1
	v_and_b32_e32 v41, 0xffffff00, v41
	v_sub_i16 v24, v24, v36 clamp
	s_waitcnt vmcnt(0)
	v_xor_b32_e32 v25, v25, v46
	v_or_b32_sdwa v24, v24, v41 dst_sel:WORD_1 dst_unused:UNUSED_PAD src0_sel:BYTE_1 src1_sel:DWORD
	v_and_b32_e32 v36, 0xffffff00, v25
	v_or_b32_sdwa v24, v39, v24 dst_sel:DWORD dst_unused:UNUSED_PAD src0_sel:WORD_0 src1_sel:DWORD
	v_sub_i16 v36, v36, v45 clamp
	v_lshlrev_b16_e32 v39, 8, v25
	v_and_b32_e32 v36, 0xffffff00, v36
	v_sub_i16 v39, v39, v40 clamp
	v_or_b32_sdwa v36, v39, v36 dst_sel:DWORD dst_unused:UNUSED_PAD src0_sel:BYTE_1 src1_sel:DWORD
	v_and_b32_sdwa v39, v25, s17 dst_sel:DWORD dst_unused:UNUSED_PAD src0_sel:WORD_1 src1_sel:DWORD
	v_sub_i16 v38, v39, v38 clamp
	v_lshlrev_b16_sdwa v25, v34, v25 dst_sel:DWORD dst_unused:UNUSED_PAD src0_sel:DWORD src1_sel:WORD_1
	v_lshlrev_b16_e32 v39, 8, v44
	v_and_b32_e32 v38, 0xffffff00, v38
	v_sub_i16 v25, v25, v39 clamp
	v_or_b32_sdwa v25, v25, v38 dst_sel:WORD_1 dst_unused:UNUSED_PAD src0_sel:BYTE_1 src1_sel:DWORD
	v_dot4c_i32_i8_e32 v35, v24, v3
	v_or_b32_sdwa v25, v36, v25 dst_sel:DWORD dst_unused:UNUSED_PAD src0_sel:WORD_0 src1_sel:DWORD
	v_dot4c_i32_i8_e32 v35, v25, v37
	v_lshl_add_u64 v[24:25], v[26:27], 0, v[10:11]
	global_load_ushort v36, v[26:27], off
	v_add_u32_e32 v26, s21, v31
	v_mad_i64_i32 v[26:27], s[22:23], v26, s18, v[18:19]
	v_lshl_add_u64 v[38:39], v[26:27], 0, v[20:21]
	global_load_dwordx2 v[40:41], v[38:39], off offset:2
	v_lshl_add_u64 v[38:39], v[26:27], 0, v[8:9]
	global_load_ubyte v42, v[38:39], off offset:66
	v_lshl_add_u64 v[38:39], v[26:27], 0, v[22:23]
	global_load_dword v39, v[38:39], off offset:74
	v_add_u32_e32 v31, 16, v31
	s_waitcnt vmcnt(2)
	v_and_b32_e32 v38, 0xff, v40
	s_waitcnt vmcnt(1)
	v_lshlrev_b32_e32 v45, 8, v42
	v_and_or_b32 v38, v45, s16, v38
	v_lshlrev_b32_e32 v38, 2, v38
	global_load_dword v38, v38, s[12:13]
	v_lshrrev_b16_e32 v45, 8, v40
	v_lshlrev_b32_e32 v46, 7, v42
	v_and_or_b32 v45, v46, s16, v45
	v_lshlrev_b32_e32 v45, 2, v45
	global_load_dword v45, v45, s[12:13]
	s_waitcnt vmcnt(2)
	v_bfe_u32 v49, v39, 3, 1
	v_lshlrev_b32_sdwa v46, v32, v39 dst_sel:DWORD dst_unused:UNUSED_PAD src0_sel:DWORD src1_sel:BYTE_0
	v_bfe_u32 v48, v39, 1, 7
	v_cmp_ne_u16_e32 vcc, 0, v49
	v_and_b32_e32 v47, 1, v39
	v_bfe_i32 v48, v48, 0, 1
	v_lshrrev_b16_e32 v46, 7, v46
	v_cndmask_b32_e64 v49, 0, -1, vcc
	v_sub_u16_e32 v47, 0, v47
	v_bfe_i32 v46, v46, 0, 1
	v_lshlrev_b16_e32 v48, 8, v48
	v_lshlrev_b16_e32 v49, 8, v49
	v_or_b32_sdwa v50, v47, v48 dst_sel:DWORD dst_unused:UNUSED_PAD src0_sel:BYTE_0 src1_sel:DWORD
	v_or_b32_sdwa v51, v46, v49 dst_sel:WORD_1 dst_unused:UNUSED_PAD src0_sel:BYTE_0 src1_sel:DWORD
	v_bfe_u32 v54, v39, 7, 1
	v_or_b32_sdwa v50, v50, v51 dst_sel:DWORD dst_unused:UNUSED_PAD src0_sel:WORD_0 src1_sel:DWORD
	v_lshlrev_b16_e32 v47, 8, v47
	v_lshlrev_b32_sdwa v51, v33, v39 dst_sel:DWORD dst_unused:UNUSED_PAD src0_sel:DWORD src1_sel:BYTE_0
	v_bfe_u32 v53, v39, 5, 3
	v_cmp_ne_u16_e32 vcc, 0, v54
	v_bfe_i32 v53, v53, 0, 1
	v_lshrrev_b16_e32 v51, 7, v51
	v_cndmask_b32_e64 v54, 0, -1, vcc
	v_bfe_i32 v52, v39, 4, 1
	v_bfe_i32 v51, v51, 0, 1
	v_lshlrev_b16_e32 v53, 8, v53
	v_lshlrev_b16_e32 v54, 8, v54
	;; [unrolled: 1-line block ×3, first 2 shown]
	v_or_b32_sdwa v55, v52, v53 dst_sel:DWORD dst_unused:UNUSED_PAD src0_sel:BYTE_0 src1_sel:DWORD
	v_or_b32_sdwa v56, v51, v54 dst_sel:WORD_1 dst_unused:UNUSED_PAD src0_sel:BYTE_0 src1_sel:DWORD
	v_lshrrev_b32_e32 v43, 16, v39
	v_or_b32_sdwa v55, v55, v56 dst_sel:DWORD dst_unused:UNUSED_PAD src0_sel:WORD_0 src1_sel:DWORD
	v_lshrrev_b32_e32 v44, 24, v39
	s_waitcnt vmcnt(1)
	v_xor_b32_e32 v38, v38, v50
	v_and_b32_e32 v50, 0xffffff00, v38
	v_sub_i16 v48, v50, v48 clamp
	v_lshlrev_b16_e32 v50, 8, v38
	v_and_b32_e32 v48, 0xffffff00, v48
	v_sub_i16 v47, v50, v47 clamp
	v_or_b32_sdwa v47, v47, v48 dst_sel:DWORD dst_unused:UNUSED_PAD src0_sel:BYTE_1 src1_sel:DWORD
	v_and_b32_sdwa v48, v38, s17 dst_sel:DWORD dst_unused:UNUSED_PAD src0_sel:WORD_1 src1_sel:DWORD
	v_sub_i16 v48, v48, v49 clamp
	v_lshlrev_b16_sdwa v38, v34, v38 dst_sel:DWORD dst_unused:UNUSED_PAD src0_sel:DWORD src1_sel:WORD_1
	v_and_b32_e32 v48, 0xffffff00, v48
	v_sub_i16 v38, v38, v46 clamp
	v_or_b32_sdwa v38, v38, v48 dst_sel:WORD_1 dst_unused:UNUSED_PAD src0_sel:BYTE_1 src1_sel:DWORD
	v_lshlrev_b16_e32 v48, 8, v52
	v_or_b32_sdwa v46, v47, v38 dst_sel:DWORD dst_unused:UNUSED_PAD src0_sel:WORD_0 src1_sel:DWORD
	s_waitcnt vmcnt(0)
	v_xor_b32_e32 v38, v45, v55
	v_and_b32_e32 v45, 0xffffff00, v38
	v_sub_i16 v45, v45, v53 clamp
	v_lshlrev_b16_e32 v47, 8, v38
	v_and_b32_e32 v45, 0xffffff00, v45
	v_sub_i16 v47, v47, v48 clamp
	v_or_b32_sdwa v45, v47, v45 dst_sel:DWORD dst_unused:UNUSED_PAD src0_sel:BYTE_1 src1_sel:DWORD
	v_and_b32_sdwa v47, v38, s17 dst_sel:DWORD dst_unused:UNUSED_PAD src0_sel:WORD_1 src1_sel:DWORD
	v_sub_i16 v47, v47, v54 clamp
	v_lshlrev_b16_sdwa v38, v34, v38 dst_sel:DWORD dst_unused:UNUSED_PAD src0_sel:DWORD src1_sel:WORD_1
	v_lshlrev_b16_e32 v48, 8, v51
	v_and_b32_e32 v47, 0xffffff00, v47
	v_sub_i16 v38, v38, v48 clamp
	v_or_b32_sdwa v38, v38, v47 dst_sel:WORD_1 dst_unused:UNUSED_PAD src0_sel:BYTE_1 src1_sel:DWORD
	s_nop 0
	v_or_b32_sdwa v45, v45, v38 dst_sel:DWORD dst_unused:UNUSED_PAD src0_sel:WORD_0 src1_sel:DWORD
	v_mov_b32_e32 v38, 0
	v_dot4c_i32_i8_e32 v38, v46, v5
	v_dot4c_i32_i8_e32 v38, v45, v6
	v_bfe_u32 v5, v40, 16, 8
	v_lshlrev_b32_e32 v6, 6, v42
	v_and_or_b32 v5, v6, s16, v5
	v_lshlrev_b32_e32 v5, 2, v5
	global_load_dword v5, v5, s[12:13]
	v_lshrrev_b32_e32 v6, 24, v40
	v_lshlrev_b32_e32 v40, 5, v42
	v_and_or_b32 v6, v40, s16, v6
	v_lshlrev_b32_e32 v6, 2, v6
	global_load_dword v6, v6, s[12:13]
	v_lshrrev_b16_e32 v40, 8, v39
	v_bfe_u32 v48, v40, 3, 1
	v_lshlrev_b32_e32 v45, 5, v40
	v_lshrrev_b32_e32 v47, 1, v40
	v_cmp_ne_u16_e32 vcc, 0, v48
	v_lshlrev_b16_e32 v46, 7, v39
	v_bfe_i32 v47, v47, 0, 1
	v_lshrrev_b16_e32 v45, 7, v45
	v_cndmask_b32_e64 v48, 0, -1, vcc
	v_ashrrev_i16_e32 v46, 15, v46
	v_bfe_i32 v45, v45, 0, 1
	v_lshlrev_b16_e32 v47, 8, v47
	v_lshlrev_b16_e32 v48, 8, v48
	v_or_b32_sdwa v49, v46, v47 dst_sel:DWORD dst_unused:UNUSED_PAD src0_sel:BYTE_0 src1_sel:DWORD
	v_or_b32_sdwa v50, v45, v48 dst_sel:WORD_1 dst_unused:UNUSED_PAD src0_sel:BYTE_0 src1_sel:DWORD
	v_bfe_i32 v51, v40, 4, 1
	v_or_b32_sdwa v49, v49, v50 dst_sel:DWORD dst_unused:UNUSED_PAD src0_sel:WORD_0 src1_sel:DWORD
	v_lshlrev_b32_e32 v50, 1, v40
	v_lshrrev_b32_e32 v52, 5, v40
	v_lshrrev_b32_e32 v40, 7, v40
	v_cmp_ne_u16_e32 vcc, 0, v40
	v_bfe_i32 v52, v52, 0, 1
	v_lshrrev_b16_e32 v50, 7, v50
	v_cndmask_b32_e64 v40, 0, -1, vcc
	v_lshlrev_b16_e32 v46, 8, v46
	v_bfe_i32 v50, v50, 0, 1
	v_lshlrev_b16_e32 v52, 8, v52
	v_lshlrev_b16_e32 v40, 8, v40
	v_or_b32_sdwa v53, v51, v52 dst_sel:DWORD dst_unused:UNUSED_PAD src0_sel:BYTE_0 src1_sel:DWORD
	v_or_b32_sdwa v54, v50, v40 dst_sel:WORD_1 dst_unused:UNUSED_PAD src0_sel:BYTE_0 src1_sel:DWORD
	v_lshlrev_b16_e32 v45, 8, v45
	v_or_b32_sdwa v53, v53, v54 dst_sel:DWORD dst_unused:UNUSED_PAD src0_sel:WORD_0 src1_sel:DWORD
	s_waitcnt vmcnt(1)
	v_xor_b32_e32 v5, v5, v49
	v_and_b32_e32 v49, 0xffffff00, v5
	v_sub_i16 v47, v49, v47 clamp
	v_lshlrev_b16_e32 v49, 8, v5
	v_and_b32_e32 v47, 0xffffff00, v47
	v_sub_i16 v46, v49, v46 clamp
	v_or_b32_sdwa v46, v46, v47 dst_sel:DWORD dst_unused:UNUSED_PAD src0_sel:BYTE_1 src1_sel:DWORD
	v_and_b32_sdwa v47, v5, s17 dst_sel:DWORD dst_unused:UNUSED_PAD src0_sel:WORD_1 src1_sel:DWORD
	v_sub_i16 v47, v47, v48 clamp
	v_lshlrev_b16_sdwa v5, v34, v5 dst_sel:DWORD dst_unused:UNUSED_PAD src0_sel:DWORD src1_sel:WORD_1
	v_and_b32_e32 v47, 0xffffff00, v47
	v_sub_i16 v5, v5, v45 clamp
	s_waitcnt vmcnt(0)
	v_xor_b32_e32 v6, v6, v53
	v_or_b32_sdwa v5, v5, v47 dst_sel:WORD_1 dst_unused:UNUSED_PAD src0_sel:BYTE_1 src1_sel:DWORD
	v_and_b32_e32 v45, 0xffffff00, v6
	v_or_b32_sdwa v5, v46, v5 dst_sel:DWORD dst_unused:UNUSED_PAD src0_sel:WORD_0 src1_sel:DWORD
	v_sub_i16 v45, v45, v52 clamp
	v_lshlrev_b16_e32 v46, 8, v6
	v_lshlrev_b16_e32 v47, 8, v51
	v_and_b32_e32 v45, 0xffffff00, v45
	v_sub_i16 v46, v46, v47 clamp
	v_or_b32_sdwa v45, v46, v45 dst_sel:DWORD dst_unused:UNUSED_PAD src0_sel:BYTE_1 src1_sel:DWORD
	v_and_b32_sdwa v46, v6, s17 dst_sel:DWORD dst_unused:UNUSED_PAD src0_sel:WORD_1 src1_sel:DWORD
	v_sub_i16 v40, v46, v40 clamp
	v_lshlrev_b16_sdwa v6, v34, v6 dst_sel:DWORD dst_unused:UNUSED_PAD src0_sel:DWORD src1_sel:WORD_1
	v_lshlrev_b16_e32 v46, 8, v50
	v_and_b32_e32 v40, 0xffffff00, v40
	v_sub_i16 v6, v6, v46 clamp
	v_or_b32_sdwa v6, v6, v40 dst_sel:WORD_1 dst_unused:UNUSED_PAD src0_sel:BYTE_1 src1_sel:DWORD
	v_dot4c_i32_i8_e32 v38, v5, v7
	v_or_b32_sdwa v6, v45, v6 dst_sel:DWORD dst_unused:UNUSED_PAD src0_sel:WORD_0 src1_sel:DWORD
	v_dot4c_i32_i8_e32 v38, v6, v0
	v_and_b32_e32 v0, 0xff, v41
	v_lshlrev_b32_e32 v5, 4, v42
	v_and_or_b32 v0, v5, s16, v0
	v_lshlrev_b32_e32 v0, 2, v0
	global_load_dword v0, v0, s[12:13]
	v_lshrrev_b16_e32 v5, 8, v41
	v_lshlrev_b32_e32 v6, 3, v42
	v_and_or_b32 v5, v6, s16, v5
	v_lshlrev_b32_e32 v5, 2, v5
	global_load_dword v5, v5, s[12:13]
	v_bfe_u32 v45, v39, 19, 1
	v_lshlrev_b32_sdwa v6, v32, v39 dst_sel:DWORD dst_unused:UNUSED_PAD src0_sel:DWORD src1_sel:BYTE_2
	v_bfe_u32 v40, v43, 1, 7
	v_cmp_ne_u16_e32 vcc, 0, v45
	v_and_b32_e32 v7, 1, v43
	v_bfe_i32 v40, v40, 0, 1
	v_lshrrev_b16_e32 v6, 7, v6
	v_cndmask_b32_e64 v45, 0, -1, vcc
	v_sub_u16_e32 v7, 0, v7
	v_bfe_i32 v6, v6, 0, 1
	v_lshlrev_b16_e32 v40, 8, v40
	v_lshlrev_b16_e32 v45, 8, v45
	v_or_b32_sdwa v46, v7, v40 dst_sel:DWORD dst_unused:UNUSED_PAD src0_sel:BYTE_0 src1_sel:DWORD
	v_or_b32_sdwa v47, v6, v45 dst_sel:WORD_1 dst_unused:UNUSED_PAD src0_sel:BYTE_0 src1_sel:DWORD
	v_bfe_u32 v50, v43, 7, 1
	v_or_b32_sdwa v46, v46, v47 dst_sel:DWORD dst_unused:UNUSED_PAD src0_sel:WORD_0 src1_sel:DWORD
	v_lshlrev_b32_sdwa v47, v33, v39 dst_sel:DWORD dst_unused:UNUSED_PAD src0_sel:DWORD src1_sel:BYTE_2
	v_bfe_u32 v49, v43, 5, 3
	v_cmp_ne_u16_e32 vcc, 0, v50
	v_bfe_i32 v49, v49, 0, 1
	v_lshrrev_b16_e32 v47, 7, v47
	v_cndmask_b32_e64 v50, 0, -1, vcc
	v_lshlrev_b16_e32 v7, 8, v7
	v_bfe_i32 v48, v39, 20, 1
	v_bfe_i32 v47, v47, 0, 1
	v_lshlrev_b16_e32 v49, 8, v49
	v_lshlrev_b16_e32 v50, 8, v50
	v_or_b32_sdwa v51, v48, v49 dst_sel:DWORD dst_unused:UNUSED_PAD src0_sel:BYTE_0 src1_sel:DWORD
	v_or_b32_sdwa v52, v47, v50 dst_sel:WORD_1 dst_unused:UNUSED_PAD src0_sel:BYTE_0 src1_sel:DWORD
	v_lshlrev_b16_e32 v6, 8, v6
	v_or_b32_sdwa v51, v51, v52 dst_sel:DWORD dst_unused:UNUSED_PAD src0_sel:WORD_0 src1_sel:DWORD
	s_waitcnt vmcnt(1)
	v_xor_b32_e32 v0, v0, v46
	v_and_b32_e32 v46, 0xffffff00, v0
	v_sub_i16 v40, v46, v40 clamp
	v_lshlrev_b16_e32 v46, 8, v0
	v_and_b32_e32 v40, 0xffffff00, v40
	v_sub_i16 v7, v46, v7 clamp
	v_or_b32_sdwa v7, v7, v40 dst_sel:DWORD dst_unused:UNUSED_PAD src0_sel:BYTE_1 src1_sel:DWORD
	v_and_b32_sdwa v40, v0, s17 dst_sel:DWORD dst_unused:UNUSED_PAD src0_sel:WORD_1 src1_sel:DWORD
	v_sub_i16 v40, v40, v45 clamp
	v_lshlrev_b16_sdwa v0, v34, v0 dst_sel:DWORD dst_unused:UNUSED_PAD src0_sel:DWORD src1_sel:WORD_1
	v_and_b32_e32 v40, 0xffffff00, v40
	v_sub_i16 v0, v0, v6 clamp
	s_waitcnt vmcnt(0)
	v_xor_b32_e32 v5, v5, v51
	v_or_b32_sdwa v0, v0, v40 dst_sel:WORD_1 dst_unused:UNUSED_PAD src0_sel:BYTE_1 src1_sel:DWORD
	v_and_b32_e32 v6, 0xffffff00, v5
	v_or_b32_sdwa v0, v7, v0 dst_sel:DWORD dst_unused:UNUSED_PAD src0_sel:WORD_0 src1_sel:DWORD
	v_sub_i16 v6, v6, v49 clamp
	v_lshlrev_b16_e32 v7, 8, v5
	v_lshlrev_b16_e32 v40, 8, v48
	v_and_b32_e32 v6, 0xffffff00, v6
	v_sub_i16 v7, v7, v40 clamp
	v_dot4c_i32_i8_e32 v38, v0, v1
	v_bfe_u32 v0, v41, 16, 8
	v_lshlrev_b32_e32 v1, 2, v42
	v_or_b32_sdwa v6, v7, v6 dst_sel:DWORD dst_unused:UNUSED_PAD src0_sel:BYTE_1 src1_sel:DWORD
	v_and_b32_sdwa v7, v5, s17 dst_sel:DWORD dst_unused:UNUSED_PAD src0_sel:WORD_1 src1_sel:DWORD
	v_and_or_b32 v0, v1, s16, v0
	v_sub_i16 v7, v7, v50 clamp
	v_lshlrev_b16_sdwa v5, v34, v5 dst_sel:DWORD dst_unused:UNUSED_PAD src0_sel:DWORD src1_sel:WORD_1
	v_lshlrev_b16_e32 v40, 8, v47
	v_lshlrev_b32_e32 v0, 2, v0
	v_and_b32_e32 v7, 0xffffff00, v7
	v_sub_i16 v5, v5, v40 clamp
	global_load_dword v0, v0, s[12:13]
	v_or_b32_sdwa v5, v5, v7 dst_sel:WORD_1 dst_unused:UNUSED_PAD src0_sel:BYTE_1 src1_sel:DWORD
	v_lshrrev_b32_e32 v1, 24, v41
	v_or_b32_sdwa v5, v6, v5 dst_sel:DWORD dst_unused:UNUSED_PAD src0_sel:WORD_0 src1_sel:DWORD
	v_dot4c_i32_i8_e32 v38, v5, v2
	v_lshlrev_b32_e32 v2, 1, v42
	v_and_or_b32 v1, v2, s16, v1
	v_lshlrev_b32_e32 v1, 2, v1
	global_load_dword v1, v1, s[12:13]
	v_bfe_u32 v7, v39, 27, 1
	v_lshlrev_b32_e32 v2, 5, v44
	v_lshrrev_b32_e32 v6, 25, v39
	v_cmp_ne_u16_e32 vcc, 0, v7
	v_lshlrev_b16_e32 v5, 7, v43
	v_bfe_i32 v6, v6, 0, 1
	v_lshrrev_b16_e32 v2, 7, v2
	v_cndmask_b32_e64 v7, 0, -1, vcc
	v_ashrrev_i16_e32 v5, 15, v5
	v_bfe_i32 v2, v2, 0, 1
	v_lshlrev_b16_e32 v6, 8, v6
	v_lshlrev_b16_e32 v7, 8, v7
	v_or_b32_sdwa v40, v5, v6 dst_sel:DWORD dst_unused:UNUSED_PAD src0_sel:BYTE_0 src1_sel:DWORD
	v_or_b32_sdwa v41, v2, v7 dst_sel:WORD_1 dst_unused:UNUSED_PAD src0_sel:BYTE_0 src1_sel:DWORD
	v_lshrrev_b32_e32 v43, 29, v39
	v_or_b32_sdwa v40, v40, v41 dst_sel:DWORD dst_unused:UNUSED_PAD src0_sel:WORD_0 src1_sel:DWORD
	v_lshrrev_b32_e32 v39, 31, v39
	v_lshlrev_b32_e32 v41, 1, v44
	v_cmp_ne_u16_e32 vcc, 0, v39
	v_bfe_i32 v43, v43, 0, 1
	v_lshrrev_b16_e32 v41, 7, v41
	v_cndmask_b32_e64 v39, 0, -1, vcc
	v_lshlrev_b16_e32 v5, 8, v5
	v_bfe_i32 v42, v44, 4, 1
	v_bfe_i32 v41, v41, 0, 1
	v_lshlrev_b16_e32 v43, 8, v43
	v_lshlrev_b16_e32 v39, 8, v39
	v_or_b32_sdwa v44, v42, v43 dst_sel:DWORD dst_unused:UNUSED_PAD src0_sel:BYTE_0 src1_sel:DWORD
	v_or_b32_sdwa v45, v41, v39 dst_sel:WORD_1 dst_unused:UNUSED_PAD src0_sel:BYTE_0 src1_sel:DWORD
	v_lshlrev_b16_e32 v2, 8, v2
	v_or_b32_sdwa v44, v44, v45 dst_sel:DWORD dst_unused:UNUSED_PAD src0_sel:WORD_0 src1_sel:DWORD
	v_cmp_le_u32_e32 vcc, s15, v31
	s_or_b64 s[4:5], vcc, s[4:5]
	s_waitcnt vmcnt(1)
	v_xor_b32_e32 v0, v0, v40
	v_and_b32_e32 v40, 0xffffff00, v0
	v_sub_i16 v6, v40, v6 clamp
	v_lshlrev_b16_e32 v40, 8, v0
	v_and_b32_e32 v6, 0xffffff00, v6
	v_sub_i16 v5, v40, v5 clamp
	v_or_b32_sdwa v5, v5, v6 dst_sel:DWORD dst_unused:UNUSED_PAD src0_sel:BYTE_1 src1_sel:DWORD
	v_and_b32_sdwa v6, v0, s17 dst_sel:DWORD dst_unused:UNUSED_PAD src0_sel:WORD_1 src1_sel:DWORD
	v_sub_i16 v6, v6, v7 clamp
	v_lshlrev_b16_sdwa v0, v34, v0 dst_sel:DWORD dst_unused:UNUSED_PAD src0_sel:DWORD src1_sel:WORD_1
	v_and_b32_e32 v6, 0xffffff00, v6
	v_sub_i16 v0, v0, v2 clamp
	s_waitcnt vmcnt(0)
	v_xor_b32_e32 v1, v1, v44
	v_or_b32_sdwa v0, v0, v6 dst_sel:WORD_1 dst_unused:UNUSED_PAD src0_sel:BYTE_1 src1_sel:DWORD
	v_and_b32_e32 v2, 0xffffff00, v1
	v_or_b32_sdwa v0, v5, v0 dst_sel:DWORD dst_unused:UNUSED_PAD src0_sel:WORD_0 src1_sel:DWORD
	v_sub_i16 v2, v2, v43 clamp
	v_lshlrev_b16_e32 v5, 8, v1
	v_lshlrev_b16_e32 v6, 8, v42
	v_and_b32_e32 v2, 0xffffff00, v2
	v_sub_i16 v5, v5, v6 clamp
	v_or_b32_sdwa v2, v5, v2 dst_sel:DWORD dst_unused:UNUSED_PAD src0_sel:BYTE_1 src1_sel:DWORD
	v_and_b32_sdwa v5, v1, s17 dst_sel:DWORD dst_unused:UNUSED_PAD src0_sel:WORD_1 src1_sel:DWORD
	v_sub_i16 v5, v5, v39 clamp
	v_lshlrev_b16_sdwa v1, v34, v1 dst_sel:DWORD dst_unused:UNUSED_PAD src0_sel:DWORD src1_sel:WORD_1
	v_lshlrev_b16_e32 v6, 8, v41
	v_and_b32_e32 v5, 0xffffff00, v5
	v_sub_i16 v1, v1, v6 clamp
	v_or_b32_sdwa v1, v1, v5 dst_sel:WORD_1 dst_unused:UNUSED_PAD src0_sel:BYTE_1 src1_sel:DWORD
	v_dot4c_i32_i8_e32 v38, v0, v3
	v_or_b32_sdwa v1, v2, v1 dst_sel:DWORD dst_unused:UNUSED_PAD src0_sel:WORD_0 src1_sel:DWORD
	v_dot4c_i32_i8_e32 v38, v1, v37
	v_lshl_add_u64 v[0:1], v[26:27], 0, v[10:11]
	global_load_ushort v2, v[26:27], off
	global_load_ubyte v3, v[24:25], off offset:106
	global_load_ubyte v5, v[0:1], off offset:106
	s_waitcnt vmcnt(1)
	v_lshrrev_b32_e32 v1, v12, v3
	s_waitcnt vmcnt(0)
	v_lshrrev_b32_e32 v0, v13, v5
	v_lshlrev_b32_e32 v1, 1, v1
	v_lshlrev_b32_e32 v0, 1, v0
	v_and_or_b32 v0, v0, 30, 1
	v_and_or_b32 v1, v1, 30, 1
	v_mul_lo_u32 v5, v35, v1
	v_mul_lo_u32 v3, v38, v0
	v_cvt_f32_f16_e32 v1, v2
	v_cvt_f32_f16_e32 v0, v36
	v_cvt_f32_i32_e32 v3, v3
	v_cvt_f32_i32_e32 v2, v5
	v_pk_mul_f32 v[0:1], v[4:5], v[0:1] op_sel_hi:[0,1]
	v_pk_fma_f32 v[14:15], v[0:1], v[2:3], v[14:15]
	s_andn2_b64 exec, exec, s[4:5]
	s_cbranch_execnz .LBB254_9
; %bb.10:
	s_or_b64 exec, exec, s[4:5]
	ds_write2_b32 v28, v14, v15 offset1:1
.LBB254_11:
	s_or_b64 exec, exec, s[0:1]
	v_cmp_eq_u32_e32 vcc, 0, v30
	v_cmp_ne_u32_e64 s[0:1], 0, v30
	v_lshlrev_b32_e32 v0, 2, v29
	s_and_saveexec_b64 s[4:5], s[0:1]
	s_cbranch_execz .LBB254_13
; %bb.12:
	v_lshl_or_b32 v1, v30, 9, v0
	v_add_u32_e32 v1, 0xfffffe00, v1
	ds_write2st64_b32 v1, v14, v15 offset1:1
.LBB254_13:
	s_or_b64 exec, exec, s[4:5]
	s_waitcnt lgkmcnt(0)
	s_barrier
	s_and_saveexec_b64 s[0:1], vcc
	s_cbranch_execz .LBB254_16
; %bb.14:
	v_mbcnt_lo_u32_b32 v1, -1, 0
	v_mbcnt_hi_u32_b32 v1, -1, v1
	v_and_b32_e32 v2, 64, v1
	v_add_u32_e32 v6, 64, v2
	ds_read2st64_b32 v[2:3], v0 offset1:1
	ds_read2_b32 v[4:5], v28 offset1:1
	v_xor_b32_e32 v7, 32, v1
	v_cmp_lt_i32_e32 vcc, v7, v6
	s_load_dword s0, s[2:3], 0x58
	s_mov_b32 s5, 0
	v_cndmask_b32_e32 v7, v1, v7, vcc
	v_lshlrev_b32_e32 v7, 2, v7
	s_waitcnt lgkmcnt(0)
	v_pk_add_f32 v[2:3], v[2:3], v[4:5]
	ds_bpermute_b32 v4, v7, v2
	ds_bpermute_b32 v5, v7, v3
	v_xor_b32_e32 v7, 16, v1
	v_cmp_lt_i32_e32 vcc, v7, v6
	s_waitcnt lgkmcnt(0)
	v_pk_add_f32 v[2:3], v[2:3], v[4:5]
	v_cndmask_b32_e32 v7, v1, v7, vcc
	v_lshlrev_b32_e32 v7, 2, v7
	ds_bpermute_b32 v4, v7, v2
	ds_bpermute_b32 v5, v7, v3
	v_xor_b32_e32 v7, 8, v1
	v_cmp_lt_i32_e32 vcc, v7, v6
	s_waitcnt lgkmcnt(0)
	v_pk_add_f32 v[2:3], v[2:3], v[4:5]
	v_cndmask_b32_e32 v7, v1, v7, vcc
	v_lshlrev_b32_e32 v7, 2, v7
	;; [unrolled: 8-line block ×5, first 2 shown]
	ds_bpermute_b32 v4, v1, v2
	ds_bpermute_b32 v5, v1, v3
	v_or_b32_e32 v1, s7, v29
	v_cmp_gt_u32_e32 vcc, 2, v29
	v_cmp_gt_u32_e64 s[0:1], s0, v1
	s_and_b64 s[0:1], vcc, s[0:1]
	s_waitcnt lgkmcnt(0)
	v_pk_add_f32 v[2:3], v[2:3], v[4:5]
	ds_write2_b32 v28, v2, v3 offset1:1
	s_and_b64 exec, exec, s[0:1]
	s_cbranch_execz .LBB254_16
; %bb.15:
	s_load_dwordx2 s[0:1], s[2:3], 0x38
	s_mul_i32 s2, s20, s10
	v_add_u32_e32 v1, v28, v0
	s_add_i32 s2, s2, s7
	s_mul_i32 s6, s6, s14
	ds_read_b32 v1, v1
	s_add_i32 s4, s2, s6
	s_lshl_b64 s[2:3], s[4:5], 2
	s_waitcnt lgkmcnt(0)
	s_add_u32 s0, s0, s2
	s_addc_u32 s1, s1, s3
	global_store_dword v0, v1, s[0:1]
.LBB254_16:
	s_endpgm
	.section	.rodata,"a",@progbits
	.p2align	6, 0x0
	.amdhsa_kernel _ZL13mul_mat_vec_qIL9ggml_type21ELi1ELb0ELb1EEvPKvS2_PKi31ggml_cuda_mm_fusion_args_devicePfj15HIP_vector_typeIjLj3EEjjjS8_jjjS8_jjjj
		.amdhsa_group_segment_fixed_size 1536
		.amdhsa_private_segment_fixed_size 0
		.amdhsa_kernarg_size 144
		.amdhsa_user_sgpr_count 4
		.amdhsa_user_sgpr_dispatch_ptr 1
		.amdhsa_user_sgpr_queue_ptr 0
		.amdhsa_user_sgpr_kernarg_segment_ptr 1
		.amdhsa_user_sgpr_dispatch_id 0
		.amdhsa_user_sgpr_kernarg_preload_length 0
		.amdhsa_user_sgpr_kernarg_preload_offset 0
		.amdhsa_user_sgpr_private_segment_size 0
		.amdhsa_uses_dynamic_stack 0
		.amdhsa_enable_private_segment 0
		.amdhsa_system_sgpr_workgroup_id_x 1
		.amdhsa_system_sgpr_workgroup_id_y 1
		.amdhsa_system_sgpr_workgroup_id_z 1
		.amdhsa_system_sgpr_workgroup_info 0
		.amdhsa_system_vgpr_workitem_id 2
		.amdhsa_next_free_vgpr 57
		.amdhsa_next_free_sgpr 24
		.amdhsa_accum_offset 60
		.amdhsa_reserve_vcc 1
		.amdhsa_float_round_mode_32 0
		.amdhsa_float_round_mode_16_64 0
		.amdhsa_float_denorm_mode_32 3
		.amdhsa_float_denorm_mode_16_64 3
		.amdhsa_dx10_clamp 1
		.amdhsa_ieee_mode 1
		.amdhsa_fp16_overflow 0
		.amdhsa_tg_split 0
		.amdhsa_exception_fp_ieee_invalid_op 0
		.amdhsa_exception_fp_denorm_src 0
		.amdhsa_exception_fp_ieee_div_zero 0
		.amdhsa_exception_fp_ieee_overflow 0
		.amdhsa_exception_fp_ieee_underflow 0
		.amdhsa_exception_fp_ieee_inexact 0
		.amdhsa_exception_int_div_zero 0
	.end_amdhsa_kernel
	.section	.text._ZL13mul_mat_vec_qIL9ggml_type21ELi1ELb0ELb1EEvPKvS2_PKi31ggml_cuda_mm_fusion_args_devicePfj15HIP_vector_typeIjLj3EEjjjS8_jjjS8_jjjj,"axG",@progbits,_ZL13mul_mat_vec_qIL9ggml_type21ELi1ELb0ELb1EEvPKvS2_PKi31ggml_cuda_mm_fusion_args_devicePfj15HIP_vector_typeIjLj3EEjjjS8_jjjS8_jjjj,comdat
.Lfunc_end254:
	.size	_ZL13mul_mat_vec_qIL9ggml_type21ELi1ELb0ELb1EEvPKvS2_PKi31ggml_cuda_mm_fusion_args_devicePfj15HIP_vector_typeIjLj3EEjjjS8_jjjS8_jjjj, .Lfunc_end254-_ZL13mul_mat_vec_qIL9ggml_type21ELi1ELb0ELb1EEvPKvS2_PKi31ggml_cuda_mm_fusion_args_devicePfj15HIP_vector_typeIjLj3EEjjjS8_jjjS8_jjjj
                                        ; -- End function
	.section	.AMDGPU.csdata,"",@progbits
; Kernel info:
; codeLenInByte = 5308
; NumSgprs: 30
; NumVgprs: 57
; NumAgprs: 0
; TotalNumVgprs: 57
; ScratchSize: 0
; MemoryBound: 0
; FloatMode: 240
; IeeeMode: 1
; LDSByteSize: 1536 bytes/workgroup (compile time only)
; SGPRBlocks: 3
; VGPRBlocks: 7
; NumSGPRsForWavesPerEU: 30
; NumVGPRsForWavesPerEU: 57
; AccumOffset: 60
; Occupancy: 8
; WaveLimiterHint : 0
; COMPUTE_PGM_RSRC2:SCRATCH_EN: 0
; COMPUTE_PGM_RSRC2:USER_SGPR: 4
; COMPUTE_PGM_RSRC2:TRAP_HANDLER: 0
; COMPUTE_PGM_RSRC2:TGID_X_EN: 1
; COMPUTE_PGM_RSRC2:TGID_Y_EN: 1
; COMPUTE_PGM_RSRC2:TGID_Z_EN: 1
; COMPUTE_PGM_RSRC2:TIDIG_COMP_CNT: 2
; COMPUTE_PGM_RSRC3_GFX90A:ACCUM_OFFSET: 14
; COMPUTE_PGM_RSRC3_GFX90A:TG_SPLIT: 0
	.section	.text._ZL13mul_mat_vec_qIL9ggml_type21ELi1ELb1ELb0EEvPKvS2_PKi31ggml_cuda_mm_fusion_args_devicePfj15HIP_vector_typeIjLj3EEjjjS8_jjjS8_jjjj,"axG",@progbits,_ZL13mul_mat_vec_qIL9ggml_type21ELi1ELb1ELb0EEvPKvS2_PKi31ggml_cuda_mm_fusion_args_devicePfj15HIP_vector_typeIjLj3EEjjjS8_jjjS8_jjjj,comdat
	.globl	_ZL13mul_mat_vec_qIL9ggml_type21ELi1ELb1ELb0EEvPKvS2_PKi31ggml_cuda_mm_fusion_args_devicePfj15HIP_vector_typeIjLj3EEjjjS8_jjjS8_jjjj ; -- Begin function _ZL13mul_mat_vec_qIL9ggml_type21ELi1ELb1ELb0EEvPKvS2_PKi31ggml_cuda_mm_fusion_args_devicePfj15HIP_vector_typeIjLj3EEjjjS8_jjjS8_jjjj
	.p2align	8
	.type	_ZL13mul_mat_vec_qIL9ggml_type21ELi1ELb1ELb0EEvPKvS2_PKi31ggml_cuda_mm_fusion_args_devicePfj15HIP_vector_typeIjLj3EEjjjS8_jjjS8_jjjj,@function
_ZL13mul_mat_vec_qIL9ggml_type21ELi1ELb1ELb0EEvPKvS2_PKi31ggml_cuda_mm_fusion_args_devicePfj15HIP_vector_typeIjLj3EEjjjS8_jjjS8_jjjj: ; @_ZL13mul_mat_vec_qIL9ggml_type21ELi1ELb1ELb0EEvPKvS2_PKi31ggml_cuda_mm_fusion_args_devicePfj15HIP_vector_typeIjLj3EEjjjS8_jjjS8_jjjj
; %bb.0:
	s_load_dwordx8 s[16:23], s[0:1], 0x0
	s_load_dwordx4 s[36:39], s[0:1], 0x20
	s_load_dwordx4 s[8:11], s[0:1], 0x40
	;; [unrolled: 1-line block ×3, first 2 shown]
	s_mov_b32 s14, s3
	s_waitcnt lgkmcnt(0)
	s_cmp_lg_u64 s[20:21], 0
	s_cselect_b64 s[6:7], -1, 0
	s_cmp_eq_u64 s[20:21], 0
	s_mov_b64 s[12:13], 0
	s_cbranch_scc1 .LBB255_5
; %bb.1:
	s_mov_b32 s15, 0
	s_lshl_b64 s[28:29], s[14:15], 2
	s_add_u32 s20, s20, s28
	s_addc_u32 s21, s21, s29
	s_load_dword s5, s[20:21], 0x0
	s_load_dword s15, s[0:1], 0x50
	;; [unrolled: 1-line block ×3, first 2 shown]
	s_andn2_b64 vcc, exec, s[12:13]
	s_cbranch_vccnz .LBB255_3
.LBB255_2:
	s_load_dwordx2 s[12:13], s[0:1], 0x5c
	s_waitcnt lgkmcnt(0)
	s_mul_hi_u32 s3, s12, s14
	s_add_i32 s3, s14, s3
	s_lshr_b32 s5, s3, s13
.LBB255_3:
	s_andn2_b64 vcc, exec, s[6:7]
	s_cbranch_vccnz .LBB255_6
; %bb.4:
	s_mul_hi_u32 s3, s9, s14
	s_add_i32 s3, s14, s3
	s_lshr_b32 s3, s3, s10
	s_mul_i32 s3, s3, s11
	s_sub_i32 s34, s14, s3
	s_waitcnt lgkmcnt(0)
	s_mov_b32 s3, s5
	s_branch .LBB255_7
.LBB255_5:
                                        ; implicit-def: $sgpr5
	s_load_dword s15, s[0:1], 0x50
	s_load_dword s33, s[0:1], 0x78
	s_branch .LBB255_2
.LBB255_6:
	s_mov_b32 s3, s14
	s_mov_b32 s34, s14
.LBB255_7:
	s_load_dwordx4 s[28:31], s[0:1], 0x80
	v_bfe_u32 v28, v0, 10, 10
	v_and_b32_e32 v25, 0x3ff, v0
	s_cmp_lg_u64 s[22:23], 0
	v_or_b32_e32 v0, v28, v25
	s_cselect_b64 s[12:13], -1, 0
	v_cmp_eq_u32_e32 vcc, 0, v0
	s_mov_b32 s21, 0
	s_and_b64 s[40:41], vcc, s[12:13]
	v_mov_b32_e32 v26, 0
	s_mul_i32 s10, s3, s26
	v_lshlrev_b32_e32 v24, 2, v25
	v_mov_b32_e32 v27, 0
	s_and_saveexec_b64 s[6:7], s[40:41]
	s_cbranch_execz .LBB255_9
; %bb.8:
	s_waitcnt lgkmcnt(0)
	s_mul_i32 s20, s4, s30
	s_lshl_b64 s[40:41], s[20:21], 2
	s_add_u32 s3, s22, s40
	s_mov_b32 s11, s21
	s_addc_u32 s9, s23, s41
	s_lshl_b64 s[20:21], s[10:11], 2
	s_add_u32 s11, s3, s20
	s_addc_u32 s9, s9, s21
	s_ashr_i32 s3, s2, 31
	s_lshl_b64 s[20:21], s[2:3], 2
	s_add_u32 s20, s11, s20
	s_addc_u32 s21, s9, s21
	global_load_dword v27, v24, s[20:21]
.LBB255_9:
	s_or_b64 exec, exec, s[6:7]
	s_cmp_lg_u64 s[36:37], 0
	s_cselect_b64 s[20:21], -1, 0
	s_cmp_lg_u64 s[38:39], 0
	s_cselect_b64 s[6:7], -1, 0
	s_and_b64 s[22:23], s[6:7], s[20:21]
	s_and_b64 s[40:41], vcc, s[22:23]
	s_and_saveexec_b64 s[22:23], s[40:41]
	s_cbranch_execz .LBB255_11
; %bb.10:
	s_waitcnt lgkmcnt(0)
	s_mul_i32 s40, s4, s30
	s_mov_b32 s41, 0
	s_lshl_b64 s[42:43], s[40:41], 2
	s_add_u32 s3, s38, s42
	s_mov_b32 s11, s41
	s_addc_u32 s9, s39, s43
	s_lshl_b64 s[10:11], s[10:11], 2
	s_add_u32 s31, s3, s10
	s_addc_u32 s9, s9, s11
	s_ashr_i32 s3, s2, 31
	s_lshl_b64 s[10:11], s[2:3], 2
	s_add_u32 s10, s31, s10
	s_addc_u32 s11, s9, s11
	global_load_dword v26, v24, s[10:11]
.LBB255_11:
	s_or_b64 exec, exec, s[22:23]
	v_lshl_add_u32 v0, v28, 6, v25
	s_lshr_b32 s3, s8, 8
	v_lshrrev_b32_e32 v30, 3, v0
	v_cndmask_b32_e64 v1, 0, 1, s[20:21]
	v_cmp_gt_u32_e32 vcc, s3, v30
	v_mov_b32_e32 v31, 0
	v_cmp_ne_u32_e64 s[8:9], 1, v1
	v_mov_b32_e32 v29, 0
	s_and_saveexec_b64 s[10:11], vcc
	s_cbranch_execz .LBB255_17
; %bb.12:
	s_mul_hi_u32 s21, s27, s4
	s_add_i32 s21, s4, s21
	s_waitcnt lgkmcnt(0)
	s_lshr_b32 s21, s21, s33
	s_mul_i32 s5, s5, s24
	s_mul_i32 s21, s21, s28
	;; [unrolled: 1-line block ×4, first 2 shown]
	s_add_i32 s5, s21, s5
	v_lshlrev_b32_e32 v1, 1, v25
	s_add_i32 s5, s5, s15
	s_mul_hi_u32 s15, s20, 36
	s_mul_i32 s20, s20, 36
	v_and_b32_e32 v2, 14, v1
	v_bfe_u32 v10, v1, 2, 2
	v_lshrrev_b32_e32 v3, 3, v0
	v_mov_b32_e32 v0, s20
	v_mov_b32_e32 v1, s15
	s_movk_i32 s15, 0x120
	s_mul_i32 s22, s4, s29
	v_mad_u64_u32 v[0:1], s[20:21], v3, s15, v[0:1]
	v_and_b32_e32 v8, 7, v25
	v_mad_u64_u32 v[0:1], s[20:21], s22, 36, v[0:1]
	v_mad_u64_u32 v[0:1], s[20:21], v8, 36, v[0:1]
	v_lshlrev_b32_e32 v4, 1, v2
	v_mov_b32_e32 v9, 0
	v_lshl_add_u64 v[0:1], v[0:1], 0, s[18:19]
	v_mov_b32_e32 v11, v9
	v_and_b32_e32 v32, 4, v4
	v_lshl_add_u64 v[12:13], v[0:1], 0, 16
	s_mov_b64 s[18:19], 0
	s_movk_i32 s15, 0x6e
	v_mov_b64_e32 v[14:15], s[16:17]
	v_lshlrev_b32_e32 v16, 1, v4
	v_lshlrev_b32_e32 v18, 1, v2
	s_movk_i32 s22, 0x100
	s_movk_i32 s23, 0xff00
	s_mov_b64 s[16:17], 0x1200
	v_mov_b32_e32 v17, v9
	v_mov_b32_e32 v19, v9
	;; [unrolled: 1-line block ×7, first 2 shown]
	s_branch .LBB255_14
.LBB255_13:                             ;   in Loop: Header=BB255_14 Depth=1
	s_waitcnt vmcnt(10)
	v_bfe_u32 v49, v39, 3, 1
	v_lshlrev_b32_sdwa v22, v33, v39 dst_sel:DWORD dst_unused:UNUSED_PAD src0_sel:DWORD src1_sel:BYTE_0
	v_bfe_u32 v48, v39, 1, 7
	v_cmp_ne_u16_e32 vcc, 0, v49
	v_and_b32_e32 v23, 1, v39
	v_bfe_i32 v48, v48, 0, 1
	v_lshrrev_b16_e32 v22, 7, v22
	v_cndmask_b32_e64 v49, 0, -1, vcc
	v_sub_u16_e32 v23, 0, v23
	v_bfe_i32 v22, v22, 0, 1
	v_lshlrev_b16_e32 v48, 8, v48
	v_lshlrev_b16_e32 v49, 8, v49
	v_or_b32_sdwa v50, v23, v48 dst_sel:DWORD dst_unused:UNUSED_PAD src0_sel:BYTE_0 src1_sel:DWORD
	v_or_b32_sdwa v51, v22, v49 dst_sel:WORD_1 dst_unused:UNUSED_PAD src0_sel:BYTE_0 src1_sel:DWORD
	v_bfe_u32 v54, v39, 7, 1
	v_or_b32_sdwa v50, v50, v51 dst_sel:DWORD dst_unused:UNUSED_PAD src0_sel:WORD_0 src1_sel:DWORD
	s_waitcnt vmcnt(7)
	v_xor_b32_e32 v47, v47, v50
	v_and_b32_e32 v50, 0xffffff00, v47
	v_sub_i16 v48, v50, v48 clamp
	v_lshlrev_b16_e32 v50, 8, v47
	v_lshlrev_b16_e32 v23, 8, v23
	v_lshlrev_b32_sdwa v51, v34, v39 dst_sel:DWORD dst_unused:UNUSED_PAD src0_sel:DWORD src1_sel:BYTE_0
	v_bfe_u32 v53, v39, 5, 3
	v_cmp_ne_u16_e32 vcc, 0, v54
	v_and_b32_e32 v48, 0xffffff00, v48
	v_sub_i16 v23, v50, v23 clamp
	v_bfe_i32 v53, v53, 0, 1
	v_lshrrev_b16_e32 v51, 7, v51
	v_cndmask_b32_e64 v54, 0, -1, vcc
	v_or_b32_sdwa v23, v23, v48 dst_sel:DWORD dst_unused:UNUSED_PAD src0_sel:BYTE_1 src1_sel:DWORD
	v_and_b32_sdwa v48, v47, s23 dst_sel:DWORD dst_unused:UNUSED_PAD src0_sel:WORD_1 src1_sel:DWORD
	v_bfe_i32 v52, v39, 4, 1
	v_bfe_i32 v51, v51, 0, 1
	v_lshlrev_b16_e32 v53, 8, v53
	v_lshlrev_b16_e32 v54, 8, v54
	v_sub_i16 v48, v48, v49 clamp
	v_lshlrev_b16_sdwa v47, v35, v47 dst_sel:DWORD dst_unused:UNUSED_PAD src0_sel:DWORD src1_sel:WORD_1
	v_lshlrev_b16_e32 v22, 8, v22
	v_or_b32_sdwa v55, v52, v53 dst_sel:DWORD dst_unused:UNUSED_PAD src0_sel:BYTE_0 src1_sel:DWORD
	v_or_b32_sdwa v56, v51, v54 dst_sel:WORD_1 dst_unused:UNUSED_PAD src0_sel:BYTE_0 src1_sel:DWORD
	v_and_b32_e32 v48, 0xffffff00, v48
	v_sub_i16 v22, v47, v22 clamp
	v_or_b32_sdwa v55, v55, v56 dst_sel:DWORD dst_unused:UNUSED_PAD src0_sel:WORD_0 src1_sel:DWORD
	v_or_b32_sdwa v22, v22, v48 dst_sel:WORD_1 dst_unused:UNUSED_PAD src0_sel:BYTE_1 src1_sel:DWORD
	v_lshlrev_b16_e32 v48, 8, v52
	v_or_b32_sdwa v22, v23, v22 dst_sel:DWORD dst_unused:UNUSED_PAD src0_sel:WORD_0 src1_sel:DWORD
	s_waitcnt vmcnt(6)
	v_xor_b32_e32 v23, v46, v55
	v_and_b32_e32 v46, 0xffffff00, v23
	v_sub_i16 v46, v46, v53 clamp
	v_lshlrev_b16_e32 v47, 8, v23
	v_and_b32_e32 v46, 0xffffff00, v46
	v_sub_i16 v47, v47, v48 clamp
	v_or_b32_sdwa v46, v47, v46 dst_sel:DWORD dst_unused:UNUSED_PAD src0_sel:BYTE_1 src1_sel:DWORD
	v_and_b32_sdwa v47, v23, s23 dst_sel:DWORD dst_unused:UNUSED_PAD src0_sel:WORD_1 src1_sel:DWORD
	v_sub_i16 v47, v47, v54 clamp
	v_lshlrev_b16_sdwa v23, v35, v23 dst_sel:DWORD dst_unused:UNUSED_PAD src0_sel:DWORD src1_sel:WORD_1
	v_lshlrev_b16_e32 v48, 8, v51
	v_and_b32_e32 v47, 0xffffff00, v47
	v_sub_i16 v23, v23, v48 clamp
	v_or_b32_sdwa v23, v23, v47 dst_sel:WORD_1 dst_unused:UNUSED_PAD src0_sel:BYTE_1 src1_sel:DWORD
	v_lshrrev_b32_e32 v20, 16, v39
	v_or_b32_sdwa v23, v46, v23 dst_sel:DWORD dst_unused:UNUSED_PAD src0_sel:WORD_0 src1_sel:DWORD
	v_mov_b32_e32 v46, 0
	v_dot4c_i32_i8_e32 v46, v22, v5
	v_lshrrev_b16_e32 v5, 8, v39
	v_bfe_u32 v47, v5, 3, 1
	v_dot4c_i32_i8_e32 v46, v23, v6
	v_lshlrev_b32_e32 v6, 5, v5
	v_lshrrev_b32_e32 v23, 1, v5
	v_cmp_ne_u16_e32 vcc, 0, v47
	v_lshlrev_b16_e32 v22, 7, v39
	v_bfe_i32 v23, v23, 0, 1
	v_lshrrev_b16_e32 v6, 7, v6
	v_cndmask_b32_e64 v47, 0, -1, vcc
	v_ashrrev_i16_e32 v22, 15, v22
	v_bfe_i32 v6, v6, 0, 1
	v_lshlrev_b16_e32 v23, 8, v23
	v_lshlrev_b16_e32 v47, 8, v47
	v_or_b32_sdwa v48, v22, v23 dst_sel:DWORD dst_unused:UNUSED_PAD src0_sel:BYTE_0 src1_sel:DWORD
	v_or_b32_sdwa v49, v6, v47 dst_sel:WORD_1 dst_unused:UNUSED_PAD src0_sel:BYTE_0 src1_sel:DWORD
	v_bfe_i32 v50, v5, 4, 1
	v_or_b32_sdwa v48, v48, v49 dst_sel:DWORD dst_unused:UNUSED_PAD src0_sel:WORD_0 src1_sel:DWORD
	s_waitcnt vmcnt(5)
	v_xor_b32_e32 v45, v45, v48
	v_and_b32_e32 v48, 0xffffff00, v45
	v_lshlrev_b32_e32 v49, 1, v5
	v_lshrrev_b32_e32 v51, 5, v5
	v_lshrrev_b32_e32 v5, 7, v5
	v_sub_i16 v23, v48, v23 clamp
	v_lshlrev_b16_e32 v48, 8, v45
	v_lshlrev_b16_e32 v22, 8, v22
	v_cmp_ne_u16_e32 vcc, 0, v5
	v_and_b32_e32 v23, 0xffffff00, v23
	v_sub_i16 v22, v48, v22 clamp
	v_bfe_i32 v51, v51, 0, 1
	v_lshrrev_b16_e32 v49, 7, v49
	v_cndmask_b32_e64 v5, 0, -1, vcc
	v_or_b32_sdwa v22, v22, v23 dst_sel:DWORD dst_unused:UNUSED_PAD src0_sel:BYTE_1 src1_sel:DWORD
	v_and_b32_sdwa v23, v45, s23 dst_sel:DWORD dst_unused:UNUSED_PAD src0_sel:WORD_1 src1_sel:DWORD
	v_bfe_i32 v49, v49, 0, 1
	v_lshlrev_b16_e32 v51, 8, v51
	v_lshlrev_b16_e32 v5, 8, v5
	v_sub_i16 v23, v23, v47 clamp
	v_lshlrev_b16_sdwa v45, v35, v45 dst_sel:DWORD dst_unused:UNUSED_PAD src0_sel:DWORD src1_sel:WORD_1
	v_lshlrev_b16_e32 v6, 8, v6
	v_or_b32_sdwa v52, v50, v51 dst_sel:DWORD dst_unused:UNUSED_PAD src0_sel:BYTE_0 src1_sel:DWORD
	v_or_b32_sdwa v53, v49, v5 dst_sel:WORD_1 dst_unused:UNUSED_PAD src0_sel:BYTE_0 src1_sel:DWORD
	v_and_b32_e32 v23, 0xffffff00, v23
	v_sub_i16 v6, v45, v6 clamp
	v_or_b32_sdwa v52, v52, v53 dst_sel:DWORD dst_unused:UNUSED_PAD src0_sel:WORD_0 src1_sel:DWORD
	v_or_b32_sdwa v6, v6, v23 dst_sel:WORD_1 dst_unused:UNUSED_PAD src0_sel:BYTE_1 src1_sel:DWORD
	v_lshlrev_b16_e32 v45, 8, v50
	v_or_b32_sdwa v6, v22, v6 dst_sel:DWORD dst_unused:UNUSED_PAD src0_sel:WORD_0 src1_sel:DWORD
	s_waitcnt vmcnt(4)
	v_xor_b32_e32 v22, v44, v52
	v_and_b32_e32 v23, 0xffffff00, v22
	v_sub_i16 v23, v23, v51 clamp
	v_lshlrev_b16_e32 v44, 8, v22
	v_and_b32_e32 v23, 0xffffff00, v23
	v_sub_i16 v44, v44, v45 clamp
	v_or_b32_sdwa v23, v44, v23 dst_sel:DWORD dst_unused:UNUSED_PAD src0_sel:BYTE_1 src1_sel:DWORD
	v_and_b32_sdwa v44, v22, s23 dst_sel:DWORD dst_unused:UNUSED_PAD src0_sel:WORD_1 src1_sel:DWORD
	v_sub_i16 v5, v44, v5 clamp
	v_lshlrev_b16_sdwa v22, v35, v22 dst_sel:DWORD dst_unused:UNUSED_PAD src0_sel:DWORD src1_sel:WORD_1
	v_lshlrev_b16_e32 v44, 8, v49
	v_and_b32_e32 v5, 0xffffff00, v5
	v_sub_i16 v22, v22, v44 clamp
	v_or_b32_sdwa v5, v22, v5 dst_sel:WORD_1 dst_unused:UNUSED_PAD src0_sel:BYTE_1 src1_sel:DWORD
	v_dot4c_i32_i8_e32 v46, v6, v7
	v_or_b32_sdwa v5, v23, v5 dst_sel:DWORD dst_unused:UNUSED_PAD src0_sel:WORD_0 src1_sel:DWORD
	v_bfe_u32 v7, v39, 19, 1
	v_dot4c_i32_i8_e32 v46, v5, v0
	v_lshlrev_b32_sdwa v0, v33, v39 dst_sel:DWORD dst_unused:UNUSED_PAD src0_sel:DWORD src1_sel:BYTE_2
	v_bfe_u32 v6, v20, 1, 7
	v_cmp_ne_u16_e32 vcc, 0, v7
	v_and_b32_e32 v5, 1, v20
	v_bfe_i32 v6, v6, 0, 1
	v_lshrrev_b16_e32 v0, 7, v0
	v_cndmask_b32_e64 v7, 0, -1, vcc
	v_sub_u16_e32 v5, 0, v5
	v_bfe_i32 v0, v0, 0, 1
	v_lshlrev_b16_e32 v6, 8, v6
	v_lshlrev_b16_e32 v7, 8, v7
	v_or_b32_sdwa v22, v5, v6 dst_sel:DWORD dst_unused:UNUSED_PAD src0_sel:BYTE_0 src1_sel:DWORD
	v_or_b32_sdwa v23, v0, v7 dst_sel:WORD_1 dst_unused:UNUSED_PAD src0_sel:BYTE_0 src1_sel:DWORD
	v_bfe_u32 v47, v20, 7, 1
	v_or_b32_sdwa v22, v22, v23 dst_sel:DWORD dst_unused:UNUSED_PAD src0_sel:WORD_0 src1_sel:DWORD
	s_waitcnt vmcnt(3)
	v_xor_b32_e32 v22, v43, v22
	v_and_b32_e32 v43, 0xffffff00, v22
	v_sub_i16 v6, v43, v6 clamp
	v_lshlrev_b16_e32 v43, 8, v22
	v_lshlrev_b16_e32 v5, 8, v5
	v_lshlrev_b32_sdwa v23, v34, v39 dst_sel:DWORD dst_unused:UNUSED_PAD src0_sel:DWORD src1_sel:BYTE_2
	v_bfe_u32 v45, v20, 5, 3
	v_cmp_ne_u16_e32 vcc, 0, v47
	v_and_b32_e32 v6, 0xffffff00, v6
	v_sub_i16 v5, v43, v5 clamp
	v_bfe_i32 v45, v45, 0, 1
	v_lshrrev_b16_e32 v23, 7, v23
	v_cndmask_b32_e64 v47, 0, -1, vcc
	v_or_b32_sdwa v5, v5, v6 dst_sel:DWORD dst_unused:UNUSED_PAD src0_sel:BYTE_1 src1_sel:DWORD
	v_and_b32_sdwa v6, v22, s23 dst_sel:DWORD dst_unused:UNUSED_PAD src0_sel:WORD_1 src1_sel:DWORD
	v_bfe_i32 v44, v39, 20, 1
	v_bfe_i32 v23, v23, 0, 1
	v_lshlrev_b16_e32 v45, 8, v45
	v_lshlrev_b16_e32 v47, 8, v47
	v_sub_i16 v6, v6, v7 clamp
	v_lshlrev_b16_sdwa v7, v35, v22 dst_sel:DWORD dst_unused:UNUSED_PAD src0_sel:DWORD src1_sel:WORD_1
	v_lshlrev_b16_e32 v0, 8, v0
	v_or_b32_sdwa v48, v44, v45 dst_sel:DWORD dst_unused:UNUSED_PAD src0_sel:BYTE_0 src1_sel:DWORD
	v_or_b32_sdwa v49, v23, v47 dst_sel:WORD_1 dst_unused:UNUSED_PAD src0_sel:BYTE_0 src1_sel:DWORD
	v_and_b32_e32 v6, 0xffffff00, v6
	v_sub_i16 v0, v7, v0 clamp
	v_or_b32_sdwa v48, v48, v49 dst_sel:DWORD dst_unused:UNUSED_PAD src0_sel:WORD_0 src1_sel:DWORD
	v_or_b32_sdwa v0, v0, v6 dst_sel:WORD_1 dst_unused:UNUSED_PAD src0_sel:BYTE_1 src1_sel:DWORD
	v_lshlrev_b16_e32 v22, 8, v44
	v_or_b32_sdwa v0, v5, v0 dst_sel:DWORD dst_unused:UNUSED_PAD src0_sel:WORD_0 src1_sel:DWORD
	s_waitcnt vmcnt(2)
	v_xor_b32_e32 v5, v42, v48
	v_and_b32_e32 v6, 0xffffff00, v5
	v_sub_i16 v6, v6, v45 clamp
	v_lshlrev_b16_e32 v7, 8, v5
	v_and_b32_e32 v6, 0xffffff00, v6
	v_sub_i16 v7, v7, v22 clamp
	v_or_b32_sdwa v6, v7, v6 dst_sel:DWORD dst_unused:UNUSED_PAD src0_sel:BYTE_1 src1_sel:DWORD
	v_and_b32_sdwa v7, v5, s23 dst_sel:DWORD dst_unused:UNUSED_PAD src0_sel:WORD_1 src1_sel:DWORD
	v_sub_i16 v7, v7, v47 clamp
	v_lshlrev_b16_sdwa v5, v35, v5 dst_sel:DWORD dst_unused:UNUSED_PAD src0_sel:DWORD src1_sel:WORD_1
	v_lshlrev_b16_e32 v22, 8, v23
	v_and_b32_e32 v7, 0xffffff00, v7
	v_sub_i16 v5, v5, v22 clamp
	v_or_b32_sdwa v5, v5, v7 dst_sel:WORD_1 dst_unused:UNUSED_PAD src0_sel:BYTE_1 src1_sel:DWORD
	v_dot4c_i32_i8_e32 v46, v0, v1
	v_or_b32_sdwa v5, v6, v5 dst_sel:DWORD dst_unused:UNUSED_PAD src0_sel:WORD_0 src1_sel:DWORD
	v_lshrrev_b32_e32 v21, 24, v39
	v_dot4c_i32_i8_e32 v46, v5, v2
	v_bfe_u32 v5, v39, 27, 1
	v_lshlrev_b32_e32 v0, 5, v21
	v_lshrrev_b32_e32 v2, 25, v39
	v_cmp_ne_u16_e32 vcc, 0, v5
	v_lshlrev_b16_e32 v1, 7, v20
	v_bfe_i32 v2, v2, 0, 1
	v_lshrrev_b16_e32 v0, 7, v0
	v_cndmask_b32_e64 v5, 0, -1, vcc
	v_ashrrev_i16_e32 v1, 15, v1
	v_bfe_i32 v0, v0, 0, 1
	v_lshlrev_b16_e32 v2, 8, v2
	v_lshlrev_b16_e32 v5, 8, v5
	v_or_b32_sdwa v6, v1, v2 dst_sel:DWORD dst_unused:UNUSED_PAD src0_sel:BYTE_0 src1_sel:DWORD
	v_or_b32_sdwa v7, v0, v5 dst_sel:WORD_1 dst_unused:UNUSED_PAD src0_sel:BYTE_0 src1_sel:DWORD
	v_lshrrev_b32_e32 v22, 31, v39
	v_or_b32_sdwa v6, v6, v7 dst_sel:DWORD dst_unused:UNUSED_PAD src0_sel:WORD_0 src1_sel:DWORD
	v_lshlrev_b32_e32 v7, 1, v21
	v_bfe_i32 v20, v21, 4, 1
	v_lshrrev_b32_e32 v21, 29, v39
	v_cmp_ne_u16_e32 vcc, 0, v22
	v_bfe_i32 v21, v21, 0, 1
	v_lshrrev_b16_e32 v7, 7, v7
	v_cndmask_b32_e64 v22, 0, -1, vcc
	v_bfe_i32 v7, v7, 0, 1
	v_lshlrev_b16_e32 v21, 8, v21
	v_lshlrev_b16_e32 v22, 8, v22
	v_or_b32_sdwa v23, v20, v21 dst_sel:DWORD dst_unused:UNUSED_PAD src0_sel:BYTE_0 src1_sel:DWORD
	v_or_b32_sdwa v39, v7, v22 dst_sel:WORD_1 dst_unused:UNUSED_PAD src0_sel:BYTE_0 src1_sel:DWORD
	s_waitcnt vmcnt(1)
	v_xor_b32_e32 v6, v41, v6
	v_or_b32_sdwa v23, v23, v39 dst_sel:DWORD dst_unused:UNUSED_PAD src0_sel:WORD_0 src1_sel:DWORD
	v_and_b32_e32 v39, 0xffffff00, v6
	v_sub_i16 v2, v39, v2 clamp
	v_lshlrev_b16_e32 v39, 8, v6
	v_lshlrev_b16_e32 v1, 8, v1
	v_and_b32_e32 v2, 0xffffff00, v2
	v_sub_i16 v1, v39, v1 clamp
	v_or_b32_sdwa v1, v1, v2 dst_sel:DWORD dst_unused:UNUSED_PAD src0_sel:BYTE_1 src1_sel:DWORD
	v_and_b32_sdwa v2, v6, s23 dst_sel:DWORD dst_unused:UNUSED_PAD src0_sel:WORD_1 src1_sel:DWORD
	v_sub_i16 v2, v2, v5 clamp
	v_lshlrev_b16_sdwa v5, v35, v6 dst_sel:DWORD dst_unused:UNUSED_PAD src0_sel:DWORD src1_sel:WORD_1
	v_lshlrev_b16_e32 v0, 8, v0
	v_and_b32_e32 v2, 0xffffff00, v2
	v_sub_i16 v0, v5, v0 clamp
	v_or_b32_sdwa v0, v0, v2 dst_sel:WORD_1 dst_unused:UNUSED_PAD src0_sel:BYTE_1 src1_sel:DWORD
	v_lshlrev_b16_e32 v6, 8, v20
	v_or_b32_sdwa v0, v1, v0 dst_sel:DWORD dst_unused:UNUSED_PAD src0_sel:WORD_0 src1_sel:DWORD
	s_waitcnt vmcnt(0)
	v_xor_b32_e32 v1, v40, v23
	v_and_b32_e32 v2, 0xffffff00, v1
	v_sub_i16 v2, v2, v21 clamp
	v_lshlrev_b16_e32 v5, 8, v1
	v_and_b32_e32 v2, 0xffffff00, v2
	v_sub_i16 v5, v5, v6 clamp
	v_or_b32_sdwa v2, v5, v2 dst_sel:DWORD dst_unused:UNUSED_PAD src0_sel:BYTE_1 src1_sel:DWORD
	v_and_b32_sdwa v5, v1, s23 dst_sel:DWORD dst_unused:UNUSED_PAD src0_sel:WORD_1 src1_sel:DWORD
	v_sub_i16 v5, v5, v22 clamp
	v_lshlrev_b16_sdwa v1, v35, v1 dst_sel:DWORD dst_unused:UNUSED_PAD src0_sel:DWORD src1_sel:WORD_1
	v_lshlrev_b16_e32 v6, 8, v7
	v_and_b32_e32 v5, 0xffffff00, v5
	v_sub_i16 v1, v1, v6 clamp
	v_or_b32_sdwa v1, v1, v5 dst_sel:WORD_1 dst_unused:UNUSED_PAD src0_sel:BYTE_1 src1_sel:DWORD
	v_dot4c_i32_i8_e32 v46, v0, v3
	v_lshrrev_b32_sdwa v0, v32, v38 dst_sel:DWORD dst_unused:UNUSED_PAD src0_sel:DWORD src1_sel:BYTE_0
	v_or_b32_sdwa v1, v2, v1 dst_sel:DWORD dst_unused:UNUSED_PAD src0_sel:WORD_0 src1_sel:DWORD
	v_lshlrev_b32_e32 v0, 1, v0
	v_dot4c_i32_i8_e32 v46, v1, v36
	v_and_or_b32 v0, v0, 30, 1
	v_cvt_f32_f16_e32 v1, v37
	v_add_u32_e32 v30, 16, v30
	v_mul_lo_u32 v0, v46, v0
	v_cvt_f32_i32_e32 v0, v0
	v_mul_f32_e32 v1, v1, v4
	v_cmp_le_u32_e32 vcc, s3, v30
	s_or_b64 s[18:19], vcc, s[18:19]
	v_fmac_f32_e32 v31, v1, v0
	v_lshl_add_u64 v[12:13], v[12:13], 0, s[16:17]
	s_andn2_b64 exec, exec, s[18:19]
	s_cbranch_execz .LBB255_16
.LBB255_14:                             ; =>This Inner Loop Header: Depth=1
	v_add_u32_e32 v20, s5, v30
	v_mad_i64_i32 v[22:23], s[20:21], v20, s15, v[14:15]
	v_lshl_add_u64 v[0:1], v[22:23], 0, v[16:17]
	v_lshl_add_u64 v[2:3], v[22:23], 0, v[8:9]
	global_load_dwordx2 v[40:41], v[0:1], off offset:2
	global_load_ubyte v21, v[2:3], off offset:66
	v_lshl_add_u64 v[42:43], v[22:23], 0, v[18:19]
	global_load_dwordx4 v[4:7], v[12:13], off offset:-16
	global_load_dwordx4 v[0:3], v[12:13], off
	global_load_dword v36, v[12:13], off offset:16
	v_lshl_add_u64 v[44:45], v[22:23], 0, v[10:11]
	global_load_dword v39, v[42:43], off offset:74
	global_load_ubyte v38, v[44:45], off offset:106
	global_load_ushort v37, v[22:23], off
	s_getpc_b64 s[20:21]
	s_add_u32 s20, s20, _ZL9iq3s_grid@rel32@lo+4
	s_addc_u32 s21, s21, _ZL9iq3s_grid@rel32@hi+12
	s_and_b64 vcc, exec, s[8:9]
	s_waitcnt vmcnt(7)
	v_and_b32_e32 v22, 0xff, v40
	s_waitcnt vmcnt(6)
	v_lshlrev_b32_e32 v23, 8, v21
	v_lshrrev_b16_e32 v42, 8, v40
	v_lshlrev_b32_e32 v43, 7, v21
	v_bfe_u32 v44, v40, 16, 8
	v_lshlrev_b32_e32 v45, 6, v21
	v_lshrrev_b32_e32 v40, 24, v40
	v_lshlrev_b32_e32 v46, 5, v21
	v_and_b32_e32 v47, 0xff, v41
	v_lshlrev_b32_e32 v48, 4, v21
	v_lshrrev_b16_e32 v49, 8, v41
	v_lshlrev_b32_e32 v50, 3, v21
	v_bfe_u32 v51, v41, 16, 8
	v_lshlrev_b32_e32 v52, 2, v21
	v_lshrrev_b32_e32 v41, 24, v41
	v_lshlrev_b32_e32 v21, 1, v21
	v_and_or_b32 v22, v23, s22, v22
	v_and_or_b32 v23, v43, s22, v42
	;; [unrolled: 1-line block ×8, first 2 shown]
	v_lshlrev_b32_e32 v22, 2, v22
	v_lshlrev_b32_e32 v23, 2, v23
	;; [unrolled: 1-line block ×8, first 2 shown]
	global_load_dword v47, v22, s[20:21]
	global_load_dword v46, v23, s[20:21]
	;; [unrolled: 1-line block ×8, first 2 shown]
	s_waitcnt vmcnt(13)
	v_cvt_f32_f16_e32 v4, v4
	s_cbranch_vccnz .LBB255_13
; %bb.15:                               ;   in Loop: Header=BB255_14 Depth=1
	v_mov_b64_e32 v[22:23], s[36:37]
	v_mad_i64_i32 v[20:21], s[24:25], v20, s15, v[22:23]
	v_lshl_add_u64 v[22:23], v[20:21], 0, v[16:17]
	v_lshl_add_u64 v[48:49], v[20:21], 0, v[8:9]
	global_load_dwordx2 v[22:23], v[22:23], off offset:2
	s_nop 0
	global_load_ubyte v50, v[48:49], off offset:66
	v_lshl_add_u64 v[48:49], v[20:21], 0, v[18:19]
	global_load_dword v49, v[48:49], off offset:74
	s_waitcnt vmcnt(2)
	v_and_b32_e32 v48, 0xff, v22
	s_waitcnt vmcnt(1)
	v_lshlrev_b32_e32 v53, 8, v50
	v_and_or_b32 v48, v53, s22, v48
	v_lshlrev_b32_e32 v48, 2, v48
	global_load_dword v48, v48, s[20:21]
	v_lshrrev_b16_e32 v53, 8, v22
	v_lshlrev_b32_e32 v54, 7, v50
	v_and_or_b32 v53, v54, s22, v53
	v_lshlrev_b32_e32 v53, 2, v53
	global_load_dword v53, v53, s[20:21]
	s_waitcnt vmcnt(2)
	v_bfe_u32 v57, v49, 3, 1
	v_lshlrev_b32_sdwa v54, v33, v49 dst_sel:DWORD dst_unused:UNUSED_PAD src0_sel:DWORD src1_sel:BYTE_0
	v_bfe_u32 v56, v49, 1, 7
	v_cmp_ne_u16_e32 vcc, 0, v57
	v_and_b32_e32 v55, 1, v49
	v_bfe_i32 v56, v56, 0, 1
	v_lshrrev_b16_e32 v54, 7, v54
	v_cndmask_b32_e64 v57, 0, -1, vcc
	v_sub_u16_e32 v55, 0, v55
	v_bfe_i32 v54, v54, 0, 1
	v_lshlrev_b16_e32 v56, 8, v56
	v_lshlrev_b16_e32 v57, 8, v57
	v_or_b32_sdwa v58, v55, v56 dst_sel:DWORD dst_unused:UNUSED_PAD src0_sel:BYTE_0 src1_sel:DWORD
	v_or_b32_sdwa v59, v54, v57 dst_sel:WORD_1 dst_unused:UNUSED_PAD src0_sel:BYTE_0 src1_sel:DWORD
	v_bfe_u32 v62, v49, 7, 1
	v_or_b32_sdwa v58, v58, v59 dst_sel:DWORD dst_unused:UNUSED_PAD src0_sel:WORD_0 src1_sel:DWORD
	v_lshlrev_b16_e32 v55, 8, v55
	v_lshlrev_b32_sdwa v59, v34, v49 dst_sel:DWORD dst_unused:UNUSED_PAD src0_sel:DWORD src1_sel:BYTE_0
	v_bfe_u32 v61, v49, 5, 3
	v_cmp_ne_u16_e32 vcc, 0, v62
	v_bfe_i32 v61, v61, 0, 1
	v_lshrrev_b16_e32 v59, 7, v59
	v_cndmask_b32_e64 v62, 0, -1, vcc
	v_bfe_i32 v60, v49, 4, 1
	v_bfe_i32 v59, v59, 0, 1
	v_lshlrev_b16_e32 v61, 8, v61
	v_lshlrev_b16_e32 v62, 8, v62
	;; [unrolled: 1-line block ×3, first 2 shown]
	v_or_b32_sdwa v63, v60, v61 dst_sel:DWORD dst_unused:UNUSED_PAD src0_sel:BYTE_0 src1_sel:DWORD
	v_or_b32_sdwa v64, v59, v62 dst_sel:WORD_1 dst_unused:UNUSED_PAD src0_sel:BYTE_0 src1_sel:DWORD
	v_lshrrev_b32_e32 v51, 16, v49
	v_or_b32_sdwa v63, v63, v64 dst_sel:DWORD dst_unused:UNUSED_PAD src0_sel:WORD_0 src1_sel:DWORD
	v_lshrrev_b32_e32 v52, 24, v49
	s_waitcnt vmcnt(1)
	v_xor_b32_e32 v48, v48, v58
	v_and_b32_e32 v58, 0xffffff00, v48
	v_sub_i16 v56, v58, v56 clamp
	v_lshlrev_b16_e32 v58, 8, v48
	v_and_b32_e32 v56, 0xffffff00, v56
	v_sub_i16 v55, v58, v55 clamp
	v_or_b32_sdwa v55, v55, v56 dst_sel:DWORD dst_unused:UNUSED_PAD src0_sel:BYTE_1 src1_sel:DWORD
	v_and_b32_sdwa v56, v48, s23 dst_sel:DWORD dst_unused:UNUSED_PAD src0_sel:WORD_1 src1_sel:DWORD
	v_sub_i16 v56, v56, v57 clamp
	v_lshlrev_b16_sdwa v48, v35, v48 dst_sel:DWORD dst_unused:UNUSED_PAD src0_sel:DWORD src1_sel:WORD_1
	v_and_b32_e32 v56, 0xffffff00, v56
	v_sub_i16 v48, v48, v54 clamp
	v_or_b32_sdwa v48, v48, v56 dst_sel:WORD_1 dst_unused:UNUSED_PAD src0_sel:BYTE_1 src1_sel:DWORD
	v_lshlrev_b16_e32 v56, 8, v60
	v_or_b32_sdwa v54, v55, v48 dst_sel:DWORD dst_unused:UNUSED_PAD src0_sel:WORD_0 src1_sel:DWORD
	s_waitcnt vmcnt(0)
	v_xor_b32_e32 v48, v53, v63
	v_and_b32_e32 v53, 0xffffff00, v48
	v_sub_i16 v53, v53, v61 clamp
	v_lshlrev_b16_e32 v55, 8, v48
	v_and_b32_e32 v53, 0xffffff00, v53
	v_sub_i16 v55, v55, v56 clamp
	v_or_b32_sdwa v53, v55, v53 dst_sel:DWORD dst_unused:UNUSED_PAD src0_sel:BYTE_1 src1_sel:DWORD
	v_and_b32_sdwa v55, v48, s23 dst_sel:DWORD dst_unused:UNUSED_PAD src0_sel:WORD_1 src1_sel:DWORD
	v_sub_i16 v55, v55, v62 clamp
	v_lshlrev_b16_sdwa v48, v35, v48 dst_sel:DWORD dst_unused:UNUSED_PAD src0_sel:DWORD src1_sel:WORD_1
	v_lshlrev_b16_e32 v56, 8, v59
	v_and_b32_e32 v55, 0xffffff00, v55
	v_sub_i16 v48, v48, v56 clamp
	v_or_b32_sdwa v48, v48, v55 dst_sel:WORD_1 dst_unused:UNUSED_PAD src0_sel:BYTE_1 src1_sel:DWORD
	v_lshlrev_b16_e32 v56, 7, v49
	v_or_b32_sdwa v53, v53, v48 dst_sel:DWORD dst_unused:UNUSED_PAD src0_sel:WORD_0 src1_sel:DWORD
	v_mov_b32_e32 v48, 0
	v_dot4c_i32_i8_e32 v48, v54, v5
	v_dot4c_i32_i8_e32 v48, v53, v6
	v_bfe_u32 v53, v22, 16, 8
	v_lshlrev_b32_e32 v54, 6, v50
	v_and_or_b32 v53, v54, s22, v53
	v_lshlrev_b32_e32 v53, 2, v53
	global_load_dword v53, v53, s[20:21]
	v_lshrrev_b32_e32 v22, 24, v22
	v_lshlrev_b32_e32 v54, 5, v50
	v_and_or_b32 v22, v54, s22, v22
	v_lshlrev_b32_e32 v22, 2, v22
	global_load_dword v22, v22, s[20:21]
	v_lshrrev_b16_e32 v54, 8, v49
	v_bfe_u32 v58, v54, 3, 1
	v_lshlrev_b32_e32 v55, 5, v54
	v_lshrrev_b32_e32 v57, 1, v54
	v_cmp_ne_u16_e32 vcc, 0, v58
	v_bfe_i32 v57, v57, 0, 1
	v_lshrrev_b16_e32 v55, 7, v55
	v_cndmask_b32_e64 v58, 0, -1, vcc
	v_ashrrev_i16_e32 v56, 15, v56
	v_bfe_i32 v55, v55, 0, 1
	v_lshlrev_b16_e32 v57, 8, v57
	v_lshlrev_b16_e32 v58, 8, v58
	v_or_b32_sdwa v59, v56, v57 dst_sel:DWORD dst_unused:UNUSED_PAD src0_sel:BYTE_0 src1_sel:DWORD
	v_or_b32_sdwa v60, v55, v58 dst_sel:WORD_1 dst_unused:UNUSED_PAD src0_sel:BYTE_0 src1_sel:DWORD
	v_bfe_i32 v61, v54, 4, 1
	v_or_b32_sdwa v59, v59, v60 dst_sel:DWORD dst_unused:UNUSED_PAD src0_sel:WORD_0 src1_sel:DWORD
	v_lshlrev_b32_e32 v60, 1, v54
	v_lshrrev_b32_e32 v62, 5, v54
	v_lshrrev_b32_e32 v54, 7, v54
	v_cmp_ne_u16_e32 vcc, 0, v54
	v_bfe_i32 v62, v62, 0, 1
	v_lshrrev_b16_e32 v60, 7, v60
	v_cndmask_b32_e64 v54, 0, -1, vcc
	v_lshlrev_b16_e32 v56, 8, v56
	v_bfe_i32 v60, v60, 0, 1
	v_lshlrev_b16_e32 v62, 8, v62
	v_lshlrev_b16_e32 v54, 8, v54
	v_or_b32_sdwa v63, v61, v62 dst_sel:DWORD dst_unused:UNUSED_PAD src0_sel:BYTE_0 src1_sel:DWORD
	v_or_b32_sdwa v64, v60, v54 dst_sel:WORD_1 dst_unused:UNUSED_PAD src0_sel:BYTE_0 src1_sel:DWORD
	v_lshlrev_b16_e32 v55, 8, v55
	v_or_b32_sdwa v63, v63, v64 dst_sel:DWORD dst_unused:UNUSED_PAD src0_sel:WORD_0 src1_sel:DWORD
	s_waitcnt vmcnt(1)
	v_xor_b32_e32 v53, v53, v59
	v_and_b32_e32 v59, 0xffffff00, v53
	v_sub_i16 v57, v59, v57 clamp
	v_lshlrev_b16_e32 v59, 8, v53
	v_and_b32_e32 v57, 0xffffff00, v57
	v_sub_i16 v56, v59, v56 clamp
	v_or_b32_sdwa v56, v56, v57 dst_sel:DWORD dst_unused:UNUSED_PAD src0_sel:BYTE_1 src1_sel:DWORD
	v_and_b32_sdwa v57, v53, s23 dst_sel:DWORD dst_unused:UNUSED_PAD src0_sel:WORD_1 src1_sel:DWORD
	v_sub_i16 v57, v57, v58 clamp
	v_lshlrev_b16_sdwa v53, v35, v53 dst_sel:DWORD dst_unused:UNUSED_PAD src0_sel:DWORD src1_sel:WORD_1
	v_and_b32_e32 v57, 0xffffff00, v57
	v_sub_i16 v53, v53, v55 clamp
	s_waitcnt vmcnt(0)
	v_xor_b32_e32 v22, v22, v63
	v_or_b32_sdwa v53, v53, v57 dst_sel:WORD_1 dst_unused:UNUSED_PAD src0_sel:BYTE_1 src1_sel:DWORD
	v_and_b32_e32 v55, 0xffffff00, v22
	v_or_b32_sdwa v53, v56, v53 dst_sel:DWORD dst_unused:UNUSED_PAD src0_sel:WORD_0 src1_sel:DWORD
	v_sub_i16 v55, v55, v62 clamp
	v_lshlrev_b16_e32 v56, 8, v22
	v_lshlrev_b16_e32 v57, 8, v61
	v_and_b32_e32 v55, 0xffffff00, v55
	v_sub_i16 v56, v56, v57 clamp
	v_or_b32_sdwa v55, v56, v55 dst_sel:DWORD dst_unused:UNUSED_PAD src0_sel:BYTE_1 src1_sel:DWORD
	v_and_b32_sdwa v56, v22, s23 dst_sel:DWORD dst_unused:UNUSED_PAD src0_sel:WORD_1 src1_sel:DWORD
	v_sub_i16 v54, v56, v54 clamp
	v_lshlrev_b16_sdwa v22, v35, v22 dst_sel:DWORD dst_unused:UNUSED_PAD src0_sel:DWORD src1_sel:WORD_1
	v_lshlrev_b16_e32 v56, 8, v60
	v_and_b32_e32 v54, 0xffffff00, v54
	v_sub_i16 v22, v22, v56 clamp
	v_or_b32_sdwa v22, v22, v54 dst_sel:WORD_1 dst_unused:UNUSED_PAD src0_sel:BYTE_1 src1_sel:DWORD
	v_dot4c_i32_i8_e32 v48, v53, v7
	v_or_b32_sdwa v22, v55, v22 dst_sel:DWORD dst_unused:UNUSED_PAD src0_sel:WORD_0 src1_sel:DWORD
	v_dot4c_i32_i8_e32 v48, v22, v0
	v_and_b32_e32 v22, 0xff, v23
	v_lshlrev_b32_e32 v53, 4, v50
	v_and_or_b32 v22, v53, s22, v22
	v_lshlrev_b32_e32 v22, 2, v22
	global_load_dword v22, v22, s[20:21]
	v_lshrrev_b16_e32 v53, 8, v23
	v_lshlrev_b32_e32 v54, 3, v50
	v_and_or_b32 v53, v54, s22, v53
	v_lshlrev_b32_e32 v53, 2, v53
	global_load_dword v53, v53, s[20:21]
	v_bfe_u32 v57, v49, 19, 1
	v_lshlrev_b32_sdwa v54, v33, v49 dst_sel:DWORD dst_unused:UNUSED_PAD src0_sel:DWORD src1_sel:BYTE_2
	v_bfe_u32 v56, v51, 1, 7
	v_cmp_ne_u16_e32 vcc, 0, v57
	v_and_b32_e32 v55, 1, v51
	v_bfe_i32 v56, v56, 0, 1
	v_lshrrev_b16_e32 v54, 7, v54
	v_cndmask_b32_e64 v57, 0, -1, vcc
	v_sub_u16_e32 v55, 0, v55
	v_bfe_i32 v54, v54, 0, 1
	v_lshlrev_b16_e32 v56, 8, v56
	v_lshlrev_b16_e32 v57, 8, v57
	v_or_b32_sdwa v58, v55, v56 dst_sel:DWORD dst_unused:UNUSED_PAD src0_sel:BYTE_0 src1_sel:DWORD
	v_or_b32_sdwa v59, v54, v57 dst_sel:WORD_1 dst_unused:UNUSED_PAD src0_sel:BYTE_0 src1_sel:DWORD
	v_bfe_u32 v62, v51, 7, 1
	v_or_b32_sdwa v58, v58, v59 dst_sel:DWORD dst_unused:UNUSED_PAD src0_sel:WORD_0 src1_sel:DWORD
	v_lshlrev_b32_sdwa v59, v34, v49 dst_sel:DWORD dst_unused:UNUSED_PAD src0_sel:DWORD src1_sel:BYTE_2
	v_bfe_u32 v61, v51, 5, 3
	v_cmp_ne_u16_e32 vcc, 0, v62
	v_bfe_i32 v61, v61, 0, 1
	v_lshrrev_b16_e32 v59, 7, v59
	v_cndmask_b32_e64 v62, 0, -1, vcc
	v_lshlrev_b16_e32 v55, 8, v55
	v_bfe_i32 v60, v49, 20, 1
	v_bfe_i32 v59, v59, 0, 1
	v_lshlrev_b16_e32 v61, 8, v61
	v_lshlrev_b16_e32 v62, 8, v62
	v_or_b32_sdwa v63, v60, v61 dst_sel:DWORD dst_unused:UNUSED_PAD src0_sel:BYTE_0 src1_sel:DWORD
	v_or_b32_sdwa v64, v59, v62 dst_sel:WORD_1 dst_unused:UNUSED_PAD src0_sel:BYTE_0 src1_sel:DWORD
	v_lshlrev_b16_e32 v54, 8, v54
	v_or_b32_sdwa v63, v63, v64 dst_sel:DWORD dst_unused:UNUSED_PAD src0_sel:WORD_0 src1_sel:DWORD
	v_lshlrev_b16_e32 v51, 7, v51
	v_ashrrev_i16_e32 v51, 15, v51
	s_waitcnt vmcnt(1)
	v_xor_b32_e32 v22, v22, v58
	v_and_b32_e32 v58, 0xffffff00, v22
	v_sub_i16 v56, v58, v56 clamp
	v_lshlrev_b16_e32 v58, 8, v22
	v_and_b32_e32 v56, 0xffffff00, v56
	v_sub_i16 v55, v58, v55 clamp
	v_or_b32_sdwa v55, v55, v56 dst_sel:DWORD dst_unused:UNUSED_PAD src0_sel:BYTE_1 src1_sel:DWORD
	v_and_b32_sdwa v56, v22, s23 dst_sel:DWORD dst_unused:UNUSED_PAD src0_sel:WORD_1 src1_sel:DWORD
	v_sub_i16 v56, v56, v57 clamp
	v_lshlrev_b16_sdwa v22, v35, v22 dst_sel:DWORD dst_unused:UNUSED_PAD src0_sel:DWORD src1_sel:WORD_1
	v_and_b32_e32 v56, 0xffffff00, v56
	v_sub_i16 v22, v22, v54 clamp
	s_waitcnt vmcnt(0)
	v_xor_b32_e32 v53, v53, v63
	v_or_b32_sdwa v22, v22, v56 dst_sel:WORD_1 dst_unused:UNUSED_PAD src0_sel:BYTE_1 src1_sel:DWORD
	v_and_b32_e32 v54, 0xffffff00, v53
	v_or_b32_sdwa v22, v55, v22 dst_sel:DWORD dst_unused:UNUSED_PAD src0_sel:WORD_0 src1_sel:DWORD
	v_sub_i16 v54, v54, v61 clamp
	v_lshlrev_b16_e32 v55, 8, v53
	v_lshlrev_b16_e32 v56, 8, v60
	v_and_b32_e32 v54, 0xffffff00, v54
	v_sub_i16 v55, v55, v56 clamp
	v_or_b32_sdwa v54, v55, v54 dst_sel:DWORD dst_unused:UNUSED_PAD src0_sel:BYTE_1 src1_sel:DWORD
	v_and_b32_sdwa v55, v53, s23 dst_sel:DWORD dst_unused:UNUSED_PAD src0_sel:WORD_1 src1_sel:DWORD
	v_sub_i16 v55, v55, v62 clamp
	v_lshlrev_b16_sdwa v53, v35, v53 dst_sel:DWORD dst_unused:UNUSED_PAD src0_sel:DWORD src1_sel:WORD_1
	v_lshlrev_b16_e32 v56, 8, v59
	v_and_b32_e32 v55, 0xffffff00, v55
	v_sub_i16 v53, v53, v56 clamp
	v_or_b32_sdwa v53, v53, v55 dst_sel:WORD_1 dst_unused:UNUSED_PAD src0_sel:BYTE_1 src1_sel:DWORD
	v_dot4c_i32_i8_e32 v48, v22, v1
	v_or_b32_sdwa v53, v54, v53 dst_sel:DWORD dst_unused:UNUSED_PAD src0_sel:WORD_0 src1_sel:DWORD
	v_dot4c_i32_i8_e32 v48, v53, v2
	v_bfe_u32 v22, v23, 16, 8
	v_lshlrev_b32_e32 v53, 2, v50
	v_and_or_b32 v22, v53, s22, v22
	v_lshlrev_b32_e32 v22, 2, v22
	global_load_dword v22, v22, s[20:21]
	v_lshrrev_b32_e32 v23, 24, v23
	v_lshlrev_b32_e32 v50, 1, v50
	v_and_or_b32 v23, v50, s22, v23
	v_lshlrev_b32_e32 v23, 2, v23
	global_load_dword v23, v23, s[20:21]
	v_bfe_u32 v54, v49, 27, 1
	v_lshlrev_b32_e32 v50, 5, v52
	v_lshrrev_b32_e32 v53, 25, v49
	v_cmp_ne_u16_e32 vcc, 0, v54
	v_bfe_i32 v53, v53, 0, 1
	v_lshrrev_b16_e32 v50, 7, v50
	v_cndmask_b32_e64 v54, 0, -1, vcc
	v_bfe_i32 v50, v50, 0, 1
	v_lshlrev_b16_e32 v53, 8, v53
	v_lshlrev_b16_e32 v54, 8, v54
	v_or_b32_sdwa v55, v51, v53 dst_sel:DWORD dst_unused:UNUSED_PAD src0_sel:BYTE_0 src1_sel:DWORD
	v_or_b32_sdwa v56, v50, v54 dst_sel:WORD_1 dst_unused:UNUSED_PAD src0_sel:BYTE_0 src1_sel:DWORD
	v_lshrrev_b32_e32 v57, 29, v49
	v_or_b32_sdwa v55, v55, v56 dst_sel:DWORD dst_unused:UNUSED_PAD src0_sel:WORD_0 src1_sel:DWORD
	v_lshrrev_b32_e32 v49, 31, v49
	v_lshlrev_b32_e32 v56, 1, v52
	v_cmp_ne_u16_e32 vcc, 0, v49
	v_bfe_i32 v57, v57, 0, 1
	v_lshrrev_b16_e32 v56, 7, v56
	v_cndmask_b32_e64 v49, 0, -1, vcc
	v_lshlrev_b16_e32 v51, 8, v51
	v_bfe_i32 v52, v52, 4, 1
	v_bfe_i32 v56, v56, 0, 1
	v_lshlrev_b16_e32 v57, 8, v57
	v_lshlrev_b16_e32 v49, 8, v49
	v_or_b32_sdwa v58, v52, v57 dst_sel:DWORD dst_unused:UNUSED_PAD src0_sel:BYTE_0 src1_sel:DWORD
	v_or_b32_sdwa v59, v56, v49 dst_sel:WORD_1 dst_unused:UNUSED_PAD src0_sel:BYTE_0 src1_sel:DWORD
	v_lshlrev_b16_e32 v50, 8, v50
	v_or_b32_sdwa v58, v58, v59 dst_sel:DWORD dst_unused:UNUSED_PAD src0_sel:WORD_0 src1_sel:DWORD
	v_lshlrev_b16_e32 v52, 8, v52
	s_waitcnt vmcnt(1)
	v_xor_b32_e32 v22, v22, v55
	v_and_b32_e32 v55, 0xffffff00, v22
	v_sub_i16 v53, v55, v53 clamp
	v_lshlrev_b16_e32 v55, 8, v22
	v_and_b32_e32 v53, 0xffffff00, v53
	v_sub_i16 v51, v55, v51 clamp
	v_or_b32_sdwa v51, v51, v53 dst_sel:DWORD dst_unused:UNUSED_PAD src0_sel:BYTE_1 src1_sel:DWORD
	v_and_b32_sdwa v53, v22, s23 dst_sel:DWORD dst_unused:UNUSED_PAD src0_sel:WORD_1 src1_sel:DWORD
	v_sub_i16 v53, v53, v54 clamp
	v_lshlrev_b16_sdwa v22, v35, v22 dst_sel:DWORD dst_unused:UNUSED_PAD src0_sel:DWORD src1_sel:WORD_1
	v_and_b32_e32 v53, 0xffffff00, v53
	v_sub_i16 v22, v22, v50 clamp
	s_waitcnt vmcnt(0)
	v_xor_b32_e32 v23, v23, v58
	v_or_b32_sdwa v22, v22, v53 dst_sel:WORD_1 dst_unused:UNUSED_PAD src0_sel:BYTE_1 src1_sel:DWORD
	v_and_b32_e32 v50, 0xffffff00, v23
	v_or_b32_sdwa v22, v51, v22 dst_sel:DWORD dst_unused:UNUSED_PAD src0_sel:WORD_0 src1_sel:DWORD
	v_sub_i16 v50, v50, v57 clamp
	v_lshlrev_b16_e32 v51, 8, v23
	v_and_b32_e32 v50, 0xffffff00, v50
	v_sub_i16 v51, v51, v52 clamp
	v_or_b32_sdwa v50, v51, v50 dst_sel:DWORD dst_unused:UNUSED_PAD src0_sel:BYTE_1 src1_sel:DWORD
	v_and_b32_sdwa v51, v23, s23 dst_sel:DWORD dst_unused:UNUSED_PAD src0_sel:WORD_1 src1_sel:DWORD
	v_sub_i16 v49, v51, v49 clamp
	v_lshlrev_b16_sdwa v23, v35, v23 dst_sel:DWORD dst_unused:UNUSED_PAD src0_sel:DWORD src1_sel:WORD_1
	v_lshlrev_b16_e32 v51, 8, v56
	v_and_b32_e32 v49, 0xffffff00, v49
	v_sub_i16 v23, v23, v51 clamp
	v_or_b32_sdwa v23, v23, v49 dst_sel:WORD_1 dst_unused:UNUSED_PAD src0_sel:BYTE_1 src1_sel:DWORD
	v_dot4c_i32_i8_e32 v48, v22, v3
	v_or_b32_sdwa v23, v50, v23 dst_sel:DWORD dst_unused:UNUSED_PAD src0_sel:WORD_0 src1_sel:DWORD
	v_dot4c_i32_i8_e32 v48, v23, v36
	v_lshl_add_u64 v[22:23], v[20:21], 0, v[10:11]
	global_load_ubyte v22, v[22:23], off offset:106
	s_nop 0
	global_load_ushort v20, v[20:21], off
	s_waitcnt vmcnt(1)
	v_lshrrev_b32_e32 v22, v32, v22
	v_lshlrev_b32_e32 v22, 1, v22
	v_and_or_b32 v22, v22, 30, 1
	v_mul_lo_u32 v22, v48, v22
	s_waitcnt vmcnt(0)
	v_cvt_f32_f16_e32 v20, v20
	v_cvt_f32_i32_e32 v21, v22
	v_mul_f32_e32 v20, v4, v20
	v_fmac_f32_e32 v29, v20, v21
	s_branch .LBB255_13
.LBB255_16:
	s_or_b64 exec, exec, s[18:19]
.LBB255_17:
	s_or_b64 exec, exec, s[10:11]
	s_load_dword s3, s[0:1], 0x30
	v_cmp_eq_u32_e64 s[10:11], 0, v28
	v_cmp_ne_u32_e32 vcc, 0, v28
	s_and_saveexec_b64 s[16:17], vcc
	s_cbranch_execz .LBB255_20
; %bb.18:
	v_add_u32_e32 v0, -1, v28
	v_lshl_add_u32 v0, v0, 8, v24
	s_and_b64 vcc, exec, s[8:9]
	ds_write_b32 v0, v31
	s_cbranch_vccnz .LBB255_20
; %bb.19:
	ds_write_b32 v0, v29 offset:256
.LBB255_20:
	s_or_b64 exec, exec, s[16:17]
	s_waitcnt lgkmcnt(0)
	s_barrier
	s_and_saveexec_b64 s[16:17], s[10:11]
	s_cbranch_execz .LBB255_49
; %bb.21:
	ds_read_b32 v0, v24
	s_and_b64 vcc, exec, s[8:9]
	s_cbranch_vccnz .LBB255_23
; %bb.22:
	ds_read_b32 v1, v24 offset:256
	s_waitcnt lgkmcnt(0)
	v_add_f32_e32 v29, v29, v1
.LBB255_23:
	s_waitcnt lgkmcnt(0)
	v_add_f32_e32 v1, v31, v0
	v_mbcnt_lo_u32_b32 v0, -1, 0
	v_mbcnt_hi_u32_b32 v4, -1, v0
	v_and_b32_e32 v0, 64, v4
	v_add_u32_e32 v7, 64, v0
	v_xor_b32_e32 v0, 32, v4
	v_cmp_lt_i32_e32 vcc, v0, v7
	v_xor_b32_e32 v3, 16, v4
	v_xor_b32_e32 v5, 8, v4
	v_cndmask_b32_e32 v0, v4, v0, vcc
	v_lshlrev_b32_e32 v0, 2, v0
	ds_bpermute_b32 v2, v0, v1
	v_cmp_lt_i32_e32 vcc, v3, v7
	v_xor_b32_e32 v6, 4, v4
	v_xor_b32_e32 v8, 2, v4
	;; [unrolled: 1-line block ×3, first 2 shown]
	s_waitcnt lgkmcnt(0)
	v_add_f32_e32 v2, v1, v2
	v_cndmask_b32_e32 v1, v4, v3, vcc
	v_lshlrev_b32_e32 v1, 2, v1
	ds_bpermute_b32 v3, v1, v2
	v_cmp_lt_i32_e32 vcc, v5, v7
	s_waitcnt lgkmcnt(0)
	v_add_f32_e32 v2, v2, v3
	v_cndmask_b32_e32 v3, v4, v5, vcc
	v_lshlrev_b32_e32 v3, 2, v3
	ds_bpermute_b32 v5, v3, v2
	v_cmp_lt_i32_e32 vcc, v6, v7
	;; [unrolled: 6-line block ×4, first 2 shown]
	s_waitcnt lgkmcnt(0)
	v_add_f32_e32 v2, v2, v8
	v_cndmask_b32_e32 v4, v4, v9, vcc
	v_lshlrev_b32_e32 v7, 2, v4
	ds_bpermute_b32 v4, v7, v2
	s_and_b64 vcc, exec, s[8:9]
	s_cbranch_vccnz .LBB255_25
; %bb.24:
	ds_bpermute_b32 v0, v0, v29
	s_waitcnt lgkmcnt(0)
	v_add_f32_e32 v0, v29, v0
	ds_bpermute_b32 v1, v1, v0
	s_waitcnt lgkmcnt(0)
	v_add_f32_e32 v0, v0, v1
	;; [unrolled: 3-line block ×6, first 2 shown]
.LBB255_25:
	v_cmp_eq_u32_e32 vcc, 0, v25
	s_and_b64 exec, exec, vcc
	s_cbranch_execz .LBB255_49
; %bb.26:
	s_waitcnt lgkmcnt(0)
	v_add_f32_e32 v0, v2, v4
	s_waitcnt vmcnt(0)
	v_add_f32_e32 v1, v27, v0
	s_and_b64 vcc, exec, s[8:9]
	v_cndmask_b32_e64 v0, v0, v1, s[12:13]
	s_cbranch_vccnz .LBB255_48
; %bb.27:
	v_add_f32_e32 v1, v26, v29
	v_cndmask_b32_e64 v1, v29, v1, s[6:7]
	s_cmp_lt_i32 s3, 2
	s_mov_b64 s[6:7], 0
	s_cbranch_scc1 .LBB255_31
; %bb.28:
	s_cmp_gt_i32 s3, 2
	s_cbranch_scc0 .LBB255_32
; %bb.29:
	s_cmp_eq_u32 s3, 3
	s_cbranch_scc0 .LBB255_33
; %bb.30:
	v_max_f32_e32 v2, v1, v1
	v_min_f32_e32 v4, 0x40e00000, v2
	v_mul_f32_e32 v3, 0xbfd9db23, v4
	s_mov_b32 s5, 0x3fb8aa3b
	v_mul_f32_e32 v2, 0x3fb8aa3b, v3
	v_fma_f32 v5, v3, s5, -v2
	v_rndne_f32_e32 v6, v2
	v_fmamk_f32 v5, v3, 0x32a5705f, v5
	v_sub_f32_e32 v2, v2, v6
	v_add_f32_e32 v2, v2, v5
	v_exp_f32_e32 v5, v2
	v_cvt_i32_f32_e32 v6, v6
	s_mov_b32 s5, 0xc2ce8ed0
	v_max_f32_e32 v2, v0, v0
	v_cmp_ngt_f32_e32 vcc, s5, v3
	v_ldexp_f32 v5, v5, v6
	s_mov_b32 s5, 0x42b17218
	v_min_f32_e32 v2, 0x40e00000, v2
	v_cndmask_b32_e32 v5, 0, v5, vcc
	v_mov_b32_e32 v6, 0x7f800000
	v_cmp_nlt_f32_e32 vcc, s5, v3
	v_max_f32_e32 v2, 0xc0e00000, v2
	s_nop 0
	v_cndmask_b32_e32 v3, v6, v5, vcc
	v_pk_add_f32 v[2:3], v[2:3], 1.0 op_sel_hi:[1,0]
	s_nop 0
	v_div_scale_f32 v5, s[8:9], v3, v3, v4
	v_rcp_f32_e32 v6, v5
	s_mov_b64 s[8:9], 0
	v_fma_f32 v7, -v5, v6, 1.0
	v_fmac_f32_e32 v6, v7, v6
	v_div_scale_f32 v7, vcc, v4, v3, v4
	v_mul_f32_e32 v8, v7, v6
	v_fma_f32 v9, -v5, v8, v7
	v_fmac_f32_e32 v8, v9, v6
	v_fma_f32 v5, -v5, v8, v7
	v_div_fmas_f32 v5, v5, v6, v8
	v_div_fixup_f32 v3, v5, v3, v4
	v_mul_f32_e32 v2, v2, v3
	s_branch .LBB255_34
.LBB255_31:
                                        ; implicit-def: $vgpr2
	s_mov_b64 s[8:9], 0
	s_cbranch_execnz .LBB255_38
	s_branch .LBB255_39
.LBB255_32:
	s_mov_b64 s[10:11], -1
	s_mov_b64 s[8:9], 0
                                        ; implicit-def: $vgpr2
	s_branch .LBB255_35
.LBB255_33:
	s_mov_b64 s[8:9], -1
                                        ; implicit-def: $vgpr2
.LBB255_34:
	s_mov_b64 s[10:11], 0
.LBB255_35:
	s_and_b64 vcc, exec, s[10:11]
	s_cbranch_vccz .LBB255_37
; %bb.36:
	v_mul_f32_e32 v2, 0xbfb8aa3b, v1
	s_mov_b32 s5, 0xbfb8aa3b
	v_rndne_f32_e32 v3, v2
	v_sub_f32_e32 v4, v2, v3
	v_fma_f32 v2, v1, s5, -v2
	v_fmamk_f32 v2, v1, 0xb2a5705f, v2
	v_add_f32_e32 v2, v4, v2
	v_exp_f32_e32 v2, v2
	v_cvt_i32_f32_e32 v3, v3
	s_mov_b32 s5, 0x42ce8ed0
	v_cmp_nlt_f32_e32 vcc, s5, v1
	s_mov_b32 s5, 0xc2b17218
	v_ldexp_f32 v2, v2, v3
	v_cndmask_b32_e32 v2, 0, v2, vcc
	v_mov_b32_e32 v3, 0x7f800000
	v_cmp_ngt_f32_e32 vcc, s5, v1
	s_nop 1
	v_cndmask_b32_e32 v2, v3, v2, vcc
	v_add_f32_e32 v2, 1.0, v2
	v_div_scale_f32 v3, s[10:11], v2, v2, v1
	v_rcp_f32_e32 v4, v3
	s_nop 0
	v_fma_f32 v5, -v3, v4, 1.0
	v_fmac_f32_e32 v4, v5, v4
	v_div_scale_f32 v5, vcc, v1, v2, v1
	v_mul_f32_e32 v6, v5, v4
	v_fma_f32 v7, -v3, v6, v5
	v_fmac_f32_e32 v6, v7, v4
	v_fma_f32 v3, -v3, v6, v5
	v_div_fmas_f32 v3, v3, v4, v6
	v_div_fixup_f32 v2, v3, v2, v1
	v_mul_f32_e32 v2, v0, v2
.LBB255_37:
	s_branch .LBB255_39
.LBB255_38:
	s_cmp_lg_u32 s3, 1
	s_mov_b64 s[6:7], -1
	s_cselect_b64 s[8:9], -1, 0
                                        ; implicit-def: $vgpr2
.LBB255_39:
	s_andn2_b64 vcc, exec, s[8:9]
	s_cbranch_vccz .LBB255_41
; %bb.40:
	s_andn2_b64 vcc, exec, s[6:7]
	s_cbranch_vccz .LBB255_42
	s_branch .LBB255_47
.LBB255_41:
	v_mul_f32_e32 v2, v0, v1
	s_cbranch_execnz .LBB255_47
.LBB255_42:
	v_mul_f32_e32 v3, 0x3d372713, v1
	v_mul_f32_e32 v2, 0x3f4c422a, v1
	v_fma_f32 v3, v1, v3, 1.0
	v_mul_f32_e32 v2, v2, v3
	s_mov_b32 s3, 0x3f200000
	v_cmp_nlt_f32_e64 s[6:7], |v2|, s3
                                        ; implicit-def: $vgpr3
	s_and_saveexec_b64 s[8:9], s[6:7]
	s_xor_b64 s[6:7], exec, s[8:9]
	s_cbranch_execz .LBB255_44
; %bb.43:
	v_add_f32_e64 v3, |v2|, |v2|
	v_mul_f32_e32 v4, 0x3fb8aa3b, v3
	s_mov_b32 s3, 0x3fb8aa3b
	v_rndne_f32_e32 v5, v4
	v_sub_f32_e32 v6, v4, v5
	v_fma_f32 v4, v3, s3, -v4
	v_fmamk_f32 v4, v3, 0x32a5705f, v4
	v_add_f32_e32 v4, v6, v4
	v_exp_f32_e32 v4, v4
	v_cvt_i32_f32_e32 v5, v5
	s_mov_b32 s3, 0xc2ce8ed0
	v_cmp_ngt_f32_e32 vcc, s3, v3
	s_mov_b32 s3, 0x42b17218
	v_ldexp_f32 v4, v4, v5
	v_cndmask_b32_e32 v4, 0, v4, vcc
	v_mov_b32_e32 v5, 0x7f800000
	v_cmp_nlt_f32_e32 vcc, s3, v3
	s_nop 1
	v_cndmask_b32_e32 v3, v5, v4, vcc
	v_add_f32_e32 v3, 1.0, v3
	v_rcp_f32_e32 v3, v3
	s_nop 0
	v_fma_f32 v3, v3, -2.0, 1.0
.LBB255_44:
	s_andn2_saveexec_b64 s[6:7], s[6:7]
; %bb.45:
	v_mul_f32_e32 v3, v2, v2
	v_mov_b32_e32 v4, 0x3ca908c9
	v_fmac_f32_e32 v4, 0xbbbac73d, v3
	v_fmaak_f32 v4, v3, v4, 0xbd5c1c4e
	v_fmaak_f32 v4, v3, v4, 0x3e088382
	;; [unrolled: 1-line block ×3, first 2 shown]
	v_mul_f32_e64 v4, |v2|, v4
	v_fma_f32 v3, v3, v4, |v2|
; %bb.46:
	s_or_b64 exec, exec, s[6:7]
	s_brev_b32 s3, -2
	v_bfi_b32 v2, s3, v3, v2
	v_mul_f32_e32 v1, 0.5, v1
	v_add_f32_e32 v2, 1.0, v2
	v_mul_f32_e32 v1, v1, v2
	v_mul_f32_e32 v2, v0, v1
.LBB255_47:
	v_mov_b32_e32 v0, v2
.LBB255_48:
	s_load_dwordx2 s[0:1], s[0:1], 0x38
	s_mul_i32 s3, s14, s26
	s_mul_i32 s4, s4, s30
	s_add_i32 s2, s3, s2
	s_add_i32 s2, s2, s4
	s_mov_b32 s3, 0
	s_lshl_b64 s[2:3], s[2:3], 2
	s_waitcnt lgkmcnt(0)
	s_add_u32 s0, s0, s2
	s_addc_u32 s1, s1, s3
	global_store_dword v24, v0, s[0:1]
.LBB255_49:
	s_endpgm
	.section	.rodata,"a",@progbits
	.p2align	6, 0x0
	.amdhsa_kernel _ZL13mul_mat_vec_qIL9ggml_type21ELi1ELb1ELb0EEvPKvS2_PKi31ggml_cuda_mm_fusion_args_devicePfj15HIP_vector_typeIjLj3EEjjjS8_jjjS8_jjjj
		.amdhsa_group_segment_fixed_size 512
		.amdhsa_private_segment_fixed_size 0
		.amdhsa_kernarg_size 144
		.amdhsa_user_sgpr_count 2
		.amdhsa_user_sgpr_dispatch_ptr 0
		.amdhsa_user_sgpr_queue_ptr 0
		.amdhsa_user_sgpr_kernarg_segment_ptr 1
		.amdhsa_user_sgpr_dispatch_id 0
		.amdhsa_user_sgpr_kernarg_preload_length 0
		.amdhsa_user_sgpr_kernarg_preload_offset 0
		.amdhsa_user_sgpr_private_segment_size 0
		.amdhsa_uses_dynamic_stack 0
		.amdhsa_enable_private_segment 0
		.amdhsa_system_sgpr_workgroup_id_x 1
		.amdhsa_system_sgpr_workgroup_id_y 1
		.amdhsa_system_sgpr_workgroup_id_z 1
		.amdhsa_system_sgpr_workgroup_info 0
		.amdhsa_system_vgpr_workitem_id 1
		.amdhsa_next_free_vgpr 65
		.amdhsa_next_free_sgpr 44
		.amdhsa_accum_offset 68
		.amdhsa_reserve_vcc 1
		.amdhsa_float_round_mode_32 0
		.amdhsa_float_round_mode_16_64 0
		.amdhsa_float_denorm_mode_32 3
		.amdhsa_float_denorm_mode_16_64 3
		.amdhsa_dx10_clamp 1
		.amdhsa_ieee_mode 1
		.amdhsa_fp16_overflow 0
		.amdhsa_tg_split 0
		.amdhsa_exception_fp_ieee_invalid_op 0
		.amdhsa_exception_fp_denorm_src 0
		.amdhsa_exception_fp_ieee_div_zero 0
		.amdhsa_exception_fp_ieee_overflow 0
		.amdhsa_exception_fp_ieee_underflow 0
		.amdhsa_exception_fp_ieee_inexact 0
		.amdhsa_exception_int_div_zero 0
	.end_amdhsa_kernel
	.section	.text._ZL13mul_mat_vec_qIL9ggml_type21ELi1ELb1ELb0EEvPKvS2_PKi31ggml_cuda_mm_fusion_args_devicePfj15HIP_vector_typeIjLj3EEjjjS8_jjjS8_jjjj,"axG",@progbits,_ZL13mul_mat_vec_qIL9ggml_type21ELi1ELb1ELb0EEvPKvS2_PKi31ggml_cuda_mm_fusion_args_devicePfj15HIP_vector_typeIjLj3EEjjjS8_jjjS8_jjjj,comdat
.Lfunc_end255:
	.size	_ZL13mul_mat_vec_qIL9ggml_type21ELi1ELb1ELb0EEvPKvS2_PKi31ggml_cuda_mm_fusion_args_devicePfj15HIP_vector_typeIjLj3EEjjjS8_jjjS8_jjjj, .Lfunc_end255-_ZL13mul_mat_vec_qIL9ggml_type21ELi1ELb1ELb0EEvPKvS2_PKi31ggml_cuda_mm_fusion_args_devicePfj15HIP_vector_typeIjLj3EEjjjS8_jjjS8_jjjj
                                        ; -- End function
	.section	.AMDGPU.csdata,"",@progbits
; Kernel info:
; codeLenInByte = 6356
; NumSgprs: 50
; NumVgprs: 65
; NumAgprs: 0
; TotalNumVgprs: 65
; ScratchSize: 0
; MemoryBound: 0
; FloatMode: 240
; IeeeMode: 1
; LDSByteSize: 512 bytes/workgroup (compile time only)
; SGPRBlocks: 6
; VGPRBlocks: 8
; NumSGPRsForWavesPerEU: 50
; NumVGPRsForWavesPerEU: 65
; AccumOffset: 68
; Occupancy: 7
; WaveLimiterHint : 0
; COMPUTE_PGM_RSRC2:SCRATCH_EN: 0
; COMPUTE_PGM_RSRC2:USER_SGPR: 2
; COMPUTE_PGM_RSRC2:TRAP_HANDLER: 0
; COMPUTE_PGM_RSRC2:TGID_X_EN: 1
; COMPUTE_PGM_RSRC2:TGID_Y_EN: 1
; COMPUTE_PGM_RSRC2:TGID_Z_EN: 1
; COMPUTE_PGM_RSRC2:TIDIG_COMP_CNT: 1
; COMPUTE_PGM_RSRC3_GFX90A:ACCUM_OFFSET: 16
; COMPUTE_PGM_RSRC3_GFX90A:TG_SPLIT: 0
	.section	.text._ZL13mul_mat_vec_qIL9ggml_type21ELi1ELb0ELb0EEvPKvS2_PKi31ggml_cuda_mm_fusion_args_devicePfj15HIP_vector_typeIjLj3EEjjjS8_jjjS8_jjjj,"axG",@progbits,_ZL13mul_mat_vec_qIL9ggml_type21ELi1ELb0ELb0EEvPKvS2_PKi31ggml_cuda_mm_fusion_args_devicePfj15HIP_vector_typeIjLj3EEjjjS8_jjjS8_jjjj,comdat
	.globl	_ZL13mul_mat_vec_qIL9ggml_type21ELi1ELb0ELb0EEvPKvS2_PKi31ggml_cuda_mm_fusion_args_devicePfj15HIP_vector_typeIjLj3EEjjjS8_jjjS8_jjjj ; -- Begin function _ZL13mul_mat_vec_qIL9ggml_type21ELi1ELb0ELb0EEvPKvS2_PKi31ggml_cuda_mm_fusion_args_devicePfj15HIP_vector_typeIjLj3EEjjjS8_jjjS8_jjjj
	.p2align	8
	.type	_ZL13mul_mat_vec_qIL9ggml_type21ELi1ELb0ELb0EEvPKvS2_PKi31ggml_cuda_mm_fusion_args_devicePfj15HIP_vector_typeIjLj3EEjjjS8_jjjS8_jjjj,@function
_ZL13mul_mat_vec_qIL9ggml_type21ELi1ELb0ELb0EEvPKvS2_PKi31ggml_cuda_mm_fusion_args_devicePfj15HIP_vector_typeIjLj3EEjjjS8_jjjS8_jjjj: ; @_ZL13mul_mat_vec_qIL9ggml_type21ELi1ELb0ELb0EEvPKvS2_PKi31ggml_cuda_mm_fusion_args_devicePfj15HIP_vector_typeIjLj3EEjjjS8_jjjS8_jjjj
; %bb.0:
	s_load_dwordx2 s[8:9], s[0:1], 0x10
	s_load_dwordx4 s[16:19], s[0:1], 0x40
	s_mov_b32 s20, s3
	s_mov_b64 s[12:13], 0
	s_waitcnt lgkmcnt(0)
	s_cmp_lg_u64 s[8:9], 0
	s_cselect_b64 s[6:7], -1, 0
	s_cmp_eq_u64 s[8:9], 0
	s_cbranch_scc1 .LBB256_5
; %bb.1:
	s_mov_b32 s21, 0
	s_lshl_b64 s[10:11], s[20:21], 2
	s_add_u32 s8, s8, s10
	s_addc_u32 s9, s9, s11
	s_load_dword s5, s[8:9], 0x0
	s_nop 0
	s_load_dwordx4 s[8:11], s[0:1], 0x68
	s_load_dword s21, s[0:1], 0x50
	s_andn2_b64 vcc, exec, s[12:13]
	s_cbranch_vccnz .LBB256_3
.LBB256_2:
	s_load_dwordx2 s[12:13], s[0:1], 0x5c
	s_waitcnt lgkmcnt(0)
	s_mul_hi_u32 s3, s12, s20
	s_add_i32 s3, s20, s3
	s_lshr_b32 s5, s3, s13
.LBB256_3:
	s_load_dword s22, s[0:1], 0x78
	s_andn2_b64 vcc, exec, s[6:7]
	s_cbranch_vccnz .LBB256_6
; %bb.4:
	s_mul_hi_u32 s3, s17, s20
	s_add_i32 s3, s20, s3
	s_lshr_b32 s3, s3, s18
	s_mul_i32 s3, s3, s19
	s_sub_i32 s17, s20, s3
	s_branch .LBB256_7
.LBB256_5:
                                        ; implicit-def: $sgpr5
	s_load_dwordx4 s[8:11], s[0:1], 0x68
	s_load_dword s21, s[0:1], 0x50
	s_branch .LBB256_2
.LBB256_6:
	s_mov_b32 s17, s20
.LBB256_7:
	s_load_dwordx4 s[12:15], s[0:1], 0x80
	v_bfe_u32 v19, v0, 10, 10
	v_and_b32_e32 v18, 0x3ff, v0
	v_lshl_add_u32 v0, v19, 6, v18
	s_lshr_b32 s3, s16, 8
	v_lshrrev_b32_e32 v20, 3, v0
	v_cmp_gt_u32_e32 vcc, s3, v20
	v_mov_b32_e32 v21, 0
	s_and_saveexec_b64 s[6:7], vcc
	s_cbranch_execz .LBB256_11
; %bb.8:
	s_waitcnt lgkmcnt(0)
	s_mul_i32 s5, s5, s8
	s_mul_hi_u32 s8, s11, s4
	s_add_i32 s8, s4, s8
	s_lshr_b32 s8, s8, s22
	s_mul_i32 s9, s17, s9
	s_mul_i32 s8, s8, s12
	s_load_dwordx4 s[24:27], s[0:1], 0x0
	v_lshlrev_b32_e32 v1, 1, v18
	s_add_i32 s5, s8, s5
	s_mul_hi_u32 s8, s9, 36
	s_mul_i32 s9, s9, 36
	v_and_b32_e32 v2, 14, v1
	v_bfe_u32 v6, v1, 2, 2
	v_lshrrev_b32_e32 v3, 3, v0
	v_mov_b32_e32 v0, s9
	v_mov_b32_e32 v1, s8
	s_movk_i32 s8, 0x120
	s_mul_i32 s13, s4, s13
	v_mad_u64_u32 v[0:1], s[8:9], v3, s8, v[0:1]
	v_and_b32_e32 v4, 7, v18
	v_mad_u64_u32 v[0:1], s[8:9], s13, 36, v[0:1]
	v_mad_u64_u32 v[0:1], s[8:9], v4, 36, v[0:1]
	s_mul_i32 s15, s2, s21
	v_lshlrev_b32_e32 v12, 1, v2
	v_mov_b32_e32 v5, 0
	s_waitcnt lgkmcnt(0)
	v_lshl_add_u64 v[0:1], v[0:1], 0, s[26:27]
	v_mov_b32_e32 v7, v5
	v_and_b32_e32 v22, 4, v12
	s_add_i32 s5, s5, s15
	v_lshl_add_u64 v[8:9], v[0:1], 0, 16
	s_mov_b64 s[8:9], 0
	s_movk_i32 s11, 0x6e
	v_mov_b64_e32 v[10:11], s[24:25]
	v_lshlrev_b32_e32 v12, 1, v12
	v_lshlrev_b32_e32 v14, 1, v2
	s_movk_i32 s15, 0x100
	s_movk_i32 s18, 0xff00
	s_mov_b64 s[12:13], 0x1200
	v_mov_b32_e32 v13, v5
	v_mov_b32_e32 v15, v5
	;; [unrolled: 1-line block ×6, first 2 shown]
.LBB256_9:                              ; =>This Inner Loop Header: Depth=1
	v_add_u32_e32 v0, s5, v20
	v_mad_i64_i32 v[16:17], s[16:17], v0, s11, v[10:11]
	v_lshl_add_u64 v[0:1], v[16:17], 0, v[12:13]
	global_load_dwordx2 v[32:33], v[0:1], off offset:2
	v_lshl_add_u64 v[0:1], v[16:17], 0, v[4:5]
	global_load_ubyte v27, v[0:1], off offset:66
	v_lshl_add_u64 v[0:1], v[16:17], 0, v[14:15]
	global_load_dword v34, v[0:1], off offset:74
	s_getpc_b64 s[16:17]
	s_add_u32 s16, s16, _ZL9iq3s_grid@rel32@lo+4
	s_addc_u32 s17, s17, _ZL9iq3s_grid@rel32@hi+12
	v_add_u32_e32 v20, 16, v20
	s_waitcnt vmcnt(2)
	v_and_b32_e32 v0, 0xff, v32
	s_waitcnt vmcnt(1)
	v_lshlrev_b32_e32 v1, 8, v27
	v_and_or_b32 v0, v1, s15, v0
	v_lshlrev_b32_e32 v0, 2, v0
	global_load_dword v0, v0, s[16:17]
	v_lshrrev_b16_e32 v1, 8, v32
	v_lshlrev_b32_e32 v2, 7, v27
	v_and_or_b32 v1, v2, s15, v1
	v_lshlrev_b32_e32 v1, 2, v1
	global_load_dword v1, v1, s[16:17]
	s_waitcnt vmcnt(2)
	v_bfe_u32 v28, v34, 3, 1
	v_lshlrev_b32_sdwa v2, v23, v34 dst_sel:DWORD dst_unused:UNUSED_PAD src0_sel:DWORD src1_sel:BYTE_0
	v_bfe_u32 v26, v34, 1, 7
	v_cmp_ne_u16_e32 vcc, 0, v28
	v_and_b32_e32 v3, 1, v34
	v_bfe_i32 v26, v26, 0, 1
	v_lshrrev_b16_e32 v2, 7, v2
	v_cndmask_b32_e64 v28, 0, -1, vcc
	v_sub_u16_e32 v3, 0, v3
	v_bfe_i32 v2, v2, 0, 1
	v_lshlrev_b16_e32 v26, 8, v26
	v_lshlrev_b16_e32 v28, 8, v28
	v_or_b32_sdwa v29, v3, v26 dst_sel:DWORD dst_unused:UNUSED_PAD src0_sel:BYTE_0 src1_sel:DWORD
	v_or_b32_sdwa v30, v2, v28 dst_sel:WORD_1 dst_unused:UNUSED_PAD src0_sel:BYTE_0 src1_sel:DWORD
	v_bfe_u32 v38, v34, 7, 1
	v_or_b32_sdwa v29, v29, v30 dst_sel:DWORD dst_unused:UNUSED_PAD src0_sel:WORD_0 src1_sel:DWORD
	v_lshlrev_b16_e32 v3, 8, v3
	v_lshlrev_b32_sdwa v30, v24, v34 dst_sel:DWORD dst_unused:UNUSED_PAD src0_sel:DWORD src1_sel:BYTE_0
	v_bfe_u32 v37, v34, 5, 3
	v_cmp_ne_u16_e32 vcc, 0, v38
	v_bfe_i32 v37, v37, 0, 1
	v_lshrrev_b16_e32 v30, 7, v30
	v_cndmask_b32_e64 v38, 0, -1, vcc
	v_bfe_i32 v31, v34, 4, 1
	v_bfe_i32 v30, v30, 0, 1
	v_lshlrev_b16_e32 v37, 8, v37
	v_lshlrev_b16_e32 v38, 8, v38
	;; [unrolled: 1-line block ×3, first 2 shown]
	v_or_b32_sdwa v39, v31, v37 dst_sel:DWORD dst_unused:UNUSED_PAD src0_sel:BYTE_0 src1_sel:DWORD
	v_or_b32_sdwa v40, v30, v38 dst_sel:WORD_1 dst_unused:UNUSED_PAD src0_sel:BYTE_0 src1_sel:DWORD
	v_lshrrev_b32_e32 v35, 16, v34
	v_or_b32_sdwa v39, v39, v40 dst_sel:DWORD dst_unused:UNUSED_PAD src0_sel:WORD_0 src1_sel:DWORD
	v_lshrrev_b32_e32 v36, 24, v34
	s_waitcnt vmcnt(1)
	v_xor_b32_e32 v0, v0, v29
	v_and_b32_e32 v29, 0xffffff00, v0
	v_sub_i16 v26, v29, v26 clamp
	v_lshlrev_b16_e32 v29, 8, v0
	v_and_b32_e32 v26, 0xffffff00, v26
	v_sub_i16 v3, v29, v3 clamp
	v_or_b32_sdwa v3, v3, v26 dst_sel:DWORD dst_unused:UNUSED_PAD src0_sel:BYTE_1 src1_sel:DWORD
	v_and_b32_sdwa v26, v0, s18 dst_sel:DWORD dst_unused:UNUSED_PAD src0_sel:WORD_1 src1_sel:DWORD
	v_sub_i16 v26, v26, v28 clamp
	v_lshlrev_b16_sdwa v0, v25, v0 dst_sel:DWORD dst_unused:UNUSED_PAD src0_sel:DWORD src1_sel:WORD_1
	v_and_b32_e32 v26, 0xffffff00, v26
	v_sub_i16 v0, v0, v2 clamp
	v_or_b32_sdwa v0, v0, v26 dst_sel:WORD_1 dst_unused:UNUSED_PAD src0_sel:BYTE_1 src1_sel:DWORD
	v_mov_b32_e32 v26, 0
	v_or_b32_sdwa v40, v3, v0 dst_sel:DWORD dst_unused:UNUSED_PAD src0_sel:WORD_0 src1_sel:DWORD
	s_waitcnt vmcnt(0)
	v_xor_b32_e32 v0, v1, v39
	v_and_b32_e32 v1, 0xffffff00, v0
	v_sub_i16 v1, v1, v37 clamp
	v_lshlrev_b16_e32 v2, 8, v0
	v_lshlrev_b16_e32 v3, 8, v31
	v_and_b32_e32 v1, 0xffffff00, v1
	v_sub_i16 v2, v2, v3 clamp
	v_or_b32_sdwa v1, v2, v1 dst_sel:DWORD dst_unused:UNUSED_PAD src0_sel:BYTE_1 src1_sel:DWORD
	v_and_b32_sdwa v2, v0, s18 dst_sel:DWORD dst_unused:UNUSED_PAD src0_sel:WORD_1 src1_sel:DWORD
	v_sub_i16 v2, v2, v38 clamp
	v_lshlrev_b16_sdwa v0, v25, v0 dst_sel:DWORD dst_unused:UNUSED_PAD src0_sel:DWORD src1_sel:WORD_1
	v_lshlrev_b16_e32 v3, 8, v30
	v_and_b32_e32 v2, 0xffffff00, v2
	v_sub_i16 v0, v0, v3 clamp
	v_or_b32_sdwa v0, v0, v2 dst_sel:WORD_1 dst_unused:UNUSED_PAD src0_sel:BYTE_1 src1_sel:DWORD
	v_lshlrev_b16_e32 v39, 7, v34
	v_or_b32_sdwa v37, v1, v0 dst_sel:DWORD dst_unused:UNUSED_PAD src0_sel:WORD_0 src1_sel:DWORD
	global_load_dwordx4 v[0:3], v[8:9], off offset:-16
	global_load_dword v38, v[8:9], off offset:16
	global_load_dwordx4 v[28:31], v[8:9], off
	v_ashrrev_i16_e32 v39, 15, v39
	v_lshl_add_u64 v[8:9], v[8:9], 0, s[12:13]
	s_waitcnt vmcnt(2)
	v_dot4c_i32_i8_e32 v26, v40, v1
	v_dot4c_i32_i8_e32 v26, v37, v2
	v_bfe_u32 v1, v32, 16, 8
	v_lshlrev_b32_e32 v2, 6, v27
	v_and_or_b32 v1, v2, s15, v1
	v_lshlrev_b32_e32 v1, 2, v1
	global_load_dword v1, v1, s[16:17]
	v_lshrrev_b32_e32 v2, 24, v32
	v_lshlrev_b32_e32 v32, 5, v27
	v_and_or_b32 v2, v32, s15, v2
	v_lshlrev_b32_e32 v2, 2, v2
	global_load_dword v2, v2, s[16:17]
	v_lshrrev_b16_e32 v32, 8, v34
	v_bfe_u32 v41, v32, 3, 1
	v_lshlrev_b32_e32 v37, 5, v32
	v_lshrrev_b32_e32 v40, 1, v32
	v_cmp_ne_u16_e32 vcc, 0, v41
	v_bfe_i32 v40, v40, 0, 1
	v_lshrrev_b16_e32 v37, 7, v37
	v_cndmask_b32_e64 v41, 0, -1, vcc
	v_bfe_i32 v37, v37, 0, 1
	v_lshlrev_b16_e32 v40, 8, v40
	v_lshlrev_b16_e32 v41, 8, v41
	v_or_b32_sdwa v42, v39, v40 dst_sel:DWORD dst_unused:UNUSED_PAD src0_sel:BYTE_0 src1_sel:DWORD
	v_or_b32_sdwa v43, v37, v41 dst_sel:WORD_1 dst_unused:UNUSED_PAD src0_sel:BYTE_0 src1_sel:DWORD
	v_bfe_i32 v44, v32, 4, 1
	v_or_b32_sdwa v42, v42, v43 dst_sel:DWORD dst_unused:UNUSED_PAD src0_sel:WORD_0 src1_sel:DWORD
	v_lshlrev_b32_e32 v43, 1, v32
	v_lshrrev_b32_e32 v45, 5, v32
	v_lshrrev_b32_e32 v32, 7, v32
	v_cmp_ne_u16_e32 vcc, 0, v32
	v_bfe_i32 v45, v45, 0, 1
	v_lshrrev_b16_e32 v43, 7, v43
	v_cndmask_b32_e64 v32, 0, -1, vcc
	v_lshlrev_b16_e32 v39, 8, v39
	v_bfe_i32 v43, v43, 0, 1
	v_lshlrev_b16_e32 v45, 8, v45
	v_lshlrev_b16_e32 v32, 8, v32
	v_or_b32_sdwa v46, v44, v45 dst_sel:DWORD dst_unused:UNUSED_PAD src0_sel:BYTE_0 src1_sel:DWORD
	v_or_b32_sdwa v47, v43, v32 dst_sel:WORD_1 dst_unused:UNUSED_PAD src0_sel:BYTE_0 src1_sel:DWORD
	v_lshlrev_b16_e32 v37, 8, v37
	v_or_b32_sdwa v46, v46, v47 dst_sel:DWORD dst_unused:UNUSED_PAD src0_sel:WORD_0 src1_sel:DWORD
	v_cvt_f32_f16_e32 v0, v0
	s_waitcnt vmcnt(1)
	v_xor_b32_e32 v1, v1, v42
	v_and_b32_e32 v42, 0xffffff00, v1
	v_sub_i16 v40, v42, v40 clamp
	v_lshlrev_b16_e32 v42, 8, v1
	v_and_b32_e32 v40, 0xffffff00, v40
	v_sub_i16 v39, v42, v39 clamp
	v_or_b32_sdwa v39, v39, v40 dst_sel:DWORD dst_unused:UNUSED_PAD src0_sel:BYTE_1 src1_sel:DWORD
	v_and_b32_sdwa v40, v1, s18 dst_sel:DWORD dst_unused:UNUSED_PAD src0_sel:WORD_1 src1_sel:DWORD
	v_sub_i16 v40, v40, v41 clamp
	v_lshlrev_b16_sdwa v1, v25, v1 dst_sel:DWORD dst_unused:UNUSED_PAD src0_sel:DWORD src1_sel:WORD_1
	v_and_b32_e32 v40, 0xffffff00, v40
	v_sub_i16 v1, v1, v37 clamp
	s_waitcnt vmcnt(0)
	v_xor_b32_e32 v2, v2, v46
	v_or_b32_sdwa v1, v1, v40 dst_sel:WORD_1 dst_unused:UNUSED_PAD src0_sel:BYTE_1 src1_sel:DWORD
	v_and_b32_e32 v37, 0xffffff00, v2
	v_or_b32_sdwa v1, v39, v1 dst_sel:DWORD dst_unused:UNUSED_PAD src0_sel:WORD_0 src1_sel:DWORD
	v_sub_i16 v37, v37, v45 clamp
	v_lshlrev_b16_e32 v39, 8, v2
	v_lshlrev_b16_e32 v40, 8, v44
	v_and_b32_e32 v37, 0xffffff00, v37
	v_sub_i16 v39, v39, v40 clamp
	v_or_b32_sdwa v37, v39, v37 dst_sel:DWORD dst_unused:UNUSED_PAD src0_sel:BYTE_1 src1_sel:DWORD
	v_and_b32_sdwa v39, v2, s18 dst_sel:DWORD dst_unused:UNUSED_PAD src0_sel:WORD_1 src1_sel:DWORD
	v_sub_i16 v32, v39, v32 clamp
	v_lshlrev_b16_sdwa v2, v25, v2 dst_sel:DWORD dst_unused:UNUSED_PAD src0_sel:DWORD src1_sel:WORD_1
	v_lshlrev_b16_e32 v39, 8, v43
	v_and_b32_e32 v32, 0xffffff00, v32
	v_sub_i16 v2, v2, v39 clamp
	v_or_b32_sdwa v2, v2, v32 dst_sel:WORD_1 dst_unused:UNUSED_PAD src0_sel:BYTE_1 src1_sel:DWORD
	v_dot4c_i32_i8_e32 v26, v1, v3
	v_or_b32_sdwa v2, v37, v2 dst_sel:DWORD dst_unused:UNUSED_PAD src0_sel:WORD_0 src1_sel:DWORD
	v_dot4c_i32_i8_e32 v26, v2, v28
	v_and_b32_e32 v1, 0xff, v33
	v_lshlrev_b32_e32 v2, 4, v27
	v_and_or_b32 v1, v2, s15, v1
	v_lshlrev_b32_e32 v1, 2, v1
	global_load_dword v1, v1, s[16:17]
	v_lshrrev_b16_e32 v2, 8, v33
	v_lshlrev_b32_e32 v3, 3, v27
	v_and_or_b32 v2, v3, s15, v2
	v_lshlrev_b32_e32 v2, 2, v2
	global_load_dword v2, v2, s[16:17]
	v_bfe_u32 v37, v34, 19, 1
	v_lshlrev_b32_sdwa v3, v23, v34 dst_sel:DWORD dst_unused:UNUSED_PAD src0_sel:DWORD src1_sel:BYTE_2
	v_bfe_u32 v32, v35, 1, 7
	v_cmp_ne_u16_e32 vcc, 0, v37
	v_and_b32_e32 v28, 1, v35
	v_bfe_i32 v32, v32, 0, 1
	v_lshrrev_b16_e32 v3, 7, v3
	v_cndmask_b32_e64 v37, 0, -1, vcc
	v_sub_u16_e32 v28, 0, v28
	v_bfe_i32 v3, v3, 0, 1
	v_lshlrev_b16_e32 v32, 8, v32
	v_lshlrev_b16_e32 v37, 8, v37
	v_or_b32_sdwa v39, v28, v32 dst_sel:DWORD dst_unused:UNUSED_PAD src0_sel:BYTE_0 src1_sel:DWORD
	v_or_b32_sdwa v40, v3, v37 dst_sel:WORD_1 dst_unused:UNUSED_PAD src0_sel:BYTE_0 src1_sel:DWORD
	v_bfe_u32 v43, v35, 7, 1
	v_or_b32_sdwa v39, v39, v40 dst_sel:DWORD dst_unused:UNUSED_PAD src0_sel:WORD_0 src1_sel:DWORD
	v_lshlrev_b32_sdwa v40, v24, v34 dst_sel:DWORD dst_unused:UNUSED_PAD src0_sel:DWORD src1_sel:BYTE_2
	v_bfe_u32 v42, v35, 5, 3
	v_cmp_ne_u16_e32 vcc, 0, v43
	v_bfe_i32 v42, v42, 0, 1
	v_lshrrev_b16_e32 v40, 7, v40
	v_cndmask_b32_e64 v43, 0, -1, vcc
	v_lshlrev_b16_e32 v28, 8, v28
	v_bfe_i32 v41, v34, 20, 1
	v_bfe_i32 v40, v40, 0, 1
	v_lshlrev_b16_e32 v42, 8, v42
	v_lshlrev_b16_e32 v43, 8, v43
	v_or_b32_sdwa v44, v41, v42 dst_sel:DWORD dst_unused:UNUSED_PAD src0_sel:BYTE_0 src1_sel:DWORD
	v_or_b32_sdwa v45, v40, v43 dst_sel:WORD_1 dst_unused:UNUSED_PAD src0_sel:BYTE_0 src1_sel:DWORD
	v_lshlrev_b16_e32 v3, 8, v3
	v_or_b32_sdwa v44, v44, v45 dst_sel:DWORD dst_unused:UNUSED_PAD src0_sel:WORD_0 src1_sel:DWORD
	s_waitcnt vmcnt(1)
	v_xor_b32_e32 v1, v1, v39
	v_and_b32_e32 v39, 0xffffff00, v1
	v_sub_i16 v32, v39, v32 clamp
	v_lshlrev_b16_e32 v39, 8, v1
	v_and_b32_e32 v32, 0xffffff00, v32
	v_sub_i16 v28, v39, v28 clamp
	v_or_b32_sdwa v28, v28, v32 dst_sel:DWORD dst_unused:UNUSED_PAD src0_sel:BYTE_1 src1_sel:DWORD
	v_and_b32_sdwa v32, v1, s18 dst_sel:DWORD dst_unused:UNUSED_PAD src0_sel:WORD_1 src1_sel:DWORD
	v_sub_i16 v32, v32, v37 clamp
	v_lshlrev_b16_sdwa v1, v25, v1 dst_sel:DWORD dst_unused:UNUSED_PAD src0_sel:DWORD src1_sel:WORD_1
	v_and_b32_e32 v32, 0xffffff00, v32
	v_sub_i16 v1, v1, v3 clamp
	s_waitcnt vmcnt(0)
	v_xor_b32_e32 v2, v2, v44
	v_or_b32_sdwa v1, v1, v32 dst_sel:WORD_1 dst_unused:UNUSED_PAD src0_sel:BYTE_1 src1_sel:DWORD
	v_and_b32_e32 v3, 0xffffff00, v2
	v_or_b32_sdwa v1, v28, v1 dst_sel:DWORD dst_unused:UNUSED_PAD src0_sel:WORD_0 src1_sel:DWORD
	v_sub_i16 v3, v3, v42 clamp
	v_lshlrev_b16_e32 v28, 8, v2
	v_lshlrev_b16_e32 v32, 8, v41
	v_and_b32_e32 v3, 0xffffff00, v3
	v_sub_i16 v28, v28, v32 clamp
	v_or_b32_sdwa v3, v28, v3 dst_sel:DWORD dst_unused:UNUSED_PAD src0_sel:BYTE_1 src1_sel:DWORD
	v_and_b32_sdwa v28, v2, s18 dst_sel:DWORD dst_unused:UNUSED_PAD src0_sel:WORD_1 src1_sel:DWORD
	v_sub_i16 v28, v28, v43 clamp
	v_lshlrev_b16_sdwa v2, v25, v2 dst_sel:DWORD dst_unused:UNUSED_PAD src0_sel:DWORD src1_sel:WORD_1
	v_lshlrev_b16_e32 v32, 8, v40
	v_and_b32_e32 v28, 0xffffff00, v28
	v_sub_i16 v2, v2, v32 clamp
	v_or_b32_sdwa v2, v2, v28 dst_sel:WORD_1 dst_unused:UNUSED_PAD src0_sel:BYTE_1 src1_sel:DWORD
	v_dot4c_i32_i8_e32 v26, v1, v29
	v_or_b32_sdwa v2, v3, v2 dst_sel:DWORD dst_unused:UNUSED_PAD src0_sel:WORD_0 src1_sel:DWORD
	v_dot4c_i32_i8_e32 v26, v2, v30
	v_bfe_u32 v1, v33, 16, 8
	v_lshlrev_b32_e32 v2, 2, v27
	v_and_or_b32 v1, v2, s15, v1
	v_lshlrev_b32_e32 v1, 2, v1
	global_load_dword v1, v1, s[16:17]
	v_lshrrev_b32_e32 v2, 24, v33
	v_lshlrev_b32_e32 v3, 1, v27
	v_and_or_b32 v2, v3, s15, v2
	v_lshlrev_b32_e32 v2, 2, v2
	global_load_dword v2, v2, s[16:17]
	v_bfe_u32 v29, v34, 27, 1
	v_lshlrev_b32_e32 v3, 5, v36
	v_lshrrev_b32_e32 v28, 25, v34
	v_cmp_ne_u16_e32 vcc, 0, v29
	v_lshlrev_b16_e32 v27, 7, v35
	v_bfe_i32 v28, v28, 0, 1
	v_lshrrev_b16_e32 v3, 7, v3
	v_cndmask_b32_e64 v29, 0, -1, vcc
	v_ashrrev_i16_e32 v27, 15, v27
	v_bfe_i32 v3, v3, 0, 1
	v_lshlrev_b16_e32 v28, 8, v28
	v_lshlrev_b16_e32 v29, 8, v29
	v_or_b32_sdwa v30, v27, v28 dst_sel:DWORD dst_unused:UNUSED_PAD src0_sel:BYTE_0 src1_sel:DWORD
	v_or_b32_sdwa v32, v3, v29 dst_sel:WORD_1 dst_unused:UNUSED_PAD src0_sel:BYTE_0 src1_sel:DWORD
	v_lshrrev_b32_e32 v35, 29, v34
	v_or_b32_sdwa v30, v30, v32 dst_sel:DWORD dst_unused:UNUSED_PAD src0_sel:WORD_0 src1_sel:DWORD
	v_lshrrev_b32_e32 v34, 31, v34
	v_lshlrev_b32_e32 v32, 1, v36
	v_cmp_ne_u16_e32 vcc, 0, v34
	v_bfe_i32 v35, v35, 0, 1
	v_lshrrev_b16_e32 v32, 7, v32
	v_cndmask_b32_e64 v34, 0, -1, vcc
	v_lshlrev_b16_e32 v27, 8, v27
	v_bfe_i32 v33, v36, 4, 1
	v_bfe_i32 v32, v32, 0, 1
	v_lshlrev_b16_e32 v35, 8, v35
	v_lshlrev_b16_e32 v34, 8, v34
	v_or_b32_sdwa v36, v33, v35 dst_sel:DWORD dst_unused:UNUSED_PAD src0_sel:BYTE_0 src1_sel:DWORD
	v_or_b32_sdwa v37, v32, v34 dst_sel:WORD_1 dst_unused:UNUSED_PAD src0_sel:BYTE_0 src1_sel:DWORD
	v_lshlrev_b16_e32 v3, 8, v3
	v_or_b32_sdwa v36, v36, v37 dst_sel:DWORD dst_unused:UNUSED_PAD src0_sel:WORD_0 src1_sel:DWORD
	v_cmp_le_u32_e32 vcc, s3, v20
	s_or_b64 s[8:9], vcc, s[8:9]
	s_waitcnt vmcnt(1)
	v_xor_b32_e32 v1, v1, v30
	v_and_b32_e32 v30, 0xffffff00, v1
	v_sub_i16 v28, v30, v28 clamp
	v_lshlrev_b16_e32 v30, 8, v1
	v_and_b32_e32 v28, 0xffffff00, v28
	v_sub_i16 v27, v30, v27 clamp
	v_or_b32_sdwa v27, v27, v28 dst_sel:DWORD dst_unused:UNUSED_PAD src0_sel:BYTE_1 src1_sel:DWORD
	v_and_b32_sdwa v28, v1, s18 dst_sel:DWORD dst_unused:UNUSED_PAD src0_sel:WORD_1 src1_sel:DWORD
	v_sub_i16 v28, v28, v29 clamp
	v_lshlrev_b16_sdwa v1, v25, v1 dst_sel:DWORD dst_unused:UNUSED_PAD src0_sel:DWORD src1_sel:WORD_1
	v_and_b32_e32 v28, 0xffffff00, v28
	v_sub_i16 v1, v1, v3 clamp
	s_waitcnt vmcnt(0)
	v_xor_b32_e32 v2, v2, v36
	v_or_b32_sdwa v1, v1, v28 dst_sel:WORD_1 dst_unused:UNUSED_PAD src0_sel:BYTE_1 src1_sel:DWORD
	v_and_b32_e32 v3, 0xffffff00, v2
	v_or_b32_sdwa v1, v27, v1 dst_sel:DWORD dst_unused:UNUSED_PAD src0_sel:WORD_0 src1_sel:DWORD
	v_sub_i16 v3, v3, v35 clamp
	v_lshlrev_b16_e32 v27, 8, v2
	v_lshlrev_b16_e32 v28, 8, v33
	v_and_b32_e32 v3, 0xffffff00, v3
	v_sub_i16 v27, v27, v28 clamp
	v_or_b32_sdwa v3, v27, v3 dst_sel:DWORD dst_unused:UNUSED_PAD src0_sel:BYTE_1 src1_sel:DWORD
	v_and_b32_sdwa v27, v2, s18 dst_sel:DWORD dst_unused:UNUSED_PAD src0_sel:WORD_1 src1_sel:DWORD
	v_sub_i16 v27, v27, v34 clamp
	v_lshlrev_b16_sdwa v2, v25, v2 dst_sel:DWORD dst_unused:UNUSED_PAD src0_sel:DWORD src1_sel:WORD_1
	v_lshlrev_b16_e32 v28, 8, v32
	v_and_b32_e32 v27, 0xffffff00, v27
	v_sub_i16 v2, v2, v28 clamp
	v_or_b32_sdwa v2, v2, v27 dst_sel:WORD_1 dst_unused:UNUSED_PAD src0_sel:BYTE_1 src1_sel:DWORD
	v_dot4c_i32_i8_e32 v26, v1, v31
	v_or_b32_sdwa v2, v3, v2 dst_sel:DWORD dst_unused:UNUSED_PAD src0_sel:WORD_0 src1_sel:DWORD
	v_dot4c_i32_i8_e32 v26, v2, v38
	v_lshl_add_u64 v[2:3], v[16:17], 0, v[6:7]
	global_load_ubyte v1, v[2:3], off offset:106
	s_waitcnt vmcnt(0)
	v_lshrrev_b32_e32 v1, v22, v1
	global_load_ushort v2, v[16:17], off
	v_lshlrev_b32_e32 v1, 1, v1
	v_and_or_b32 v1, v1, 30, 1
	v_mul_lo_u32 v1, v26, v1
	v_cvt_f32_i32_e32 v1, v1
	s_waitcnt vmcnt(0)
	v_cvt_f32_f16_e32 v2, v2
	v_mul_f32_e32 v0, v2, v0
	v_fmac_f32_e32 v21, v0, v1
	s_andn2_b64 exec, exec, s[8:9]
	s_cbranch_execnz .LBB256_9
; %bb.10:
	s_or_b64 exec, exec, s[8:9]
.LBB256_11:
	s_or_b64 exec, exec, s[6:7]
	v_cmp_eq_u32_e32 vcc, 0, v19
	v_cmp_ne_u32_e64 s[6:7], 0, v19
	v_lshlrev_b32_e32 v0, 2, v18
	s_waitcnt lgkmcnt(0)
	s_and_saveexec_b64 s[8:9], s[6:7]
	s_cbranch_execz .LBB256_13
; %bb.12:
	v_lshlrev_b32_e32 v1, 8, v19
	s_movk_i32 s3, 0xff00
	v_add3_u32 v1, v1, v0, s3
	ds_write_b32 v1, v21
.LBB256_13:
	s_or_b64 exec, exec, s[8:9]
	s_waitcnt lgkmcnt(0)
	s_barrier
	s_and_saveexec_b64 s[6:7], vcc
	s_cbranch_execz .LBB256_16
; %bb.14:
	v_mbcnt_lo_u32_b32 v1, -1, 0
	ds_read_b32 v0, v0
	v_mbcnt_hi_u32_b32 v1, -1, v1
	v_and_b32_e32 v2, 64, v1
	v_add_u32_e32 v2, 64, v2
	v_xor_b32_e32 v3, 32, v1
	v_cmp_lt_i32_e32 vcc, v3, v2
	s_waitcnt lgkmcnt(0)
	v_add_f32_e32 v0, v21, v0
	s_mov_b32 s3, 0
	v_cndmask_b32_e32 v3, v1, v3, vcc
	v_lshlrev_b32_e32 v3, 2, v3
	ds_bpermute_b32 v3, v3, v0
	s_waitcnt lgkmcnt(0)
	v_add_f32_e32 v0, v0, v3
	v_xor_b32_e32 v3, 16, v1
	v_cmp_lt_i32_e32 vcc, v3, v2
	s_nop 1
	v_cndmask_b32_e32 v3, v1, v3, vcc
	v_lshlrev_b32_e32 v3, 2, v3
	ds_bpermute_b32 v3, v3, v0
	s_waitcnt lgkmcnt(0)
	v_add_f32_e32 v0, v0, v3
	v_xor_b32_e32 v3, 8, v1
	v_cmp_lt_i32_e32 vcc, v3, v2
	s_nop 1
	;; [unrolled: 8-line block ×5, first 2 shown]
	v_cndmask_b32_e32 v1, v1, v3, vcc
	v_lshlrev_b32_e32 v1, 2, v1
	ds_bpermute_b32 v1, v1, v0
	v_cmp_eq_u32_e32 vcc, 0, v18
	s_and_b64 exec, exec, vcc
	s_cbranch_execz .LBB256_16
; %bb.15:
	s_load_dwordx2 s[0:1], s[0:1], 0x38
	s_mul_i32 s5, s20, s10
	s_mul_i32 s4, s4, s14
	s_add_i32 s2, s5, s2
	s_add_i32 s2, s2, s4
	s_lshl_b64 s[2:3], s[2:3], 2
	s_waitcnt lgkmcnt(0)
	s_add_u32 s0, s0, s2
	s_addc_u32 s1, s1, s3
	v_mov_b32_e32 v2, 0
	v_add_f32_e32 v0, v0, v1
	global_store_dword v2, v0, s[0:1]
.LBB256_16:
	s_endpgm
	.section	.rodata,"a",@progbits
	.p2align	6, 0x0
	.amdhsa_kernel _ZL13mul_mat_vec_qIL9ggml_type21ELi1ELb0ELb0EEvPKvS2_PKi31ggml_cuda_mm_fusion_args_devicePfj15HIP_vector_typeIjLj3EEjjjS8_jjjS8_jjjj
		.amdhsa_group_segment_fixed_size 256
		.amdhsa_private_segment_fixed_size 0
		.amdhsa_kernarg_size 144
		.amdhsa_user_sgpr_count 2
		.amdhsa_user_sgpr_dispatch_ptr 0
		.amdhsa_user_sgpr_queue_ptr 0
		.amdhsa_user_sgpr_kernarg_segment_ptr 1
		.amdhsa_user_sgpr_dispatch_id 0
		.amdhsa_user_sgpr_kernarg_preload_length 0
		.amdhsa_user_sgpr_kernarg_preload_offset 0
		.amdhsa_user_sgpr_private_segment_size 0
		.amdhsa_uses_dynamic_stack 0
		.amdhsa_enable_private_segment 0
		.amdhsa_system_sgpr_workgroup_id_x 1
		.amdhsa_system_sgpr_workgroup_id_y 1
		.amdhsa_system_sgpr_workgroup_id_z 1
		.amdhsa_system_sgpr_workgroup_info 0
		.amdhsa_system_vgpr_workitem_id 1
		.amdhsa_next_free_vgpr 48
		.amdhsa_next_free_sgpr 28
		.amdhsa_accum_offset 48
		.amdhsa_reserve_vcc 1
		.amdhsa_float_round_mode_32 0
		.amdhsa_float_round_mode_16_64 0
		.amdhsa_float_denorm_mode_32 3
		.amdhsa_float_denorm_mode_16_64 3
		.amdhsa_dx10_clamp 1
		.amdhsa_ieee_mode 1
		.amdhsa_fp16_overflow 0
		.amdhsa_tg_split 0
		.amdhsa_exception_fp_ieee_invalid_op 0
		.amdhsa_exception_fp_denorm_src 0
		.amdhsa_exception_fp_ieee_div_zero 0
		.amdhsa_exception_fp_ieee_overflow 0
		.amdhsa_exception_fp_ieee_underflow 0
		.amdhsa_exception_fp_ieee_inexact 0
		.amdhsa_exception_int_div_zero 0
	.end_amdhsa_kernel
	.section	.text._ZL13mul_mat_vec_qIL9ggml_type21ELi1ELb0ELb0EEvPKvS2_PKi31ggml_cuda_mm_fusion_args_devicePfj15HIP_vector_typeIjLj3EEjjjS8_jjjS8_jjjj,"axG",@progbits,_ZL13mul_mat_vec_qIL9ggml_type21ELi1ELb0ELb0EEvPKvS2_PKi31ggml_cuda_mm_fusion_args_devicePfj15HIP_vector_typeIjLj3EEjjjS8_jjjS8_jjjj,comdat
.Lfunc_end256:
	.size	_ZL13mul_mat_vec_qIL9ggml_type21ELi1ELb0ELb0EEvPKvS2_PKi31ggml_cuda_mm_fusion_args_devicePfj15HIP_vector_typeIjLj3EEjjjS8_jjjS8_jjjj, .Lfunc_end256-_ZL13mul_mat_vec_qIL9ggml_type21ELi1ELb0ELb0EEvPKvS2_PKi31ggml_cuda_mm_fusion_args_devicePfj15HIP_vector_typeIjLj3EEjjjS8_jjjS8_jjjj
                                        ; -- End function
	.section	.AMDGPU.csdata,"",@progbits
; Kernel info:
; codeLenInByte = 3024
; NumSgprs: 34
; NumVgprs: 48
; NumAgprs: 0
; TotalNumVgprs: 48
; ScratchSize: 0
; MemoryBound: 0
; FloatMode: 240
; IeeeMode: 1
; LDSByteSize: 256 bytes/workgroup (compile time only)
; SGPRBlocks: 4
; VGPRBlocks: 5
; NumSGPRsForWavesPerEU: 34
; NumVGPRsForWavesPerEU: 48
; AccumOffset: 48
; Occupancy: 8
; WaveLimiterHint : 0
; COMPUTE_PGM_RSRC2:SCRATCH_EN: 0
; COMPUTE_PGM_RSRC2:USER_SGPR: 2
; COMPUTE_PGM_RSRC2:TRAP_HANDLER: 0
; COMPUTE_PGM_RSRC2:TGID_X_EN: 1
; COMPUTE_PGM_RSRC2:TGID_Y_EN: 1
; COMPUTE_PGM_RSRC2:TGID_Z_EN: 1
; COMPUTE_PGM_RSRC2:TIDIG_COMP_CNT: 1
; COMPUTE_PGM_RSRC3_GFX90A:ACCUM_OFFSET: 11
; COMPUTE_PGM_RSRC3_GFX90A:TG_SPLIT: 0
	.section	.text._ZL13mul_mat_vec_qIL9ggml_type21ELi2ELb0ELb0EEvPKvS2_PKi31ggml_cuda_mm_fusion_args_devicePfj15HIP_vector_typeIjLj3EEjjjS8_jjjS8_jjjj,"axG",@progbits,_ZL13mul_mat_vec_qIL9ggml_type21ELi2ELb0ELb0EEvPKvS2_PKi31ggml_cuda_mm_fusion_args_devicePfj15HIP_vector_typeIjLj3EEjjjS8_jjjS8_jjjj,comdat
	.globl	_ZL13mul_mat_vec_qIL9ggml_type21ELi2ELb0ELb0EEvPKvS2_PKi31ggml_cuda_mm_fusion_args_devicePfj15HIP_vector_typeIjLj3EEjjjS8_jjjS8_jjjj ; -- Begin function _ZL13mul_mat_vec_qIL9ggml_type21ELi2ELb0ELb0EEvPKvS2_PKi31ggml_cuda_mm_fusion_args_devicePfj15HIP_vector_typeIjLj3EEjjjS8_jjjS8_jjjj
	.p2align	8
	.type	_ZL13mul_mat_vec_qIL9ggml_type21ELi2ELb0ELb0EEvPKvS2_PKi31ggml_cuda_mm_fusion_args_devicePfj15HIP_vector_typeIjLj3EEjjjS8_jjjS8_jjjj,@function
_ZL13mul_mat_vec_qIL9ggml_type21ELi2ELb0ELb0EEvPKvS2_PKi31ggml_cuda_mm_fusion_args_devicePfj15HIP_vector_typeIjLj3EEjjjS8_jjjS8_jjjj: ; @_ZL13mul_mat_vec_qIL9ggml_type21ELi2ELb0ELb0EEvPKvS2_PKi31ggml_cuda_mm_fusion_args_devicePfj15HIP_vector_typeIjLj3EEjjjS8_jjjS8_jjjj
; %bb.0:
	s_load_dwordx2 s[20:21], s[0:1], 0x4
	s_load_dword s7, s[2:3], 0x40
	s_load_dwordx4 s[8:11], s[2:3], 0x50
	s_load_dword s27, s[2:3], 0x60
	s_load_dwordx4 s[12:15], s[2:3], 0x68
	;; [unrolled: 2-line block ×3, first 2 shown]
	s_waitcnt lgkmcnt(0)
	s_lshr_b32 s0, s20, 16
	v_bfe_u32 v32, v0, 10, 10
	v_and_b32_e32 v30, 0x3ff, v0
	s_mul_i32 s0, s0, s21
	v_mul_u32_u24_e32 v1, s21, v32
	v_mad_u32_u24 v1, s0, v30, v1
	v_bfe_u32 v0, v0, 20, 10
	v_lshl_add_u32 v5, v32, 6, v30
	v_add_lshl_u32 v4, v1, v0, 4
	s_lshr_b32 s7, s7, 8
	v_mov_b32_e32 v0, 0
	v_lshrrev_b32_e32 v33, 3, v5
	v_add_u32_e32 v31, 0x400, v4
	s_lshl_b32 s4, s4, 1
	v_mov_b32_e32 v1, v0
	v_mov_b32_e32 v2, v0
	;; [unrolled: 1-line block ×3, first 2 shown]
	v_cmp_gt_u32_e32 vcc, s7, v33
	ds_write_b128 v4, v[0:3] offset:1024
	s_and_saveexec_b64 s[0:1], vcc
	s_cbranch_execz .LBB257_4
; %bb.1:
	s_load_dwordx4 s[20:23], s[2:3], 0x0
	s_mul_i32 s17, s6, s17
	s_mul_i32 s24, s17, 36
	;; [unrolled: 1-line block ×3, first 2 shown]
	s_mul_hi_u32 s19, s17, 36
	s_waitcnt lgkmcnt(0)
	s_add_u32 s24, s22, s24
	s_addc_u32 s19, s23, s19
	s_mul_i32 s28, s13, 36
	s_mul_hi_u32 s29, s13, 36
	s_add_u32 s24, s24, s28
	s_mul_hi_u32 s11, s11, s5
	s_addc_u32 s25, s19, s29
	s_add_i32 s11, s5, s11
	s_lshr_b32 s11, s11, s27
	s_mul_i32 s11, s11, s12
	s_mul_hi_u32 s12, s15, s6
	s_add_i32 s12, s6, s12
	s_lshr_b32 s12, s12, s26
	s_mul_i32 s12, s12, s16
	s_add_i32 s15, s12, s11
	s_add_i32 s12, s4, 1
	s_mul_i32 s13, s4, s8
	s_mul_i32 s8, s8, s12
	s_add_i32 s11, s15, s13
	s_add_i32 s15, s15, s8
	s_movk_i32 s8, 0x120
	v_mov_b64_e32 v[4:5], s[28:29]
	v_lshlrev_b32_e32 v1, 1, v30
	v_lshl_add_u32 v34, v33, 3, s9
	v_mad_u64_u32 v[4:5], s[8:9], v33, s8, v[4:5]
	v_and_b32_e32 v0, 14, v1
	v_and_b32_e32 v12, 7, v30
	v_mad_u64_u32 v[4:5], s[8:9], s17, 36, v[4:5]
	v_lshlrev_b32_e32 v2, 1, v0
	v_mad_u64_u32 v[4:5], s[8:9], v12, 36, v[4:5]
	v_mov_b32_e32 v13, 0
	v_and_b32_e32 v16, 4, v2
	v_lshl_add_u64 v[4:5], v[4:5], 0, s[22:23]
	v_bfe_u32 v14, v1, 2, 2
	v_mov_b32_e32 v15, v13
	v_mov_b32_e32 v17, v16
	v_lshl_add_u64 v[18:19], v[4:5], 0, 16
	s_mov_b64 s[8:9], 0
	s_movk_i32 s19, 0x6e
	v_mov_b64_e32 v[20:21], s[20:21]
	v_lshlrev_b32_e32 v22, 1, v2
	v_lshlrev_b32_e32 v24, 1, v0
	s_movk_i32 s20, 0x100
	s_movk_i32 s21, 0xff00
	s_mov_b64 s[12:13], 0x1200
	v_mov_b32_e32 v23, v13
	v_mov_b32_e32 v25, v13
	;; [unrolled: 1-line block ×9, first 2 shown]
.LBB257_2:                              ; =>This Inner Loop Header: Depth=1
	v_add_u32_e32 v26, s11, v33
	v_mad_i64_i32 v[28:29], s[16:17], v26, s19, v[20:21]
	v_lshl_add_u64 v[26:27], v[28:29], 0, v[22:23]
	v_lshl_add_u64 v[38:39], v[28:29], 0, v[12:13]
	global_load_dword v52, v[18:19], off offset:16
	global_load_dwordx4 v[4:7], v[18:19], off
	global_load_dwordx4 v[8:11], v[18:19], off offset:-16
	global_load_ubyte v44, v[38:39], off offset:66
	v_lshl_add_u64 v[38:39], v[28:29], 0, v[24:25]
	global_load_dwordx2 v[26:27], v[26:27], off offset:2
	s_getpc_b64 s[16:17]
	s_add_u32 s16, s16, _ZL9iq3s_grid@rel32@lo+4
	s_addc_u32 s17, s17, _ZL9iq3s_grid@rel32@hi+12
	global_load_dword v45, v[38:39], off offset:74
	v_lshl_add_u64 v[18:19], v[18:19], 0, s[12:13]
	s_waitcnt vmcnt(3)
	v_cvt_f32_f16_e32 v8, v8
	s_waitcnt vmcnt(2)
	v_lshlrev_b32_e32 v39, 8, v44
	v_lshlrev_b32_e32 v40, 7, v44
	s_waitcnt vmcnt(1)
	v_and_b32_e32 v38, 0xff, v26
	v_and_or_b32 v38, v39, s20, v38
	v_lshlrev_b32_e32 v38, 2, v38
	global_load_dword v38, v38, s[16:17]
	v_lshrrev_b16_e32 v39, 8, v26
	v_and_or_b32 v39, v40, s20, v39
	v_lshlrev_b32_e32 v39, 2, v39
	global_load_dword v39, v39, s[16:17]
	s_waitcnt vmcnt(2)
	v_bfe_u32 v43, v45, 3, 1
	v_lshlrev_b32_sdwa v40, v35, v45 dst_sel:DWORD dst_unused:UNUSED_PAD src0_sel:DWORD src1_sel:BYTE_0
	v_bfe_u32 v42, v45, 1, 7
	v_cmp_ne_u16_e32 vcc, 0, v43
	v_and_b32_e32 v41, 1, v45
	v_bfe_i32 v42, v42, 0, 1
	v_lshrrev_b16_e32 v40, 7, v40
	v_cndmask_b32_e64 v43, 0, -1, vcc
	v_sub_u16_e32 v41, 0, v41
	v_bfe_i32 v40, v40, 0, 1
	v_lshlrev_b16_e32 v42, 8, v42
	v_lshlrev_b16_e32 v43, 8, v43
	v_or_b32_sdwa v48, v41, v42 dst_sel:DWORD dst_unused:UNUSED_PAD src0_sel:BYTE_0 src1_sel:DWORD
	v_or_b32_sdwa v49, v40, v43 dst_sel:WORD_1 dst_unused:UNUSED_PAD src0_sel:BYTE_0 src1_sel:DWORD
	v_bfe_u32 v53, v45, 7, 1
	v_or_b32_sdwa v48, v48, v49 dst_sel:DWORD dst_unused:UNUSED_PAD src0_sel:WORD_0 src1_sel:DWORD
	v_lshlrev_b32_sdwa v49, v36, v45 dst_sel:DWORD dst_unused:UNUSED_PAD src0_sel:DWORD src1_sel:BYTE_0
	v_bfe_u32 v51, v45, 5, 3
	v_cmp_ne_u16_e32 vcc, 0, v53
	v_bfe_i32 v51, v51, 0, 1
	v_lshrrev_b16_e32 v49, 7, v49
	v_cndmask_b32_e64 v53, 0, -1, vcc
	v_lshlrev_b16_e32 v41, 8, v41
	v_bfe_i32 v50, v45, 4, 1
	v_bfe_i32 v49, v49, 0, 1
	v_lshlrev_b16_e32 v51, 8, v51
	v_lshlrev_b16_e32 v53, 8, v53
	v_or_b32_sdwa v54, v50, v51 dst_sel:DWORD dst_unused:UNUSED_PAD src0_sel:BYTE_0 src1_sel:DWORD
	v_or_b32_sdwa v55, v49, v53 dst_sel:WORD_1 dst_unused:UNUSED_PAD src0_sel:BYTE_0 src1_sel:DWORD
	v_lshlrev_b16_e32 v40, 8, v40
	v_or_b32_sdwa v54, v54, v55 dst_sel:DWORD dst_unused:UNUSED_PAD src0_sel:WORD_0 src1_sel:DWORD
	v_lshrrev_b32_e32 v46, 16, v45
	v_lshrrev_b32_e32 v47, 24, v45
	s_waitcnt vmcnt(1)
	v_xor_b32_e32 v38, v38, v48
	v_and_b32_e32 v48, 0xffffff00, v38
	v_sub_i16 v42, v48, v42 clamp
	v_lshlrev_b16_e32 v48, 8, v38
	v_and_b32_e32 v42, 0xffffff00, v42
	v_sub_i16 v41, v48, v41 clamp
	v_or_b32_sdwa v41, v41, v42 dst_sel:DWORD dst_unused:UNUSED_PAD src0_sel:BYTE_1 src1_sel:DWORD
	v_and_b32_sdwa v42, v38, s21 dst_sel:DWORD dst_unused:UNUSED_PAD src0_sel:WORD_1 src1_sel:DWORD
	v_sub_i16 v42, v42, v43 clamp
	v_lshlrev_b16_sdwa v38, v37, v38 dst_sel:DWORD dst_unused:UNUSED_PAD src0_sel:DWORD src1_sel:WORD_1
	v_and_b32_e32 v42, 0xffffff00, v42
	v_sub_i16 v38, v38, v40 clamp
	s_waitcnt vmcnt(0)
	v_xor_b32_e32 v39, v39, v54
	v_or_b32_sdwa v38, v38, v42 dst_sel:WORD_1 dst_unused:UNUSED_PAD src0_sel:BYTE_1 src1_sel:DWORD
	v_and_b32_e32 v40, 0xffffff00, v39
	v_or_b32_sdwa v38, v41, v38 dst_sel:DWORD dst_unused:UNUSED_PAD src0_sel:WORD_0 src1_sel:DWORD
	v_sub_i16 v40, v40, v51 clamp
	v_lshlrev_b16_e32 v41, 8, v39
	v_lshlrev_b16_e32 v42, 8, v50
	v_and_b32_e32 v40, 0xffffff00, v40
	v_sub_i16 v41, v41, v42 clamp
	v_or_b32_sdwa v40, v41, v40 dst_sel:DWORD dst_unused:UNUSED_PAD src0_sel:BYTE_1 src1_sel:DWORD
	v_and_b32_sdwa v41, v39, s21 dst_sel:DWORD dst_unused:UNUSED_PAD src0_sel:WORD_1 src1_sel:DWORD
	v_sub_i16 v41, v41, v53 clamp
	v_lshlrev_b16_sdwa v39, v37, v39 dst_sel:DWORD dst_unused:UNUSED_PAD src0_sel:DWORD src1_sel:WORD_1
	v_lshlrev_b16_e32 v42, 8, v49
	v_and_b32_e32 v41, 0xffffff00, v41
	v_sub_i16 v39, v39, v42 clamp
	v_or_b32_sdwa v39, v39, v41 dst_sel:WORD_1 dst_unused:UNUSED_PAD src0_sel:BYTE_1 src1_sel:DWORD
	v_lshlrev_b32_e32 v41, 6, v44
	v_or_b32_sdwa v39, v40, v39 dst_sel:DWORD dst_unused:UNUSED_PAD src0_sel:WORD_0 src1_sel:DWORD
	v_bfe_u32 v40, v26, 16, 8
	v_and_or_b32 v40, v41, s20, v40
	v_lshlrev_b32_e32 v40, 2, v40
	global_load_dword v40, v40, s[16:17]
	v_lshrrev_b32_e32 v26, 24, v26
	v_lshlrev_b32_e32 v41, 5, v44
	v_and_or_b32 v26, v41, s20, v26
	v_lshlrev_b32_e32 v26, 2, v26
	global_load_dword v26, v26, s[16:17]
	v_lshrrev_b16_e32 v41, 8, v45
	v_bfe_u32 v50, v41, 3, 1
	v_lshlrev_b32_e32 v42, 5, v41
	v_lshrrev_b32_e32 v48, 1, v41
	v_cmp_ne_u16_e32 vcc, 0, v50
	v_lshlrev_b16_e32 v43, 7, v45
	v_bfe_i32 v48, v48, 0, 1
	v_lshrrev_b16_e32 v42, 7, v42
	v_cndmask_b32_e64 v50, 0, -1, vcc
	v_ashrrev_i16_e32 v43, 15, v43
	v_bfe_i32 v42, v42, 0, 1
	v_lshlrev_b16_e32 v48, 8, v48
	v_lshlrev_b16_e32 v50, 8, v50
	v_or_b32_sdwa v51, v43, v48 dst_sel:DWORD dst_unused:UNUSED_PAD src0_sel:BYTE_0 src1_sel:DWORD
	v_or_b32_sdwa v53, v42, v50 dst_sel:WORD_1 dst_unused:UNUSED_PAD src0_sel:BYTE_0 src1_sel:DWORD
	v_bfe_i32 v54, v41, 4, 1
	v_or_b32_sdwa v51, v51, v53 dst_sel:DWORD dst_unused:UNUSED_PAD src0_sel:WORD_0 src1_sel:DWORD
	v_lshlrev_b32_e32 v53, 1, v41
	v_lshrrev_b32_e32 v55, 5, v41
	v_lshrrev_b32_e32 v41, 7, v41
	v_cmp_ne_u16_e32 vcc, 0, v41
	v_bfe_i32 v55, v55, 0, 1
	v_lshrrev_b16_e32 v53, 7, v53
	v_cndmask_b32_e64 v41, 0, -1, vcc
	v_lshlrev_b16_e32 v43, 8, v43
	v_bfe_i32 v53, v53, 0, 1
	v_lshlrev_b16_e32 v55, 8, v55
	v_lshlrev_b16_e32 v41, 8, v41
	v_or_b32_sdwa v56, v54, v55 dst_sel:DWORD dst_unused:UNUSED_PAD src0_sel:BYTE_0 src1_sel:DWORD
	v_or_b32_sdwa v57, v53, v41 dst_sel:WORD_1 dst_unused:UNUSED_PAD src0_sel:BYTE_0 src1_sel:DWORD
	v_lshlrev_b16_e32 v42, 8, v42
	v_or_b32_sdwa v56, v56, v57 dst_sel:DWORD dst_unused:UNUSED_PAD src0_sel:WORD_0 src1_sel:DWORD
	v_bfe_u32 v57, v46, 7, 1
	v_mov_b32_e32 v49, 0
	v_dot4c_i32_i8_e32 v49, v38, v9
	v_dot4c_i32_i8_e32 v49, v39, v10
	s_waitcnt vmcnt(1)
	v_xor_b32_e32 v40, v40, v51
	v_and_b32_e32 v51, 0xffffff00, v40
	v_sub_i16 v48, v51, v48 clamp
	v_lshlrev_b16_e32 v51, 8, v40
	v_and_b32_e32 v48, 0xffffff00, v48
	v_sub_i16 v43, v51, v43 clamp
	v_or_b32_sdwa v43, v43, v48 dst_sel:DWORD dst_unused:UNUSED_PAD src0_sel:BYTE_1 src1_sel:DWORD
	v_and_b32_sdwa v48, v40, s21 dst_sel:DWORD dst_unused:UNUSED_PAD src0_sel:WORD_1 src1_sel:DWORD
	v_sub_i16 v48, v48, v50 clamp
	v_lshlrev_b16_sdwa v40, v37, v40 dst_sel:DWORD dst_unused:UNUSED_PAD src0_sel:DWORD src1_sel:WORD_1
	v_and_b32_e32 v48, 0xffffff00, v48
	v_sub_i16 v40, v40, v42 clamp
	s_waitcnt vmcnt(0)
	v_xor_b32_e32 v26, v26, v56
	v_or_b32_sdwa v40, v40, v48 dst_sel:WORD_1 dst_unused:UNUSED_PAD src0_sel:BYTE_1 src1_sel:DWORD
	v_and_b32_e32 v42, 0xffffff00, v26
	v_or_b32_sdwa v40, v43, v40 dst_sel:DWORD dst_unused:UNUSED_PAD src0_sel:WORD_0 src1_sel:DWORD
	v_sub_i16 v42, v42, v55 clamp
	v_lshlrev_b16_e32 v43, 8, v26
	v_lshlrev_b16_e32 v48, 8, v54
	v_and_b32_e32 v42, 0xffffff00, v42
	v_sub_i16 v43, v43, v48 clamp
	v_or_b32_sdwa v42, v43, v42 dst_sel:DWORD dst_unused:UNUSED_PAD src0_sel:BYTE_1 src1_sel:DWORD
	v_and_b32_sdwa v43, v26, s21 dst_sel:DWORD dst_unused:UNUSED_PAD src0_sel:WORD_1 src1_sel:DWORD
	v_sub_i16 v41, v43, v41 clamp
	v_lshlrev_b16_sdwa v26, v37, v26 dst_sel:DWORD dst_unused:UNUSED_PAD src0_sel:DWORD src1_sel:WORD_1
	v_lshlrev_b16_e32 v43, 8, v53
	v_and_b32_e32 v41, 0xffffff00, v41
	v_sub_i16 v26, v26, v43 clamp
	v_or_b32_sdwa v26, v26, v41 dst_sel:WORD_1 dst_unused:UNUSED_PAD src0_sel:BYTE_1 src1_sel:DWORD
	v_lshlrev_b32_e32 v43, 3, v44
	v_or_b32_sdwa v41, v42, v26 dst_sel:DWORD dst_unused:UNUSED_PAD src0_sel:WORD_0 src1_sel:DWORD
	v_and_b32_e32 v26, 0xff, v27
	v_lshlrev_b32_e32 v42, 4, v44
	v_and_or_b32 v26, v42, s20, v26
	v_lshlrev_b32_e32 v26, 2, v26
	global_load_dword v26, v26, s[16:17]
	v_lshrrev_b16_e32 v42, 8, v27
	v_and_or_b32 v42, v43, s20, v42
	v_lshlrev_b32_e32 v42, 2, v42
	global_load_dword v43, v42, s[16:17]
	v_bfe_u32 v51, v45, 19, 1
	v_lshlrev_b32_sdwa v42, v35, v45 dst_sel:DWORD dst_unused:UNUSED_PAD src0_sel:DWORD src1_sel:BYTE_2
	v_bfe_u32 v50, v46, 1, 7
	v_cmp_ne_u16_e32 vcc, 0, v51
	v_and_b32_e32 v48, 1, v46
	v_bfe_i32 v50, v50, 0, 1
	v_lshrrev_b16_e32 v42, 7, v42
	v_cndmask_b32_e64 v51, 0, -1, vcc
	v_sub_u16_e32 v48, 0, v48
	v_bfe_i32 v42, v42, 0, 1
	v_lshlrev_b16_e32 v50, 8, v50
	v_lshlrev_b16_e32 v51, 8, v51
	v_or_b32_sdwa v53, v48, v50 dst_sel:DWORD dst_unused:UNUSED_PAD src0_sel:BYTE_0 src1_sel:DWORD
	v_or_b32_sdwa v54, v42, v51 dst_sel:WORD_1 dst_unused:UNUSED_PAD src0_sel:BYTE_0 src1_sel:DWORD
	v_lshlrev_b16_e32 v48, 8, v48
	v_or_b32_sdwa v53, v53, v54 dst_sel:DWORD dst_unused:UNUSED_PAD src0_sel:WORD_0 src1_sel:DWORD
	v_lshlrev_b32_sdwa v54, v36, v45 dst_sel:DWORD dst_unused:UNUSED_PAD src0_sel:DWORD src1_sel:BYTE_2
	v_bfe_u32 v56, v46, 5, 3
	v_cmp_ne_u16_e32 vcc, 0, v57
	v_bfe_i32 v56, v56, 0, 1
	v_lshrrev_b16_e32 v54, 7, v54
	v_cndmask_b32_e64 v57, 0, -1, vcc
	v_bfe_i32 v55, v45, 20, 1
	v_bfe_i32 v54, v54, 0, 1
	v_lshlrev_b16_e32 v56, 8, v56
	v_lshlrev_b16_e32 v57, 8, v57
	;; [unrolled: 1-line block ×3, first 2 shown]
	v_or_b32_sdwa v58, v55, v56 dst_sel:DWORD dst_unused:UNUSED_PAD src0_sel:BYTE_0 src1_sel:DWORD
	v_or_b32_sdwa v59, v54, v57 dst_sel:WORD_1 dst_unused:UNUSED_PAD src0_sel:BYTE_0 src1_sel:DWORD
	v_lshlrev_b16_e32 v46, 7, v46
	v_or_b32_sdwa v58, v58, v59 dst_sel:DWORD dst_unused:UNUSED_PAD src0_sel:WORD_0 src1_sel:DWORD
	v_ashrrev_i16_e32 v46, 15, v46
	v_dot4c_i32_i8_e32 v49, v40, v11
	v_dot4c_i32_i8_e32 v49, v41, v4
	s_waitcnt vmcnt(1)
	v_xor_b32_e32 v26, v26, v53
	v_and_b32_e32 v53, 0xffffff00, v26
	v_sub_i16 v50, v53, v50 clamp
	v_lshlrev_b16_e32 v53, 8, v26
	v_and_b32_e32 v50, 0xffffff00, v50
	v_sub_i16 v48, v53, v48 clamp
	v_or_b32_sdwa v48, v48, v50 dst_sel:DWORD dst_unused:UNUSED_PAD src0_sel:BYTE_1 src1_sel:DWORD
	v_and_b32_sdwa v50, v26, s21 dst_sel:DWORD dst_unused:UNUSED_PAD src0_sel:WORD_1 src1_sel:DWORD
	v_sub_i16 v50, v50, v51 clamp
	v_lshlrev_b16_sdwa v26, v37, v26 dst_sel:DWORD dst_unused:UNUSED_PAD src0_sel:DWORD src1_sel:WORD_1
	v_and_b32_e32 v50, 0xffffff00, v50
	v_sub_i16 v26, v26, v42 clamp
	v_or_b32_sdwa v26, v26, v50 dst_sel:WORD_1 dst_unused:UNUSED_PAD src0_sel:BYTE_1 src1_sel:DWORD
	v_lshlrev_b16_e32 v50, 8, v55
	v_or_b32_sdwa v42, v48, v26 dst_sel:DWORD dst_unused:UNUSED_PAD src0_sel:WORD_0 src1_sel:DWORD
	s_waitcnt vmcnt(0)
	v_xor_b32_e32 v26, v43, v58
	v_and_b32_e32 v43, 0xffffff00, v26
	v_sub_i16 v43, v43, v56 clamp
	v_lshlrev_b16_e32 v48, 8, v26
	v_and_b32_e32 v43, 0xffffff00, v43
	v_sub_i16 v48, v48, v50 clamp
	v_or_b32_sdwa v43, v48, v43 dst_sel:DWORD dst_unused:UNUSED_PAD src0_sel:BYTE_1 src1_sel:DWORD
	v_and_b32_sdwa v48, v26, s21 dst_sel:DWORD dst_unused:UNUSED_PAD src0_sel:WORD_1 src1_sel:DWORD
	v_sub_i16 v48, v48, v57 clamp
	v_lshlrev_b16_sdwa v26, v37, v26 dst_sel:DWORD dst_unused:UNUSED_PAD src0_sel:DWORD src1_sel:WORD_1
	v_lshlrev_b16_e32 v50, 8, v54
	v_and_b32_e32 v48, 0xffffff00, v48
	v_sub_i16 v26, v26, v50 clamp
	v_or_b32_sdwa v26, v26, v48 dst_sel:WORD_1 dst_unused:UNUSED_PAD src0_sel:BYTE_1 src1_sel:DWORD
	v_lshlrev_b32_e32 v48, 2, v44
	v_or_b32_sdwa v43, v43, v26 dst_sel:DWORD dst_unused:UNUSED_PAD src0_sel:WORD_0 src1_sel:DWORD
	v_bfe_u32 v26, v27, 16, 8
	v_and_or_b32 v26, v48, s20, v26
	v_lshlrev_b32_e32 v26, 2, v26
	global_load_dword v26, v26, s[16:17]
	v_lshrrev_b32_e32 v27, 24, v27
	v_lshlrev_b32_e32 v44, 1, v44
	v_and_or_b32 v27, v44, s20, v27
	v_lshlrev_b32_e32 v27, 2, v27
	global_load_dword v27, v27, s[16:17]
	v_bfe_u32 v50, v45, 27, 1
	v_lshlrev_b32_e32 v44, 5, v47
	v_lshrrev_b32_e32 v48, 25, v45
	v_cmp_ne_u16_e32 vcc, 0, v50
	v_bfe_i32 v48, v48, 0, 1
	v_lshrrev_b16_e32 v44, 7, v44
	v_cndmask_b32_e64 v50, 0, -1, vcc
	v_bfe_i32 v44, v44, 0, 1
	v_lshlrev_b16_e32 v48, 8, v48
	v_lshlrev_b16_e32 v50, 8, v50
	v_or_b32_sdwa v51, v46, v48 dst_sel:DWORD dst_unused:UNUSED_PAD src0_sel:BYTE_0 src1_sel:DWORD
	v_or_b32_sdwa v53, v44, v50 dst_sel:WORD_1 dst_unused:UNUSED_PAD src0_sel:BYTE_0 src1_sel:DWORD
	v_lshrrev_b32_e32 v54, 29, v45
	v_or_b32_sdwa v51, v51, v53 dst_sel:DWORD dst_unused:UNUSED_PAD src0_sel:WORD_0 src1_sel:DWORD
	v_lshrrev_b32_e32 v45, 31, v45
	v_lshlrev_b16_e32 v46, 8, v46
	v_lshlrev_b32_e32 v53, 1, v47
	v_cmp_ne_u16_e32 vcc, 0, v45
	v_bfe_i32 v54, v54, 0, 1
	v_lshrrev_b16_e32 v53, 7, v53
	v_cndmask_b32_e64 v45, 0, -1, vcc
	v_bfe_i32 v47, v47, 4, 1
	v_bfe_i32 v53, v53, 0, 1
	v_lshlrev_b16_e32 v54, 8, v54
	v_lshlrev_b16_e32 v45, 8, v45
	;; [unrolled: 1-line block ×3, first 2 shown]
	v_or_b32_sdwa v55, v47, v54 dst_sel:DWORD dst_unused:UNUSED_PAD src0_sel:BYTE_0 src1_sel:DWORD
	v_or_b32_sdwa v56, v53, v45 dst_sel:WORD_1 dst_unused:UNUSED_PAD src0_sel:BYTE_0 src1_sel:DWORD
	v_lshlrev_b16_e32 v47, 8, v47
	v_or_b32_sdwa v55, v55, v56 dst_sel:DWORD dst_unused:UNUSED_PAD src0_sel:WORD_0 src1_sel:DWORD
	v_dot4c_i32_i8_e32 v49, v42, v5
	v_dot4c_i32_i8_e32 v49, v43, v6
	s_waitcnt vmcnt(1)
	v_xor_b32_e32 v26, v26, v51
	v_and_b32_e32 v51, 0xffffff00, v26
	v_sub_i16 v48, v51, v48 clamp
	v_lshlrev_b16_e32 v51, 8, v26
	v_and_b32_e32 v48, 0xffffff00, v48
	v_sub_i16 v46, v51, v46 clamp
	v_or_b32_sdwa v46, v46, v48 dst_sel:DWORD dst_unused:UNUSED_PAD src0_sel:BYTE_1 src1_sel:DWORD
	v_and_b32_sdwa v48, v26, s21 dst_sel:DWORD dst_unused:UNUSED_PAD src0_sel:WORD_1 src1_sel:DWORD
	v_sub_i16 v48, v48, v50 clamp
	v_lshlrev_b16_sdwa v26, v37, v26 dst_sel:DWORD dst_unused:UNUSED_PAD src0_sel:DWORD src1_sel:WORD_1
	v_and_b32_e32 v48, 0xffffff00, v48
	v_sub_i16 v26, v26, v44 clamp
	v_or_b32_sdwa v26, v26, v48 dst_sel:WORD_1 dst_unused:UNUSED_PAD src0_sel:BYTE_1 src1_sel:DWORD
	global_load_ushort v51, v[28:29], off
	v_or_b32_sdwa v44, v46, v26 dst_sel:DWORD dst_unused:UNUSED_PAD src0_sel:WORD_0 src1_sel:DWORD
	s_waitcnt vmcnt(1)
	v_xor_b32_e32 v26, v27, v55
	v_and_b32_e32 v27, 0xffffff00, v26
	v_sub_i16 v27, v27, v54 clamp
	v_lshlrev_b16_e32 v46, 8, v26
	v_and_b32_e32 v27, 0xffffff00, v27
	v_sub_i16 v46, v46, v47 clamp
	v_or_b32_sdwa v27, v46, v27 dst_sel:DWORD dst_unused:UNUSED_PAD src0_sel:BYTE_1 src1_sel:DWORD
	v_and_b32_sdwa v46, v26, s21 dst_sel:DWORD dst_unused:UNUSED_PAD src0_sel:WORD_1 src1_sel:DWORD
	v_sub_i16 v45, v46, v45 clamp
	v_lshlrev_b16_sdwa v26, v37, v26 dst_sel:DWORD dst_unused:UNUSED_PAD src0_sel:DWORD src1_sel:WORD_1
	v_lshlrev_b16_e32 v46, 8, v53
	v_and_b32_e32 v45, 0xffffff00, v45
	v_sub_i16 v26, v26, v46 clamp
	v_or_b32_sdwa v26, v26, v45 dst_sel:WORD_1 dst_unused:UNUSED_PAD src0_sel:BYTE_1 src1_sel:DWORD
	v_dot4c_i32_i8_e32 v49, v44, v7
	v_or_b32_sdwa v45, v27, v26 dst_sel:DWORD dst_unused:UNUSED_PAD src0_sel:WORD_0 src1_sel:DWORD
	v_lshl_add_u64 v[26:27], v[28:29], 0, v[14:15]
	v_add_u32_e32 v28, s15, v33
	v_mad_i64_i32 v[28:29], s[22:23], v28, s19, v[20:21]
	v_lshl_add_u64 v[46:47], v[28:29], 0, v[22:23]
	global_load_dwordx2 v[54:55], v[46:47], off offset:2
	v_lshl_add_u64 v[46:47], v[28:29], 0, v[12:13]
	global_load_ubyte v50, v[46:47], off offset:66
	v_lshl_add_u64 v[46:47], v[28:29], 0, v[24:25]
	global_load_dword v56, v[46:47], off offset:74
	v_dot4c_i32_i8_e32 v49, v45, v52
	v_add_u32_e32 v33, 16, v33
	s_waitcnt vmcnt(2)
	v_and_b32_e32 v46, 0xff, v54
	s_waitcnt vmcnt(1)
	v_lshlrev_b32_e32 v47, 8, v50
	v_and_or_b32 v46, v47, s20, v46
	v_lshlrev_b32_e32 v46, 2, v46
	global_load_dword v46, v46, s[16:17]
	v_lshrrev_b16_e32 v47, 8, v54
	v_lshlrev_b32_e32 v48, 7, v50
	v_and_or_b32 v47, v48, s20, v47
	v_lshlrev_b32_e32 v47, 2, v47
	global_load_dword v47, v47, s[16:17]
	s_waitcnt vmcnt(2)
	v_bfe_u32 v60, v56, 3, 1
	v_lshlrev_b32_sdwa v48, v35, v56 dst_sel:DWORD dst_unused:UNUSED_PAD src0_sel:DWORD src1_sel:BYTE_0
	v_bfe_u32 v59, v56, 1, 7
	v_cmp_ne_u16_e32 vcc, 0, v60
	v_and_b32_e32 v53, 1, v56
	v_bfe_i32 v59, v59, 0, 1
	v_lshrrev_b16_e32 v48, 7, v48
	v_cndmask_b32_e64 v60, 0, -1, vcc
	v_sub_u16_e32 v53, 0, v53
	v_bfe_i32 v48, v48, 0, 1
	v_lshlrev_b16_e32 v59, 8, v59
	v_lshlrev_b16_e32 v60, 8, v60
	v_or_b32_sdwa v61, v53, v59 dst_sel:DWORD dst_unused:UNUSED_PAD src0_sel:BYTE_0 src1_sel:DWORD
	v_or_b32_sdwa v62, v48, v60 dst_sel:WORD_1 dst_unused:UNUSED_PAD src0_sel:BYTE_0 src1_sel:DWORD
	v_bfe_u32 v65, v56, 7, 1
	v_or_b32_sdwa v61, v61, v62 dst_sel:DWORD dst_unused:UNUSED_PAD src0_sel:WORD_0 src1_sel:DWORD
	v_lshlrev_b32_sdwa v62, v36, v56 dst_sel:DWORD dst_unused:UNUSED_PAD src0_sel:DWORD src1_sel:BYTE_0
	v_bfe_u32 v64, v56, 5, 3
	v_cmp_ne_u16_e32 vcc, 0, v65
	v_bfe_i32 v64, v64, 0, 1
	v_lshrrev_b16_e32 v62, 7, v62
	v_cndmask_b32_e64 v65, 0, -1, vcc
	v_lshlrev_b16_e32 v53, 8, v53
	v_bfe_i32 v63, v56, 4, 1
	v_bfe_i32 v62, v62, 0, 1
	v_lshlrev_b16_e32 v64, 8, v64
	v_lshlrev_b16_e32 v65, 8, v65
	v_or_b32_sdwa v66, v63, v64 dst_sel:DWORD dst_unused:UNUSED_PAD src0_sel:BYTE_0 src1_sel:DWORD
	v_or_b32_sdwa v67, v62, v65 dst_sel:WORD_1 dst_unused:UNUSED_PAD src0_sel:BYTE_0 src1_sel:DWORD
	v_lshlrev_b16_e32 v48, 8, v48
	v_or_b32_sdwa v66, v66, v67 dst_sel:DWORD dst_unused:UNUSED_PAD src0_sel:WORD_0 src1_sel:DWORD
	v_lshrrev_b32_e32 v57, 16, v56
	v_lshrrev_b32_e32 v58, 24, v56
	s_waitcnt vmcnt(1)
	v_xor_b32_e32 v46, v46, v61
	v_and_b32_e32 v61, 0xffffff00, v46
	v_sub_i16 v59, v61, v59 clamp
	v_lshlrev_b16_e32 v61, 8, v46
	v_and_b32_e32 v59, 0xffffff00, v59
	v_sub_i16 v53, v61, v53 clamp
	v_or_b32_sdwa v53, v53, v59 dst_sel:DWORD dst_unused:UNUSED_PAD src0_sel:BYTE_1 src1_sel:DWORD
	v_and_b32_sdwa v59, v46, s21 dst_sel:DWORD dst_unused:UNUSED_PAD src0_sel:WORD_1 src1_sel:DWORD
	v_sub_i16 v59, v59, v60 clamp
	v_lshlrev_b16_sdwa v46, v37, v46 dst_sel:DWORD dst_unused:UNUSED_PAD src0_sel:DWORD src1_sel:WORD_1
	v_and_b32_e32 v59, 0xffffff00, v59
	v_sub_i16 v46, v46, v48 clamp
	s_waitcnt vmcnt(0)
	v_xor_b32_e32 v47, v47, v66
	v_or_b32_sdwa v46, v46, v59 dst_sel:WORD_1 dst_unused:UNUSED_PAD src0_sel:BYTE_1 src1_sel:DWORD
	v_and_b32_e32 v48, 0xffffff00, v47
	v_or_b32_sdwa v46, v53, v46 dst_sel:DWORD dst_unused:UNUSED_PAD src0_sel:WORD_0 src1_sel:DWORD
	v_sub_i16 v48, v48, v64 clamp
	v_lshlrev_b16_e32 v53, 8, v47
	v_lshlrev_b16_e32 v59, 8, v63
	v_and_b32_e32 v48, 0xffffff00, v48
	v_sub_i16 v53, v53, v59 clamp
	v_or_b32_sdwa v48, v53, v48 dst_sel:DWORD dst_unused:UNUSED_PAD src0_sel:BYTE_1 src1_sel:DWORD
	v_and_b32_sdwa v53, v47, s21 dst_sel:DWORD dst_unused:UNUSED_PAD src0_sel:WORD_1 src1_sel:DWORD
	v_sub_i16 v53, v53, v65 clamp
	v_lshlrev_b16_sdwa v47, v37, v47 dst_sel:DWORD dst_unused:UNUSED_PAD src0_sel:DWORD src1_sel:WORD_1
	v_lshlrev_b16_e32 v59, 8, v62
	v_and_b32_e32 v53, 0xffffff00, v53
	v_sub_i16 v47, v47, v59 clamp
	v_or_b32_sdwa v47, v47, v53 dst_sel:WORD_1 dst_unused:UNUSED_PAD src0_sel:BYTE_1 src1_sel:DWORD
	v_mov_b32_e32 v53, 0
	v_or_b32_sdwa v47, v48, v47 dst_sel:DWORD dst_unused:UNUSED_PAD src0_sel:WORD_0 src1_sel:DWORD
	v_dot4c_i32_i8_e32 v53, v46, v9
	v_dot4c_i32_i8_e32 v53, v47, v10
	v_bfe_u32 v9, v54, 16, 8
	v_lshlrev_b32_e32 v10, 6, v50
	v_and_or_b32 v9, v10, s20, v9
	v_lshlrev_b32_e32 v9, 2, v9
	global_load_dword v9, v9, s[16:17]
	v_lshrrev_b32_e32 v10, 24, v54
	v_lshlrev_b32_e32 v48, 5, v50
	v_and_or_b32 v10, v48, s20, v10
	v_lshlrev_b32_e32 v10, 2, v10
	global_load_dword v10, v10, s[16:17]
	v_lshrrev_b16_e32 v48, 8, v56
	v_bfe_u32 v61, v48, 3, 1
	v_lshlrev_b32_e32 v54, 5, v48
	v_lshrrev_b32_e32 v60, 1, v48
	v_cmp_ne_u16_e32 vcc, 0, v61
	v_lshlrev_b16_e32 v59, 7, v56
	v_bfe_i32 v60, v60, 0, 1
	v_lshrrev_b16_e32 v54, 7, v54
	v_cndmask_b32_e64 v61, 0, -1, vcc
	v_ashrrev_i16_e32 v59, 15, v59
	v_bfe_i32 v54, v54, 0, 1
	v_lshlrev_b16_e32 v60, 8, v60
	v_lshlrev_b16_e32 v61, 8, v61
	v_or_b32_sdwa v62, v59, v60 dst_sel:DWORD dst_unused:UNUSED_PAD src0_sel:BYTE_0 src1_sel:DWORD
	v_or_b32_sdwa v63, v54, v61 dst_sel:WORD_1 dst_unused:UNUSED_PAD src0_sel:BYTE_0 src1_sel:DWORD
	v_bfe_i32 v64, v48, 4, 1
	v_or_b32_sdwa v62, v62, v63 dst_sel:DWORD dst_unused:UNUSED_PAD src0_sel:WORD_0 src1_sel:DWORD
	v_lshlrev_b32_e32 v63, 1, v48
	v_lshrrev_b32_e32 v65, 5, v48
	v_lshrrev_b32_e32 v48, 7, v48
	v_cmp_ne_u16_e32 vcc, 0, v48
	v_bfe_i32 v65, v65, 0, 1
	v_lshrrev_b16_e32 v63, 7, v63
	v_cndmask_b32_e64 v48, 0, -1, vcc
	v_lshlrev_b16_e32 v59, 8, v59
	v_bfe_i32 v63, v63, 0, 1
	v_lshlrev_b16_e32 v65, 8, v65
	v_lshlrev_b16_e32 v48, 8, v48
	v_or_b32_sdwa v66, v64, v65 dst_sel:DWORD dst_unused:UNUSED_PAD src0_sel:BYTE_0 src1_sel:DWORD
	v_or_b32_sdwa v67, v63, v48 dst_sel:WORD_1 dst_unused:UNUSED_PAD src0_sel:BYTE_0 src1_sel:DWORD
	v_lshlrev_b16_e32 v54, 8, v54
	v_or_b32_sdwa v66, v66, v67 dst_sel:DWORD dst_unused:UNUSED_PAD src0_sel:WORD_0 src1_sel:DWORD
	s_waitcnt vmcnt(1)
	v_xor_b32_e32 v9, v9, v62
	v_and_b32_e32 v62, 0xffffff00, v9
	v_sub_i16 v60, v62, v60 clamp
	v_lshlrev_b16_e32 v62, 8, v9
	v_and_b32_e32 v60, 0xffffff00, v60
	v_sub_i16 v59, v62, v59 clamp
	v_or_b32_sdwa v59, v59, v60 dst_sel:DWORD dst_unused:UNUSED_PAD src0_sel:BYTE_1 src1_sel:DWORD
	v_and_b32_sdwa v60, v9, s21 dst_sel:DWORD dst_unused:UNUSED_PAD src0_sel:WORD_1 src1_sel:DWORD
	v_sub_i16 v60, v60, v61 clamp
	v_lshlrev_b16_sdwa v9, v37, v9 dst_sel:DWORD dst_unused:UNUSED_PAD src0_sel:DWORD src1_sel:WORD_1
	v_and_b32_e32 v60, 0xffffff00, v60
	v_sub_i16 v9, v9, v54 clamp
	s_waitcnt vmcnt(0)
	v_xor_b32_e32 v10, v10, v66
	v_or_b32_sdwa v9, v9, v60 dst_sel:WORD_1 dst_unused:UNUSED_PAD src0_sel:BYTE_1 src1_sel:DWORD
	v_and_b32_e32 v54, 0xffffff00, v10
	v_or_b32_sdwa v9, v59, v9 dst_sel:DWORD dst_unused:UNUSED_PAD src0_sel:WORD_0 src1_sel:DWORD
	v_sub_i16 v54, v54, v65 clamp
	v_lshlrev_b16_e32 v59, 8, v10
	v_lshlrev_b16_e32 v60, 8, v64
	v_and_b32_e32 v54, 0xffffff00, v54
	v_sub_i16 v59, v59, v60 clamp
	v_or_b32_sdwa v54, v59, v54 dst_sel:DWORD dst_unused:UNUSED_PAD src0_sel:BYTE_1 src1_sel:DWORD
	v_and_b32_sdwa v59, v10, s21 dst_sel:DWORD dst_unused:UNUSED_PAD src0_sel:WORD_1 src1_sel:DWORD
	v_sub_i16 v48, v59, v48 clamp
	v_lshlrev_b16_sdwa v10, v37, v10 dst_sel:DWORD dst_unused:UNUSED_PAD src0_sel:DWORD src1_sel:WORD_1
	v_lshlrev_b16_e32 v59, 8, v63
	v_and_b32_e32 v48, 0xffffff00, v48
	v_sub_i16 v10, v10, v59 clamp
	v_or_b32_sdwa v10, v10, v48 dst_sel:WORD_1 dst_unused:UNUSED_PAD src0_sel:BYTE_1 src1_sel:DWORD
	v_dot4c_i32_i8_e32 v53, v9, v11
	v_or_b32_sdwa v10, v54, v10 dst_sel:DWORD dst_unused:UNUSED_PAD src0_sel:WORD_0 src1_sel:DWORD
	v_dot4c_i32_i8_e32 v53, v10, v4
	v_and_b32_e32 v4, 0xff, v55
	v_lshlrev_b32_e32 v11, 4, v50
	v_and_or_b32 v4, v11, s20, v4
	v_lshlrev_b32_e32 v4, 2, v4
	global_load_dword v4, v4, s[16:17]
	v_lshrrev_b16_e32 v11, 8, v55
	v_lshlrev_b32_e32 v48, 3, v50
	v_and_or_b32 v11, v48, s20, v11
	v_lshlrev_b32_e32 v11, 2, v11
	global_load_dword v48, v11, s[16:17]
	v_bfe_u32 v60, v56, 19, 1
	v_lshlrev_b32_sdwa v11, v35, v56 dst_sel:DWORD dst_unused:UNUSED_PAD src0_sel:DWORD src1_sel:BYTE_2
	v_bfe_u32 v59, v57, 1, 7
	v_cmp_ne_u16_e32 vcc, 0, v60
	v_and_b32_e32 v54, 1, v57
	v_bfe_i32 v59, v59, 0, 1
	v_lshrrev_b16_e32 v11, 7, v11
	v_cndmask_b32_e64 v60, 0, -1, vcc
	v_sub_u16_e32 v54, 0, v54
	v_bfe_i32 v11, v11, 0, 1
	v_lshlrev_b16_e32 v59, 8, v59
	v_lshlrev_b16_e32 v60, 8, v60
	v_or_b32_sdwa v61, v54, v59 dst_sel:DWORD dst_unused:UNUSED_PAD src0_sel:BYTE_0 src1_sel:DWORD
	v_or_b32_sdwa v62, v11, v60 dst_sel:WORD_1 dst_unused:UNUSED_PAD src0_sel:BYTE_0 src1_sel:DWORD
	v_bfe_u32 v65, v57, 7, 1
	v_or_b32_sdwa v61, v61, v62 dst_sel:DWORD dst_unused:UNUSED_PAD src0_sel:WORD_0 src1_sel:DWORD
	v_lshlrev_b16_e32 v54, 8, v54
	v_lshlrev_b32_sdwa v62, v36, v56 dst_sel:DWORD dst_unused:UNUSED_PAD src0_sel:DWORD src1_sel:BYTE_2
	v_bfe_u32 v64, v57, 5, 3
	v_cmp_ne_u16_e32 vcc, 0, v65
	v_bfe_i32 v64, v64, 0, 1
	v_lshrrev_b16_e32 v62, 7, v62
	v_cndmask_b32_e64 v65, 0, -1, vcc
	v_bfe_i32 v63, v56, 20, 1
	v_bfe_i32 v62, v62, 0, 1
	v_lshlrev_b16_e32 v64, 8, v64
	v_lshlrev_b16_e32 v65, 8, v65
	;; [unrolled: 1-line block ×3, first 2 shown]
	v_or_b32_sdwa v66, v63, v64 dst_sel:DWORD dst_unused:UNUSED_PAD src0_sel:BYTE_0 src1_sel:DWORD
	v_or_b32_sdwa v67, v62, v65 dst_sel:WORD_1 dst_unused:UNUSED_PAD src0_sel:BYTE_0 src1_sel:DWORD
	s_waitcnt vmcnt(1)
	v_xor_b32_e32 v4, v4, v61
	v_and_b32_e32 v61, 0xffffff00, v4
	v_sub_i16 v59, v61, v59 clamp
	v_lshlrev_b16_e32 v61, 8, v4
	v_and_b32_e32 v59, 0xffffff00, v59
	v_sub_i16 v54, v61, v54 clamp
	v_or_b32_sdwa v54, v54, v59 dst_sel:DWORD dst_unused:UNUSED_PAD src0_sel:BYTE_1 src1_sel:DWORD
	v_and_b32_sdwa v59, v4, s21 dst_sel:DWORD dst_unused:UNUSED_PAD src0_sel:WORD_1 src1_sel:DWORD
	v_sub_i16 v59, v59, v60 clamp
	v_lshlrev_b16_sdwa v4, v37, v4 dst_sel:DWORD dst_unused:UNUSED_PAD src0_sel:DWORD src1_sel:WORD_1
	v_and_b32_e32 v59, 0xffffff00, v59
	v_sub_i16 v4, v4, v11 clamp
	v_or_b32_sdwa v66, v66, v67 dst_sel:DWORD dst_unused:UNUSED_PAD src0_sel:WORD_0 src1_sel:DWORD
	v_or_b32_sdwa v4, v4, v59 dst_sel:WORD_1 dst_unused:UNUSED_PAD src0_sel:BYTE_1 src1_sel:DWORD
	v_lshlrev_b16_e32 v59, 8, v63
	v_or_b32_sdwa v11, v54, v4 dst_sel:DWORD dst_unused:UNUSED_PAD src0_sel:WORD_0 src1_sel:DWORD
	s_waitcnt vmcnt(0)
	v_xor_b32_e32 v4, v48, v66
	v_and_b32_e32 v48, 0xffffff00, v4
	v_sub_i16 v48, v48, v64 clamp
	v_lshlrev_b16_e32 v54, 8, v4
	v_and_b32_e32 v48, 0xffffff00, v48
	v_sub_i16 v54, v54, v59 clamp
	v_or_b32_sdwa v48, v54, v48 dst_sel:DWORD dst_unused:UNUSED_PAD src0_sel:BYTE_1 src1_sel:DWORD
	v_and_b32_sdwa v54, v4, s21 dst_sel:DWORD dst_unused:UNUSED_PAD src0_sel:WORD_1 src1_sel:DWORD
	v_sub_i16 v54, v54, v65 clamp
	v_lshlrev_b16_sdwa v4, v37, v4 dst_sel:DWORD dst_unused:UNUSED_PAD src0_sel:DWORD src1_sel:WORD_1
	v_lshlrev_b16_e32 v59, 8, v62
	v_and_b32_e32 v54, 0xffffff00, v54
	v_sub_i16 v4, v4, v59 clamp
	v_or_b32_sdwa v4, v4, v54 dst_sel:WORD_1 dst_unused:UNUSED_PAD src0_sel:BYTE_1 src1_sel:DWORD
	v_dot4c_i32_i8_e32 v53, v11, v5
	v_or_b32_sdwa v48, v48, v4 dst_sel:DWORD dst_unused:UNUSED_PAD src0_sel:WORD_0 src1_sel:DWORD
	v_bfe_u32 v4, v55, 16, 8
	v_lshlrev_b32_e32 v5, 2, v50
	v_and_or_b32 v4, v5, s20, v4
	v_lshlrev_b32_e32 v4, 2, v4
	global_load_dword v4, v4, s[16:17]
	v_dot4c_i32_i8_e32 v53, v48, v6
	v_lshrrev_b32_e32 v5, 24, v55
	v_lshlrev_b32_e32 v6, 1, v50
	v_and_or_b32 v5, v6, s20, v5
	v_lshlrev_b32_e32 v5, 2, v5
	global_load_dword v5, v5, s[16:17]
	v_bfe_u32 v55, v56, 27, 1
	v_lshlrev_b32_e32 v6, 5, v58
	v_lshrrev_b32_e32 v54, 25, v56
	v_cmp_ne_u16_e32 vcc, 0, v55
	v_lshlrev_b16_e32 v50, 7, v57
	v_bfe_i32 v54, v54, 0, 1
	v_lshrrev_b16_e32 v6, 7, v6
	v_cndmask_b32_e64 v55, 0, -1, vcc
	v_ashrrev_i16_e32 v50, 15, v50
	v_bfe_i32 v6, v6, 0, 1
	v_lshlrev_b16_e32 v54, 8, v54
	v_lshlrev_b16_e32 v55, 8, v55
	v_or_b32_sdwa v57, v50, v54 dst_sel:DWORD dst_unused:UNUSED_PAD src0_sel:BYTE_0 src1_sel:DWORD
	v_or_b32_sdwa v59, v6, v55 dst_sel:WORD_1 dst_unused:UNUSED_PAD src0_sel:BYTE_0 src1_sel:DWORD
	v_lshrrev_b32_e32 v60, 29, v56
	v_or_b32_sdwa v57, v57, v59 dst_sel:DWORD dst_unused:UNUSED_PAD src0_sel:WORD_0 src1_sel:DWORD
	v_lshrrev_b32_e32 v56, 31, v56
	v_lshlrev_b16_e32 v50, 8, v50
	v_lshlrev_b32_e32 v59, 1, v58
	v_cmp_ne_u16_e32 vcc, 0, v56
	v_bfe_i32 v60, v60, 0, 1
	v_lshrrev_b16_e32 v59, 7, v59
	v_cndmask_b32_e64 v56, 0, -1, vcc
	v_bfe_i32 v58, v58, 4, 1
	v_bfe_i32 v59, v59, 0, 1
	v_lshlrev_b16_e32 v60, 8, v60
	v_lshlrev_b16_e32 v56, 8, v56
	;; [unrolled: 1-line block ×3, first 2 shown]
	v_or_b32_sdwa v61, v58, v60 dst_sel:DWORD dst_unused:UNUSED_PAD src0_sel:BYTE_0 src1_sel:DWORD
	v_or_b32_sdwa v62, v59, v56 dst_sel:WORD_1 dst_unused:UNUSED_PAD src0_sel:BYTE_0 src1_sel:DWORD
	v_cmp_le_u32_e32 vcc, s7, v33
	v_or_b32_sdwa v61, v61, v62 dst_sel:DWORD dst_unused:UNUSED_PAD src0_sel:WORD_0 src1_sel:DWORD
	s_or_b64 s[8:9], vcc, s[8:9]
	s_waitcnt vmcnt(1)
	v_xor_b32_e32 v4, v4, v57
	v_and_b32_e32 v57, 0xffffff00, v4
	v_sub_i16 v54, v57, v54 clamp
	v_lshlrev_b16_e32 v57, 8, v4
	v_and_b32_e32 v54, 0xffffff00, v54
	v_sub_i16 v50, v57, v50 clamp
	v_or_b32_sdwa v50, v50, v54 dst_sel:DWORD dst_unused:UNUSED_PAD src0_sel:BYTE_1 src1_sel:DWORD
	v_and_b32_sdwa v54, v4, s21 dst_sel:DWORD dst_unused:UNUSED_PAD src0_sel:WORD_1 src1_sel:DWORD
	v_sub_i16 v54, v54, v55 clamp
	v_lshlrev_b16_sdwa v4, v37, v4 dst_sel:DWORD dst_unused:UNUSED_PAD src0_sel:DWORD src1_sel:WORD_1
	v_and_b32_e32 v54, 0xffffff00, v54
	v_sub_i16 v4, v4, v6 clamp
	v_or_b32_sdwa v4, v4, v54 dst_sel:WORD_1 dst_unused:UNUSED_PAD src0_sel:BYTE_1 src1_sel:DWORD
	v_lshlrev_b16_e32 v54, 8, v58
	v_or_b32_sdwa v6, v50, v4 dst_sel:DWORD dst_unused:UNUSED_PAD src0_sel:WORD_0 src1_sel:DWORD
	s_waitcnt vmcnt(0)
	v_xor_b32_e32 v4, v5, v61
	v_and_b32_e32 v5, 0xffffff00, v4
	v_sub_i16 v5, v5, v60 clamp
	v_lshlrev_b16_e32 v50, 8, v4
	v_and_b32_e32 v5, 0xffffff00, v5
	v_sub_i16 v50, v50, v54 clamp
	v_or_b32_sdwa v5, v50, v5 dst_sel:DWORD dst_unused:UNUSED_PAD src0_sel:BYTE_1 src1_sel:DWORD
	v_and_b32_sdwa v50, v4, s21 dst_sel:DWORD dst_unused:UNUSED_PAD src0_sel:WORD_1 src1_sel:DWORD
	v_sub_i16 v50, v50, v56 clamp
	v_lshlrev_b16_sdwa v4, v37, v4 dst_sel:DWORD dst_unused:UNUSED_PAD src0_sel:DWORD src1_sel:WORD_1
	v_lshlrev_b16_e32 v54, 8, v59
	v_and_b32_e32 v50, 0xffffff00, v50
	v_sub_i16 v4, v4, v54 clamp
	v_or_b32_sdwa v4, v4, v50 dst_sel:WORD_1 dst_unused:UNUSED_PAD src0_sel:BYTE_1 src1_sel:DWORD
	v_dot4c_i32_i8_e32 v53, v6, v7
	v_or_b32_sdwa v50, v5, v4 dst_sel:DWORD dst_unused:UNUSED_PAD src0_sel:WORD_0 src1_sel:DWORD
	v_dot4c_i32_i8_e32 v53, v50, v52
	v_lshl_add_u64 v[4:5], v[28:29], 0, v[14:15]
	global_load_ushort v52, v[28:29], off
	global_load_ubyte v7, v[26:27], off offset:106
	global_load_ubyte v54, v[4:5], off offset:106
	s_waitcnt vmcnt(1)
	v_lshrrev_b32_e32 v5, v16, v7
	s_waitcnt vmcnt(0)
	v_lshrrev_b32_e32 v4, v17, v54
	v_lshlrev_b32_e32 v5, 1, v5
	v_lshlrev_b32_e32 v4, 1, v4
	v_and_or_b32 v7, v4, 30, 1
	v_and_or_b32 v26, v5, 30, 1
	v_mul_lo_u32 v27, v49, v26
	v_mul_lo_u32 v49, v53, v7
	v_cvt_f32_f16_e32 v5, v52
	v_cvt_f32_f16_e32 v4, v51
	v_cvt_f32_i32_e32 v53, v49
	v_cvt_f32_i32_e32 v52, v27
	v_pk_mul_f32 v[28:29], v[8:9], v[4:5] op_sel_hi:[0,1]
	v_pk_fma_f32 v[0:1], v[28:29], v[52:53], v[0:1]
	v_mad_u64_u32 v[28:29], s[16:17], v34, 36, s[24:25]
	v_mad_u64_u32 v[28:29], s[16:17], v12, 36, v[28:29]
	global_load_dword v27, v[28:29], off offset:32
	global_load_dwordx4 v[52:55], v[28:29], off offset:16
	global_load_dwordx4 v[56:59], v[28:29], off
	v_mov_b32_e32 v28, 0
	v_mov_b32_e32 v29, 0
	v_add_u32_e32 v34, 0x80, v34
	s_waitcnt vmcnt(0)
	v_dot4c_i32_i8_e32 v28, v38, v57
	v_dot4c_i32_i8_e32 v29, v46, v57
	;; [unrolled: 1-line block ×16, first 2 shown]
	v_cvt_f32_f16_e32 v8, v56
	v_pk_mul_f32 v[4:5], v[8:9], v[4:5] op_sel_hi:[0,1]
	v_mul_lo_u32 v6, v28, v26
	v_mul_lo_u32 v7, v29, v7
	v_cvt_f32_i32_e32 v7, v7
	v_cvt_f32_i32_e32 v6, v6
	v_pk_fma_f32 v[2:3], v[4:5], v[6:7], v[2:3]
	s_andn2_b64 exec, exec, s[8:9]
	s_cbranch_execnz .LBB257_2
; %bb.3:
	s_or_b64 exec, exec, s[8:9]
	ds_write_b128 v31, v[0:3]
.LBB257_4:
	s_or_b64 exec, exec, s[0:1]
	v_cmp_eq_u32_e32 vcc, 0, v32
	v_cmp_ne_u32_e64 s[0:1], 0, v32
	v_lshlrev_b32_e32 v4, 2, v30
	s_and_saveexec_b64 s[8:9], s[0:1]
	s_cbranch_execz .LBB257_6
; %bb.5:
	v_lshl_or_b32 v5, v32, 10, v4
	v_add_u32_e32 v5, 0xfffffc00, v5
	ds_write2st64_b32 v5, v0, v1 offset1:1
	ds_write2st64_b32 v5, v2, v3 offset0:2 offset1:3
.LBB257_6:
	s_or_b64 exec, exec, s[8:9]
	s_waitcnt lgkmcnt(0)
	s_barrier
	s_and_saveexec_b64 s[0:1], vcc
	s_cbranch_execz .LBB257_11
; %bb.7:
	v_mbcnt_lo_u32_b32 v0, -1, 0
	v_mbcnt_hi_u32_b32 v12, -1, v0
	ds_read2st64_b32 v[2:3], v4 offset1:1
	ds_read_b64 v[6:7], v31
	v_and_b32_e32 v0, 64, v12
	v_add_u32_e32 v13, 64, v0
	v_xor_b32_e32 v0, 32, v12
	v_cmp_lt_i32_e32 vcc, v0, v13
	s_waitcnt lgkmcnt(0)
	v_pk_add_f32 v[2:3], v[2:3], v[6:7]
	v_xor_b32_e32 v1, 16, v12
	v_cndmask_b32_e32 v0, v12, v0, vcc
	v_lshlrev_b32_e32 v0, 2, v0
	ds_bpermute_b32 v6, v0, v2
	ds_bpermute_b32 v7, v0, v3
	v_cmp_lt_i32_e32 vcc, v1, v13
	v_xor_b32_e32 v5, 2, v12
	s_load_dwordx2 s[0:1], s[2:3], 0x38
	v_cndmask_b32_e32 v1, v12, v1, vcc
	v_lshlrev_b32_e32 v1, 2, v1
	s_waitcnt lgkmcnt(0)
	v_pk_add_f32 v[6:7], v[2:3], v[6:7]
	ds_bpermute_b32 v8, v1, v6
	ds_bpermute_b32 v9, v1, v7
	v_xor_b32_e32 v2, 8, v12
	v_cmp_lt_i32_e32 vcc, v2, v13
	v_xor_b32_e32 v3, 4, v12
	s_mul_i32 s2, s5, s14
	v_cndmask_b32_e32 v2, v12, v2, vcc
	v_lshlrev_b32_e32 v2, 2, v2
	s_waitcnt lgkmcnt(0)
	v_pk_add_f32 v[6:7], v[6:7], v[8:9]
	ds_bpermute_b32 v8, v2, v6
	ds_bpermute_b32 v9, v2, v7
	v_cmp_lt_i32_e32 vcc, v3, v13
	s_mul_i32 s6, s6, s18
	s_add_i32 s2, s2, s4
	v_cndmask_b32_e32 v3, v12, v3, vcc
	v_lshlrev_b32_e32 v3, 2, v3
	s_waitcnt lgkmcnt(0)
	v_pk_add_f32 v[6:7], v[6:7], v[8:9]
	ds_bpermute_b32 v8, v3, v6
	ds_bpermute_b32 v9, v3, v7
	v_cmp_lt_i32_e32 vcc, v5, v13
	s_add_i32 s2, s2, s6
	s_mov_b32 s3, 0
	v_cndmask_b32_e32 v5, v12, v5, vcc
	v_lshlrev_b32_e32 v5, 2, v5
	s_waitcnt lgkmcnt(0)
	v_pk_add_f32 v[8:9], v[6:7], v[8:9]
	ds_bpermute_b32 v10, v5, v8
	ds_bpermute_b32 v11, v5, v9
	v_xor_b32_e32 v6, 1, v12
	v_cmp_lt_i32_e32 vcc, v6, v13
	s_lshl_b64 s[2:3], s[2:3], 2
	s_add_u32 s2, s0, s2
	v_cndmask_b32_e32 v6, v12, v6, vcc
	v_lshlrev_b32_e32 v6, 2, v6
	s_waitcnt lgkmcnt(0)
	v_pk_add_f32 v[8:9], v[8:9], v[10:11]
	ds_bpermute_b32 v10, v6, v8
	ds_bpermute_b32 v11, v6, v9
	v_or_b32_e32 v7, s4, v30
	s_addc_u32 s3, s1, s3
	v_cmp_gt_u32_e32 vcc, 2, v30
	v_cmp_gt_u32_e64 s[0:1], s10, v7
	s_and_b64 s[0:1], vcc, s[0:1]
	s_waitcnt lgkmcnt(0)
	v_pk_add_f32 v[8:9], v[8:9], v[10:11]
	ds_write_b64 v31, v[8:9]
	s_and_saveexec_b64 s[4:5], s[0:1]
	s_cbranch_execz .LBB257_9
; %bb.8:
	v_add_u32_e32 v7, v31, v4
	ds_read_b32 v7, v7
	s_waitcnt lgkmcnt(0)
	global_store_dword v4, v7, s[2:3]
.LBB257_9:
	s_or_b64 exec, exec, s[4:5]
	ds_read2st64_b32 v[8:9], v4 offset0:2 offset1:3
	ds_read_b64 v[10:11], v31 offset:8
	s_waitcnt lgkmcnt(0)
	v_pk_add_f32 v[8:9], v[8:9], v[10:11]
	ds_bpermute_b32 v10, v0, v8
	ds_bpermute_b32 v11, v0, v9
	s_waitcnt lgkmcnt(0)
	v_pk_add_f32 v[8:9], v[8:9], v[10:11]
	ds_bpermute_b32 v0, v1, v8
	ds_bpermute_b32 v1, v1, v9
	;; [unrolled: 4-line block ×6, first 2 shown]
	s_waitcnt lgkmcnt(0)
	v_pk_add_f32 v[0:1], v[0:1], v[2:3]
	ds_write_b64 v31, v[0:1] offset:8
	s_and_b64 exec, exec, s[0:1]
	s_cbranch_execz .LBB257_11
; %bb.10:
	v_lshl_add_u32 v0, v30, 2, v31
	ds_read_b32 v2, v0 offset:8
	v_add_u32_e32 v0, s10, v30
	v_mov_b32_e32 v1, 0
	v_lshl_add_u64 v[0:1], v[0:1], 2, s[2:3]
	s_waitcnt lgkmcnt(0)
	global_store_dword v[0:1], v2, off
.LBB257_11:
	s_endpgm
	.section	.rodata,"a",@progbits
	.p2align	6, 0x0
	.amdhsa_kernel _ZL13mul_mat_vec_qIL9ggml_type21ELi2ELb0ELb0EEvPKvS2_PKi31ggml_cuda_mm_fusion_args_devicePfj15HIP_vector_typeIjLj3EEjjjS8_jjjS8_jjjj
		.amdhsa_group_segment_fixed_size 3072
		.amdhsa_private_segment_fixed_size 0
		.amdhsa_kernarg_size 144
		.amdhsa_user_sgpr_count 4
		.amdhsa_user_sgpr_dispatch_ptr 1
		.amdhsa_user_sgpr_queue_ptr 0
		.amdhsa_user_sgpr_kernarg_segment_ptr 1
		.amdhsa_user_sgpr_dispatch_id 0
		.amdhsa_user_sgpr_kernarg_preload_length 0
		.amdhsa_user_sgpr_kernarg_preload_offset 0
		.amdhsa_user_sgpr_private_segment_size 0
		.amdhsa_uses_dynamic_stack 0
		.amdhsa_enable_private_segment 0
		.amdhsa_system_sgpr_workgroup_id_x 1
		.amdhsa_system_sgpr_workgroup_id_y 1
		.amdhsa_system_sgpr_workgroup_id_z 1
		.amdhsa_system_sgpr_workgroup_info 0
		.amdhsa_system_vgpr_workitem_id 2
		.amdhsa_next_free_vgpr 68
		.amdhsa_next_free_sgpr 30
		.amdhsa_accum_offset 68
		.amdhsa_reserve_vcc 1
		.amdhsa_float_round_mode_32 0
		.amdhsa_float_round_mode_16_64 0
		.amdhsa_float_denorm_mode_32 3
		.amdhsa_float_denorm_mode_16_64 3
		.amdhsa_dx10_clamp 1
		.amdhsa_ieee_mode 1
		.amdhsa_fp16_overflow 0
		.amdhsa_tg_split 0
		.amdhsa_exception_fp_ieee_invalid_op 0
		.amdhsa_exception_fp_denorm_src 0
		.amdhsa_exception_fp_ieee_div_zero 0
		.amdhsa_exception_fp_ieee_overflow 0
		.amdhsa_exception_fp_ieee_underflow 0
		.amdhsa_exception_fp_ieee_inexact 0
		.amdhsa_exception_int_div_zero 0
	.end_amdhsa_kernel
	.section	.text._ZL13mul_mat_vec_qIL9ggml_type21ELi2ELb0ELb0EEvPKvS2_PKi31ggml_cuda_mm_fusion_args_devicePfj15HIP_vector_typeIjLj3EEjjjS8_jjjS8_jjjj,"axG",@progbits,_ZL13mul_mat_vec_qIL9ggml_type21ELi2ELb0ELb0EEvPKvS2_PKi31ggml_cuda_mm_fusion_args_devicePfj15HIP_vector_typeIjLj3EEjjjS8_jjjS8_jjjj,comdat
.Lfunc_end257:
	.size	_ZL13mul_mat_vec_qIL9ggml_type21ELi2ELb0ELb0EEvPKvS2_PKi31ggml_cuda_mm_fusion_args_devicePfj15HIP_vector_typeIjLj3EEjjjS8_jjjS8_jjjj, .Lfunc_end257-_ZL13mul_mat_vec_qIL9ggml_type21ELi2ELb0ELb0EEvPKvS2_PKi31ggml_cuda_mm_fusion_args_devicePfj15HIP_vector_typeIjLj3EEjjjS8_jjjS8_jjjj
                                        ; -- End function
	.section	.AMDGPU.csdata,"",@progbits
; Kernel info:
; codeLenInByte = 5640
; NumSgprs: 36
; NumVgprs: 68
; NumAgprs: 0
; TotalNumVgprs: 68
; ScratchSize: 0
; MemoryBound: 0
; FloatMode: 240
; IeeeMode: 1
; LDSByteSize: 3072 bytes/workgroup (compile time only)
; SGPRBlocks: 4
; VGPRBlocks: 8
; NumSGPRsForWavesPerEU: 36
; NumVGPRsForWavesPerEU: 68
; AccumOffset: 68
; Occupancy: 7
; WaveLimiterHint : 0
; COMPUTE_PGM_RSRC2:SCRATCH_EN: 0
; COMPUTE_PGM_RSRC2:USER_SGPR: 4
; COMPUTE_PGM_RSRC2:TRAP_HANDLER: 0
; COMPUTE_PGM_RSRC2:TGID_X_EN: 1
; COMPUTE_PGM_RSRC2:TGID_Y_EN: 1
; COMPUTE_PGM_RSRC2:TGID_Z_EN: 1
; COMPUTE_PGM_RSRC2:TIDIG_COMP_CNT: 2
; COMPUTE_PGM_RSRC3_GFX90A:ACCUM_OFFSET: 16
; COMPUTE_PGM_RSRC3_GFX90A:TG_SPLIT: 0
	.section	.text._ZL13mul_mat_vec_qIL9ggml_type21ELi3ELb0ELb0EEvPKvS2_PKi31ggml_cuda_mm_fusion_args_devicePfj15HIP_vector_typeIjLj3EEjjjS8_jjjS8_jjjj,"axG",@progbits,_ZL13mul_mat_vec_qIL9ggml_type21ELi3ELb0ELb0EEvPKvS2_PKi31ggml_cuda_mm_fusion_args_devicePfj15HIP_vector_typeIjLj3EEjjjS8_jjjS8_jjjj,comdat
	.globl	_ZL13mul_mat_vec_qIL9ggml_type21ELi3ELb0ELb0EEvPKvS2_PKi31ggml_cuda_mm_fusion_args_devicePfj15HIP_vector_typeIjLj3EEjjjS8_jjjS8_jjjj ; -- Begin function _ZL13mul_mat_vec_qIL9ggml_type21ELi3ELb0ELb0EEvPKvS2_PKi31ggml_cuda_mm_fusion_args_devicePfj15HIP_vector_typeIjLj3EEjjjS8_jjjS8_jjjj
	.p2align	8
	.type	_ZL13mul_mat_vec_qIL9ggml_type21ELi3ELb0ELb0EEvPKvS2_PKi31ggml_cuda_mm_fusion_args_devicePfj15HIP_vector_typeIjLj3EEjjjS8_jjjS8_jjjj,@function
_ZL13mul_mat_vec_qIL9ggml_type21ELi3ELb0ELb0EEvPKvS2_PKi31ggml_cuda_mm_fusion_args_devicePfj15HIP_vector_typeIjLj3EEjjjS8_jjjS8_jjjj: ; @_ZL13mul_mat_vec_qIL9ggml_type21ELi3ELb0ELb0EEvPKvS2_PKi31ggml_cuda_mm_fusion_args_devicePfj15HIP_vector_typeIjLj3EEjjjS8_jjjS8_jjjj
; %bb.0:
	v_bfe_u32 v33, v0, 10, 10
	v_and_b32_e32 v32, 0x3ff, v0
	v_lshl_add_u32 v4, v33, 6, v32
	s_load_dword s6, s[0:1], 0x40
	s_load_dwordx4 s[8:11], s[0:1], 0x50
	s_load_dword s27, s[0:1], 0x60
	s_load_dwordx4 s[12:15], s[0:1], 0x68
	;; [unrolled: 2-line block ×3, first 2 shown]
	s_lshl_b32 s5, s2, 1
	s_waitcnt lgkmcnt(0)
	s_lshr_b32 s2, s6, 8
	v_mov_b32_e32 v0, 0
	v_lshrrev_b32_e32 v34, 3, v4
	v_mov_b32_e32 v1, v0
	v_mov_b32_e32 v2, v0
	;; [unrolled: 1-line block ×3, first 2 shown]
	v_cmp_gt_u32_e32 vcc, s2, v34
	v_mov_b32_e32 v13, v0
	v_mov_b32_e32 v12, v0
	scratch_store_dwordx2 off, v[0:1], off offset:16
	scratch_store_dwordx4 off, v[0:3], off
	s_and_saveexec_b64 s[6:7], vcc
	s_cbranch_execz .LBB258_4
; %bb.1:
	s_load_dwordx4 s[20:23], s[0:1], 0x0
	s_mul_i32 s17, s4, s17
	s_mul_i32 s24, s17, 36
	;; [unrolled: 1-line block ×3, first 2 shown]
	s_mul_hi_u32 s19, s17, 36
	s_waitcnt lgkmcnt(0)
	s_add_u32 s24, s22, s24
	s_addc_u32 s19, s23, s19
	s_mul_i32 s28, s13, 36
	s_mul_hi_u32 s29, s13, 36
	s_add_u32 s24, s24, s28
	s_mul_hi_u32 s11, s11, s3
	s_addc_u32 s25, s19, s29
	s_add_i32 s11, s3, s11
	s_lshr_b32 s11, s11, s27
	s_mul_i32 s11, s11, s12
	s_mul_hi_u32 s12, s15, s4
	s_add_i32 s12, s4, s12
	s_lshr_b32 s12, s12, s26
	s_mul_i32 s12, s12, s16
	s_add_i32 s15, s12, s11
	s_add_i32 s12, s5, 1
	v_lshlrev_b32_e32 v1, 1, v32
	s_mul_i32 s13, s5, s8
	s_mul_i32 s8, s8, s12
	v_and_b32_e32 v0, 14, v1
	v_bfe_u32 v16, v1, 2, 2
	s_add_i32 s11, s15, s13
	s_add_i32 s15, s15, s8
	v_lshlrev_b32_e32 v1, 3, v34
	s_movk_i32 s8, 0x120
	v_mov_b64_e32 v[4:5], s[28:29]
	v_add_u32_e32 v35, s9, v1
	v_lshl_add_u32 v36, s9, 1, v1
	v_mad_u64_u32 v[4:5], s[8:9], v34, s8, v[4:5]
	v_and_b32_e32 v14, 7, v32
	v_mad_u64_u32 v[4:5], s[8:9], s17, 36, v[4:5]
	v_lshlrev_b32_e32 v2, 1, v0
	v_mad_u64_u32 v[4:5], s[8:9], v14, 36, v[4:5]
	v_mov_b32_e32 v15, 0
	v_and_b32_e32 v18, 4, v2
	v_lshl_add_u64 v[4:5], v[4:5], 0, s[22:23]
	v_mov_b32_e32 v17, v15
	v_mov_b32_e32 v19, v18
	v_lshl_add_u64 v[20:21], v[4:5], 0, 32
	s_mov_b64 s[8:9], 0
	s_movk_i32 s19, 0x6e
	v_mov_b64_e32 v[22:23], s[20:21]
	v_lshlrev_b32_e32 v24, 1, v2
	v_lshlrev_b32_e32 v26, 1, v0
	s_movk_i32 s20, 0x100
	s_movk_i32 s21, 0xff00
	s_mov_b64 s[12:13], 0x1200
	v_mov_b32_e32 v25, v15
	v_mov_b32_e32 v27, v15
	;; [unrolled: 1-line block ×11, first 2 shown]
.LBB258_2:                              ; =>This Inner Loop Header: Depth=1
	v_add_u32_e32 v28, s11, v34
	v_mad_i64_i32 v[30:31], s[16:17], v28, s19, v[22:23]
	v_lshl_add_u64 v[28:29], v[30:31], 0, v[24:25]
	v_lshl_add_u64 v[40:41], v[30:31], 0, v[14:15]
	global_load_dword v54, v[20:21], off
	global_load_dwordx4 v[4:7], v[20:21], off offset:-16
	global_load_dwordx4 v[8:11], v[20:21], off offset:-32
	global_load_ubyte v46, v[40:41], off offset:66
	v_lshl_add_u64 v[40:41], v[30:31], 0, v[26:27]
	global_load_dwordx2 v[28:29], v[28:29], off offset:2
	s_getpc_b64 s[16:17]
	s_add_u32 s16, s16, _ZL9iq3s_grid@rel32@lo+4
	s_addc_u32 s17, s17, _ZL9iq3s_grid@rel32@hi+12
	global_load_dword v47, v[40:41], off offset:74
	v_lshl_add_u64 v[20:21], v[20:21], 0, s[12:13]
	s_waitcnt vmcnt(3)
	v_cvt_f32_f16_e32 v8, v8
	s_waitcnt vmcnt(2)
	v_lshlrev_b32_e32 v41, 8, v46
	v_lshlrev_b32_e32 v42, 7, v46
	s_waitcnt vmcnt(1)
	v_and_b32_e32 v40, 0xff, v28
	v_and_or_b32 v40, v41, s20, v40
	v_lshlrev_b32_e32 v40, 2, v40
	global_load_dword v40, v40, s[16:17]
	v_lshrrev_b16_e32 v41, 8, v28
	v_and_or_b32 v41, v42, s20, v41
	v_lshlrev_b32_e32 v41, 2, v41
	global_load_dword v41, v41, s[16:17]
	s_waitcnt vmcnt(2)
	v_bfe_u32 v45, v47, 3, 1
	v_lshlrev_b32_sdwa v42, v37, v47 dst_sel:DWORD dst_unused:UNUSED_PAD src0_sel:DWORD src1_sel:BYTE_0
	v_bfe_u32 v44, v47, 1, 7
	v_cmp_ne_u16_e32 vcc, 0, v45
	v_and_b32_e32 v43, 1, v47
	v_bfe_i32 v44, v44, 0, 1
	v_lshrrev_b16_e32 v42, 7, v42
	v_cndmask_b32_e64 v45, 0, -1, vcc
	v_sub_u16_e32 v43, 0, v43
	v_bfe_i32 v42, v42, 0, 1
	v_lshlrev_b16_e32 v44, 8, v44
	v_lshlrev_b16_e32 v45, 8, v45
	v_or_b32_sdwa v50, v43, v44 dst_sel:DWORD dst_unused:UNUSED_PAD src0_sel:BYTE_0 src1_sel:DWORD
	v_or_b32_sdwa v51, v42, v45 dst_sel:WORD_1 dst_unused:UNUSED_PAD src0_sel:BYTE_0 src1_sel:DWORD
	v_bfe_u32 v55, v47, 7, 1
	v_or_b32_sdwa v50, v50, v51 dst_sel:DWORD dst_unused:UNUSED_PAD src0_sel:WORD_0 src1_sel:DWORD
	v_lshlrev_b32_sdwa v51, v38, v47 dst_sel:DWORD dst_unused:UNUSED_PAD src0_sel:DWORD src1_sel:BYTE_0
	v_bfe_u32 v53, v47, 5, 3
	v_cmp_ne_u16_e32 vcc, 0, v55
	v_bfe_i32 v53, v53, 0, 1
	v_lshrrev_b16_e32 v51, 7, v51
	v_cndmask_b32_e64 v55, 0, -1, vcc
	v_lshlrev_b16_e32 v43, 8, v43
	v_bfe_i32 v52, v47, 4, 1
	v_bfe_i32 v51, v51, 0, 1
	v_lshlrev_b16_e32 v53, 8, v53
	v_lshlrev_b16_e32 v55, 8, v55
	v_or_b32_sdwa v56, v52, v53 dst_sel:DWORD dst_unused:UNUSED_PAD src0_sel:BYTE_0 src1_sel:DWORD
	v_or_b32_sdwa v57, v51, v55 dst_sel:WORD_1 dst_unused:UNUSED_PAD src0_sel:BYTE_0 src1_sel:DWORD
	v_lshlrev_b16_e32 v42, 8, v42
	v_or_b32_sdwa v56, v56, v57 dst_sel:DWORD dst_unused:UNUSED_PAD src0_sel:WORD_0 src1_sel:DWORD
	v_lshrrev_b32_e32 v48, 16, v47
	v_lshrrev_b32_e32 v49, 24, v47
	s_waitcnt vmcnt(1)
	v_xor_b32_e32 v40, v40, v50
	v_and_b32_e32 v50, 0xffffff00, v40
	v_sub_i16 v44, v50, v44 clamp
	v_lshlrev_b16_e32 v50, 8, v40
	v_and_b32_e32 v44, 0xffffff00, v44
	v_sub_i16 v43, v50, v43 clamp
	v_or_b32_sdwa v43, v43, v44 dst_sel:DWORD dst_unused:UNUSED_PAD src0_sel:BYTE_1 src1_sel:DWORD
	v_and_b32_sdwa v44, v40, s21 dst_sel:DWORD dst_unused:UNUSED_PAD src0_sel:WORD_1 src1_sel:DWORD
	v_sub_i16 v44, v44, v45 clamp
	v_lshlrev_b16_sdwa v40, v39, v40 dst_sel:DWORD dst_unused:UNUSED_PAD src0_sel:DWORD src1_sel:WORD_1
	v_and_b32_e32 v44, 0xffffff00, v44
	v_sub_i16 v40, v40, v42 clamp
	s_waitcnt vmcnt(0)
	v_xor_b32_e32 v41, v41, v56
	v_or_b32_sdwa v40, v40, v44 dst_sel:WORD_1 dst_unused:UNUSED_PAD src0_sel:BYTE_1 src1_sel:DWORD
	v_and_b32_e32 v42, 0xffffff00, v41
	v_or_b32_sdwa v40, v43, v40 dst_sel:DWORD dst_unused:UNUSED_PAD src0_sel:WORD_0 src1_sel:DWORD
	v_sub_i16 v42, v42, v53 clamp
	v_lshlrev_b16_e32 v43, 8, v41
	v_lshlrev_b16_e32 v44, 8, v52
	v_and_b32_e32 v42, 0xffffff00, v42
	v_sub_i16 v43, v43, v44 clamp
	v_or_b32_sdwa v42, v43, v42 dst_sel:DWORD dst_unused:UNUSED_PAD src0_sel:BYTE_1 src1_sel:DWORD
	v_and_b32_sdwa v43, v41, s21 dst_sel:DWORD dst_unused:UNUSED_PAD src0_sel:WORD_1 src1_sel:DWORD
	v_sub_i16 v43, v43, v55 clamp
	v_lshlrev_b16_sdwa v41, v39, v41 dst_sel:DWORD dst_unused:UNUSED_PAD src0_sel:DWORD src1_sel:WORD_1
	v_lshlrev_b16_e32 v44, 8, v51
	v_and_b32_e32 v43, 0xffffff00, v43
	v_sub_i16 v41, v41, v44 clamp
	v_or_b32_sdwa v41, v41, v43 dst_sel:WORD_1 dst_unused:UNUSED_PAD src0_sel:BYTE_1 src1_sel:DWORD
	v_lshlrev_b32_e32 v43, 6, v46
	v_or_b32_sdwa v41, v42, v41 dst_sel:DWORD dst_unused:UNUSED_PAD src0_sel:WORD_0 src1_sel:DWORD
	v_bfe_u32 v42, v28, 16, 8
	v_and_or_b32 v42, v43, s20, v42
	v_lshlrev_b32_e32 v42, 2, v42
	global_load_dword v42, v42, s[16:17]
	v_lshrrev_b32_e32 v28, 24, v28
	v_lshlrev_b32_e32 v43, 5, v46
	v_and_or_b32 v28, v43, s20, v28
	v_lshlrev_b32_e32 v28, 2, v28
	global_load_dword v28, v28, s[16:17]
	v_lshrrev_b16_e32 v43, 8, v47
	v_bfe_u32 v52, v43, 3, 1
	v_lshlrev_b32_e32 v44, 5, v43
	v_lshrrev_b32_e32 v51, 1, v43
	v_cmp_ne_u16_e32 vcc, 0, v52
	v_lshlrev_b16_e32 v45, 7, v47
	v_bfe_i32 v51, v51, 0, 1
	v_lshrrev_b16_e32 v44, 7, v44
	v_cndmask_b32_e64 v52, 0, -1, vcc
	v_ashrrev_i16_e32 v45, 15, v45
	v_bfe_i32 v44, v44, 0, 1
	v_lshlrev_b16_e32 v51, 8, v51
	v_lshlrev_b16_e32 v52, 8, v52
	v_or_b32_sdwa v53, v45, v51 dst_sel:DWORD dst_unused:UNUSED_PAD src0_sel:BYTE_0 src1_sel:DWORD
	v_or_b32_sdwa v55, v44, v52 dst_sel:WORD_1 dst_unused:UNUSED_PAD src0_sel:BYTE_0 src1_sel:DWORD
	v_bfe_i32 v56, v43, 4, 1
	v_or_b32_sdwa v53, v53, v55 dst_sel:DWORD dst_unused:UNUSED_PAD src0_sel:WORD_0 src1_sel:DWORD
	v_lshlrev_b32_e32 v55, 1, v43
	v_lshrrev_b32_e32 v57, 5, v43
	v_lshrrev_b32_e32 v43, 7, v43
	v_cmp_ne_u16_e32 vcc, 0, v43
	v_bfe_i32 v57, v57, 0, 1
	v_lshrrev_b16_e32 v55, 7, v55
	v_cndmask_b32_e64 v43, 0, -1, vcc
	v_lshlrev_b16_e32 v45, 8, v45
	v_bfe_i32 v55, v55, 0, 1
	v_lshlrev_b16_e32 v57, 8, v57
	v_lshlrev_b16_e32 v43, 8, v43
	v_or_b32_sdwa v58, v56, v57 dst_sel:DWORD dst_unused:UNUSED_PAD src0_sel:BYTE_0 src1_sel:DWORD
	v_or_b32_sdwa v59, v55, v43 dst_sel:WORD_1 dst_unused:UNUSED_PAD src0_sel:BYTE_0 src1_sel:DWORD
	v_lshlrev_b16_e32 v44, 8, v44
	v_or_b32_sdwa v58, v58, v59 dst_sel:DWORD dst_unused:UNUSED_PAD src0_sel:WORD_0 src1_sel:DWORD
	v_bfe_u32 v59, v48, 7, 1
	v_mov_b32_e32 v50, 0
	v_dot4c_i32_i8_e32 v50, v40, v9
	v_dot4c_i32_i8_e32 v50, v41, v10
	s_waitcnt vmcnt(1)
	v_xor_b32_e32 v42, v42, v53
	v_and_b32_e32 v53, 0xffffff00, v42
	v_sub_i16 v51, v53, v51 clamp
	v_lshlrev_b16_e32 v53, 8, v42
	v_and_b32_e32 v51, 0xffffff00, v51
	v_sub_i16 v45, v53, v45 clamp
	v_or_b32_sdwa v45, v45, v51 dst_sel:DWORD dst_unused:UNUSED_PAD src0_sel:BYTE_1 src1_sel:DWORD
	v_and_b32_sdwa v51, v42, s21 dst_sel:DWORD dst_unused:UNUSED_PAD src0_sel:WORD_1 src1_sel:DWORD
	v_sub_i16 v51, v51, v52 clamp
	v_lshlrev_b16_sdwa v42, v39, v42 dst_sel:DWORD dst_unused:UNUSED_PAD src0_sel:DWORD src1_sel:WORD_1
	v_and_b32_e32 v51, 0xffffff00, v51
	v_sub_i16 v42, v42, v44 clamp
	s_waitcnt vmcnt(0)
	v_xor_b32_e32 v28, v28, v58
	v_or_b32_sdwa v42, v42, v51 dst_sel:WORD_1 dst_unused:UNUSED_PAD src0_sel:BYTE_1 src1_sel:DWORD
	v_and_b32_e32 v44, 0xffffff00, v28
	v_or_b32_sdwa v42, v45, v42 dst_sel:DWORD dst_unused:UNUSED_PAD src0_sel:WORD_0 src1_sel:DWORD
	v_sub_i16 v44, v44, v57 clamp
	v_lshlrev_b16_e32 v45, 8, v28
	v_lshlrev_b16_e32 v51, 8, v56
	v_and_b32_e32 v44, 0xffffff00, v44
	v_sub_i16 v45, v45, v51 clamp
	v_or_b32_sdwa v44, v45, v44 dst_sel:DWORD dst_unused:UNUSED_PAD src0_sel:BYTE_1 src1_sel:DWORD
	v_and_b32_sdwa v45, v28, s21 dst_sel:DWORD dst_unused:UNUSED_PAD src0_sel:WORD_1 src1_sel:DWORD
	v_sub_i16 v43, v45, v43 clamp
	v_lshlrev_b16_sdwa v28, v39, v28 dst_sel:DWORD dst_unused:UNUSED_PAD src0_sel:DWORD src1_sel:WORD_1
	v_lshlrev_b16_e32 v45, 8, v55
	v_and_b32_e32 v43, 0xffffff00, v43
	v_sub_i16 v28, v28, v45 clamp
	v_or_b32_sdwa v28, v28, v43 dst_sel:WORD_1 dst_unused:UNUSED_PAD src0_sel:BYTE_1 src1_sel:DWORD
	v_lshlrev_b32_e32 v45, 3, v46
	v_or_b32_sdwa v43, v44, v28 dst_sel:DWORD dst_unused:UNUSED_PAD src0_sel:WORD_0 src1_sel:DWORD
	v_and_b32_e32 v28, 0xff, v29
	v_lshlrev_b32_e32 v44, 4, v46
	v_and_or_b32 v28, v44, s20, v28
	v_lshlrev_b32_e32 v28, 2, v28
	global_load_dword v28, v28, s[16:17]
	v_lshrrev_b16_e32 v44, 8, v29
	v_and_or_b32 v44, v45, s20, v44
	v_lshlrev_b32_e32 v44, 2, v44
	global_load_dword v45, v44, s[16:17]
	v_bfe_u32 v53, v47, 19, 1
	v_lshlrev_b32_sdwa v44, v37, v47 dst_sel:DWORD dst_unused:UNUSED_PAD src0_sel:DWORD src1_sel:BYTE_2
	v_bfe_u32 v52, v48, 1, 7
	v_cmp_ne_u16_e32 vcc, 0, v53
	v_and_b32_e32 v51, 1, v48
	v_bfe_i32 v52, v52, 0, 1
	v_lshrrev_b16_e32 v44, 7, v44
	v_cndmask_b32_e64 v53, 0, -1, vcc
	v_sub_u16_e32 v51, 0, v51
	v_bfe_i32 v44, v44, 0, 1
	v_lshlrev_b16_e32 v52, 8, v52
	v_lshlrev_b16_e32 v53, 8, v53
	v_or_b32_sdwa v55, v51, v52 dst_sel:DWORD dst_unused:UNUSED_PAD src0_sel:BYTE_0 src1_sel:DWORD
	v_or_b32_sdwa v56, v44, v53 dst_sel:WORD_1 dst_unused:UNUSED_PAD src0_sel:BYTE_0 src1_sel:DWORD
	v_lshlrev_b16_e32 v51, 8, v51
	v_or_b32_sdwa v55, v55, v56 dst_sel:DWORD dst_unused:UNUSED_PAD src0_sel:WORD_0 src1_sel:DWORD
	v_lshlrev_b32_sdwa v56, v38, v47 dst_sel:DWORD dst_unused:UNUSED_PAD src0_sel:DWORD src1_sel:BYTE_2
	v_bfe_u32 v58, v48, 5, 3
	v_cmp_ne_u16_e32 vcc, 0, v59
	v_bfe_i32 v58, v58, 0, 1
	v_lshrrev_b16_e32 v56, 7, v56
	v_cndmask_b32_e64 v59, 0, -1, vcc
	v_bfe_i32 v57, v47, 20, 1
	v_bfe_i32 v56, v56, 0, 1
	v_lshlrev_b16_e32 v58, 8, v58
	v_lshlrev_b16_e32 v59, 8, v59
	;; [unrolled: 1-line block ×3, first 2 shown]
	v_or_b32_sdwa v60, v57, v58 dst_sel:DWORD dst_unused:UNUSED_PAD src0_sel:BYTE_0 src1_sel:DWORD
	v_or_b32_sdwa v61, v56, v59 dst_sel:WORD_1 dst_unused:UNUSED_PAD src0_sel:BYTE_0 src1_sel:DWORD
	v_lshlrev_b16_e32 v48, 7, v48
	v_or_b32_sdwa v60, v60, v61 dst_sel:DWORD dst_unused:UNUSED_PAD src0_sel:WORD_0 src1_sel:DWORD
	v_ashrrev_i16_e32 v48, 15, v48
	v_dot4c_i32_i8_e32 v50, v42, v11
	v_dot4c_i32_i8_e32 v50, v43, v4
	s_waitcnt vmcnt(1)
	v_xor_b32_e32 v28, v28, v55
	v_and_b32_e32 v55, 0xffffff00, v28
	v_sub_i16 v52, v55, v52 clamp
	v_lshlrev_b16_e32 v55, 8, v28
	v_and_b32_e32 v52, 0xffffff00, v52
	v_sub_i16 v51, v55, v51 clamp
	v_or_b32_sdwa v51, v51, v52 dst_sel:DWORD dst_unused:UNUSED_PAD src0_sel:BYTE_1 src1_sel:DWORD
	v_and_b32_sdwa v52, v28, s21 dst_sel:DWORD dst_unused:UNUSED_PAD src0_sel:WORD_1 src1_sel:DWORD
	v_sub_i16 v52, v52, v53 clamp
	v_lshlrev_b16_sdwa v28, v39, v28 dst_sel:DWORD dst_unused:UNUSED_PAD src0_sel:DWORD src1_sel:WORD_1
	v_and_b32_e32 v52, 0xffffff00, v52
	v_sub_i16 v28, v28, v44 clamp
	v_or_b32_sdwa v28, v28, v52 dst_sel:WORD_1 dst_unused:UNUSED_PAD src0_sel:BYTE_1 src1_sel:DWORD
	v_lshlrev_b16_e32 v52, 8, v57
	v_or_b32_sdwa v44, v51, v28 dst_sel:DWORD dst_unused:UNUSED_PAD src0_sel:WORD_0 src1_sel:DWORD
	s_waitcnt vmcnt(0)
	v_xor_b32_e32 v28, v45, v60
	v_and_b32_e32 v45, 0xffffff00, v28
	v_sub_i16 v45, v45, v58 clamp
	v_lshlrev_b16_e32 v51, 8, v28
	v_and_b32_e32 v45, 0xffffff00, v45
	v_sub_i16 v51, v51, v52 clamp
	v_or_b32_sdwa v45, v51, v45 dst_sel:DWORD dst_unused:UNUSED_PAD src0_sel:BYTE_1 src1_sel:DWORD
	v_and_b32_sdwa v51, v28, s21 dst_sel:DWORD dst_unused:UNUSED_PAD src0_sel:WORD_1 src1_sel:DWORD
	v_sub_i16 v51, v51, v59 clamp
	v_lshlrev_b16_sdwa v28, v39, v28 dst_sel:DWORD dst_unused:UNUSED_PAD src0_sel:DWORD src1_sel:WORD_1
	v_lshlrev_b16_e32 v52, 8, v56
	v_and_b32_e32 v51, 0xffffff00, v51
	v_sub_i16 v28, v28, v52 clamp
	v_or_b32_sdwa v28, v28, v51 dst_sel:WORD_1 dst_unused:UNUSED_PAD src0_sel:BYTE_1 src1_sel:DWORD
	v_lshlrev_b32_e32 v51, 2, v46
	v_or_b32_sdwa v45, v45, v28 dst_sel:DWORD dst_unused:UNUSED_PAD src0_sel:WORD_0 src1_sel:DWORD
	v_bfe_u32 v28, v29, 16, 8
	v_and_or_b32 v28, v51, s20, v28
	v_lshlrev_b32_e32 v28, 2, v28
	global_load_dword v28, v28, s[16:17]
	v_lshrrev_b32_e32 v29, 24, v29
	v_lshlrev_b32_e32 v46, 1, v46
	v_and_or_b32 v29, v46, s20, v29
	v_lshlrev_b32_e32 v29, 2, v29
	global_load_dword v29, v29, s[16:17]
	v_bfe_u32 v52, v47, 27, 1
	v_lshlrev_b32_e32 v46, 5, v49
	v_lshrrev_b32_e32 v51, 25, v47
	v_cmp_ne_u16_e32 vcc, 0, v52
	v_bfe_i32 v51, v51, 0, 1
	v_lshrrev_b16_e32 v46, 7, v46
	v_cndmask_b32_e64 v52, 0, -1, vcc
	v_bfe_i32 v46, v46, 0, 1
	v_lshlrev_b16_e32 v51, 8, v51
	v_lshlrev_b16_e32 v52, 8, v52
	v_or_b32_sdwa v53, v48, v51 dst_sel:DWORD dst_unused:UNUSED_PAD src0_sel:BYTE_0 src1_sel:DWORD
	v_or_b32_sdwa v55, v46, v52 dst_sel:WORD_1 dst_unused:UNUSED_PAD src0_sel:BYTE_0 src1_sel:DWORD
	v_lshrrev_b32_e32 v56, 29, v47
	v_or_b32_sdwa v53, v53, v55 dst_sel:DWORD dst_unused:UNUSED_PAD src0_sel:WORD_0 src1_sel:DWORD
	v_lshrrev_b32_e32 v47, 31, v47
	v_lshlrev_b16_e32 v48, 8, v48
	v_lshlrev_b32_e32 v55, 1, v49
	v_cmp_ne_u16_e32 vcc, 0, v47
	v_bfe_i32 v56, v56, 0, 1
	v_lshrrev_b16_e32 v55, 7, v55
	v_cndmask_b32_e64 v47, 0, -1, vcc
	v_bfe_i32 v49, v49, 4, 1
	v_bfe_i32 v55, v55, 0, 1
	v_lshlrev_b16_e32 v56, 8, v56
	v_lshlrev_b16_e32 v47, 8, v47
	;; [unrolled: 1-line block ×3, first 2 shown]
	v_or_b32_sdwa v57, v49, v56 dst_sel:DWORD dst_unused:UNUSED_PAD src0_sel:BYTE_0 src1_sel:DWORD
	v_or_b32_sdwa v58, v55, v47 dst_sel:WORD_1 dst_unused:UNUSED_PAD src0_sel:BYTE_0 src1_sel:DWORD
	v_lshlrev_b16_e32 v49, 8, v49
	v_or_b32_sdwa v57, v57, v58 dst_sel:DWORD dst_unused:UNUSED_PAD src0_sel:WORD_0 src1_sel:DWORD
	v_dot4c_i32_i8_e32 v50, v44, v5
	v_dot4c_i32_i8_e32 v50, v45, v6
	s_waitcnt vmcnt(1)
	v_xor_b32_e32 v28, v28, v53
	v_and_b32_e32 v53, 0xffffff00, v28
	v_sub_i16 v51, v53, v51 clamp
	v_lshlrev_b16_e32 v53, 8, v28
	v_and_b32_e32 v51, 0xffffff00, v51
	v_sub_i16 v48, v53, v48 clamp
	v_or_b32_sdwa v48, v48, v51 dst_sel:DWORD dst_unused:UNUSED_PAD src0_sel:BYTE_1 src1_sel:DWORD
	v_and_b32_sdwa v51, v28, s21 dst_sel:DWORD dst_unused:UNUSED_PAD src0_sel:WORD_1 src1_sel:DWORD
	v_sub_i16 v51, v51, v52 clamp
	v_lshlrev_b16_sdwa v28, v39, v28 dst_sel:DWORD dst_unused:UNUSED_PAD src0_sel:DWORD src1_sel:WORD_1
	v_and_b32_e32 v51, 0xffffff00, v51
	v_sub_i16 v28, v28, v46 clamp
	v_or_b32_sdwa v28, v28, v51 dst_sel:WORD_1 dst_unused:UNUSED_PAD src0_sel:BYTE_1 src1_sel:DWORD
	global_load_ushort v53, v[30:31], off
	v_or_b32_sdwa v46, v48, v28 dst_sel:DWORD dst_unused:UNUSED_PAD src0_sel:WORD_0 src1_sel:DWORD
	s_waitcnt vmcnt(1)
	v_xor_b32_e32 v28, v29, v57
	v_and_b32_e32 v29, 0xffffff00, v28
	v_sub_i16 v29, v29, v56 clamp
	v_lshlrev_b16_e32 v48, 8, v28
	v_and_b32_e32 v29, 0xffffff00, v29
	v_sub_i16 v48, v48, v49 clamp
	v_or_b32_sdwa v29, v48, v29 dst_sel:DWORD dst_unused:UNUSED_PAD src0_sel:BYTE_1 src1_sel:DWORD
	v_and_b32_sdwa v48, v28, s21 dst_sel:DWORD dst_unused:UNUSED_PAD src0_sel:WORD_1 src1_sel:DWORD
	v_sub_i16 v47, v48, v47 clamp
	v_lshlrev_b16_sdwa v28, v39, v28 dst_sel:DWORD dst_unused:UNUSED_PAD src0_sel:DWORD src1_sel:WORD_1
	v_lshlrev_b16_e32 v48, 8, v55
	v_and_b32_e32 v47, 0xffffff00, v47
	v_sub_i16 v28, v28, v48 clamp
	v_or_b32_sdwa v28, v28, v47 dst_sel:WORD_1 dst_unused:UNUSED_PAD src0_sel:BYTE_1 src1_sel:DWORD
	v_dot4c_i32_i8_e32 v50, v46, v7
	v_or_b32_sdwa v47, v29, v28 dst_sel:DWORD dst_unused:UNUSED_PAD src0_sel:WORD_0 src1_sel:DWORD
	v_lshl_add_u64 v[28:29], v[30:31], 0, v[16:17]
	v_add_u32_e32 v30, s15, v34
	v_mad_i64_i32 v[30:31], s[22:23], v30, s19, v[22:23]
	v_lshl_add_u64 v[48:49], v[30:31], 0, v[24:25]
	global_load_dwordx2 v[56:57], v[48:49], off offset:2
	v_lshl_add_u64 v[48:49], v[30:31], 0, v[14:15]
	global_load_ubyte v52, v[48:49], off offset:66
	v_lshl_add_u64 v[48:49], v[30:31], 0, v[26:27]
	global_load_dword v58, v[48:49], off offset:74
	v_dot4c_i32_i8_e32 v50, v47, v54
	v_add_u32_e32 v34, 16, v34
	s_waitcnt vmcnt(2)
	v_and_b32_e32 v48, 0xff, v56
	s_waitcnt vmcnt(1)
	v_lshlrev_b32_e32 v49, 8, v52
	v_and_or_b32 v48, v49, s20, v48
	v_lshlrev_b32_e32 v48, 2, v48
	global_load_dword v48, v48, s[16:17]
	v_lshrrev_b16_e32 v49, 8, v56
	v_lshlrev_b32_e32 v51, 7, v52
	v_and_or_b32 v49, v51, s20, v49
	v_lshlrev_b32_e32 v49, 2, v49
	global_load_dword v49, v49, s[16:17]
	s_waitcnt vmcnt(2)
	v_bfe_u32 v62, v58, 3, 1
	v_lshlrev_b32_sdwa v51, v37, v58 dst_sel:DWORD dst_unused:UNUSED_PAD src0_sel:DWORD src1_sel:BYTE_0
	v_bfe_u32 v61, v58, 1, 7
	v_cmp_ne_u16_e32 vcc, 0, v62
	v_and_b32_e32 v55, 1, v58
	v_bfe_i32 v61, v61, 0, 1
	v_lshrrev_b16_e32 v51, 7, v51
	v_cndmask_b32_e64 v62, 0, -1, vcc
	v_sub_u16_e32 v55, 0, v55
	v_bfe_i32 v51, v51, 0, 1
	v_lshlrev_b16_e32 v61, 8, v61
	v_lshlrev_b16_e32 v62, 8, v62
	v_or_b32_sdwa v63, v55, v61 dst_sel:DWORD dst_unused:UNUSED_PAD src0_sel:BYTE_0 src1_sel:DWORD
	v_or_b32_sdwa v64, v51, v62 dst_sel:WORD_1 dst_unused:UNUSED_PAD src0_sel:BYTE_0 src1_sel:DWORD
	v_bfe_u32 v67, v58, 7, 1
	v_or_b32_sdwa v63, v63, v64 dst_sel:DWORD dst_unused:UNUSED_PAD src0_sel:WORD_0 src1_sel:DWORD
	v_lshlrev_b32_sdwa v64, v38, v58 dst_sel:DWORD dst_unused:UNUSED_PAD src0_sel:DWORD src1_sel:BYTE_0
	v_bfe_u32 v66, v58, 5, 3
	v_cmp_ne_u16_e32 vcc, 0, v67
	v_bfe_i32 v66, v66, 0, 1
	v_lshrrev_b16_e32 v64, 7, v64
	v_cndmask_b32_e64 v67, 0, -1, vcc
	v_lshlrev_b16_e32 v55, 8, v55
	v_bfe_i32 v65, v58, 4, 1
	v_bfe_i32 v64, v64, 0, 1
	v_lshlrev_b16_e32 v66, 8, v66
	v_lshlrev_b16_e32 v67, 8, v67
	v_or_b32_sdwa v68, v65, v66 dst_sel:DWORD dst_unused:UNUSED_PAD src0_sel:BYTE_0 src1_sel:DWORD
	v_or_b32_sdwa v69, v64, v67 dst_sel:WORD_1 dst_unused:UNUSED_PAD src0_sel:BYTE_0 src1_sel:DWORD
	v_lshlrev_b16_e32 v51, 8, v51
	v_or_b32_sdwa v68, v68, v69 dst_sel:DWORD dst_unused:UNUSED_PAD src0_sel:WORD_0 src1_sel:DWORD
	v_lshrrev_b32_e32 v59, 16, v58
	v_lshrrev_b32_e32 v60, 24, v58
	s_waitcnt vmcnt(1)
	v_xor_b32_e32 v48, v48, v63
	v_and_b32_e32 v63, 0xffffff00, v48
	v_sub_i16 v61, v63, v61 clamp
	v_lshlrev_b16_e32 v63, 8, v48
	v_and_b32_e32 v61, 0xffffff00, v61
	v_sub_i16 v55, v63, v55 clamp
	v_or_b32_sdwa v55, v55, v61 dst_sel:DWORD dst_unused:UNUSED_PAD src0_sel:BYTE_1 src1_sel:DWORD
	v_and_b32_sdwa v61, v48, s21 dst_sel:DWORD dst_unused:UNUSED_PAD src0_sel:WORD_1 src1_sel:DWORD
	v_sub_i16 v61, v61, v62 clamp
	v_lshlrev_b16_sdwa v48, v39, v48 dst_sel:DWORD dst_unused:UNUSED_PAD src0_sel:DWORD src1_sel:WORD_1
	v_and_b32_e32 v61, 0xffffff00, v61
	v_sub_i16 v48, v48, v51 clamp
	s_waitcnt vmcnt(0)
	v_xor_b32_e32 v49, v49, v68
	v_or_b32_sdwa v48, v48, v61 dst_sel:WORD_1 dst_unused:UNUSED_PAD src0_sel:BYTE_1 src1_sel:DWORD
	v_and_b32_e32 v51, 0xffffff00, v49
	v_or_b32_sdwa v48, v55, v48 dst_sel:DWORD dst_unused:UNUSED_PAD src0_sel:WORD_0 src1_sel:DWORD
	v_sub_i16 v51, v51, v66 clamp
	v_lshlrev_b16_e32 v55, 8, v49
	v_lshlrev_b16_e32 v61, 8, v65
	v_and_b32_e32 v51, 0xffffff00, v51
	v_sub_i16 v55, v55, v61 clamp
	v_or_b32_sdwa v51, v55, v51 dst_sel:DWORD dst_unused:UNUSED_PAD src0_sel:BYTE_1 src1_sel:DWORD
	v_and_b32_sdwa v55, v49, s21 dst_sel:DWORD dst_unused:UNUSED_PAD src0_sel:WORD_1 src1_sel:DWORD
	v_sub_i16 v55, v55, v67 clamp
	v_lshlrev_b16_sdwa v49, v39, v49 dst_sel:DWORD dst_unused:UNUSED_PAD src0_sel:DWORD src1_sel:WORD_1
	v_lshlrev_b16_e32 v61, 8, v64
	v_and_b32_e32 v55, 0xffffff00, v55
	v_sub_i16 v49, v49, v61 clamp
	v_or_b32_sdwa v49, v49, v55 dst_sel:WORD_1 dst_unused:UNUSED_PAD src0_sel:BYTE_1 src1_sel:DWORD
	v_mov_b32_e32 v55, 0
	v_or_b32_sdwa v49, v51, v49 dst_sel:DWORD dst_unused:UNUSED_PAD src0_sel:WORD_0 src1_sel:DWORD
	v_dot4c_i32_i8_e32 v55, v48, v9
	v_dot4c_i32_i8_e32 v55, v49, v10
	v_bfe_u32 v9, v56, 16, 8
	v_lshlrev_b32_e32 v10, 6, v52
	v_and_or_b32 v9, v10, s20, v9
	v_lshlrev_b32_e32 v9, 2, v9
	global_load_dword v9, v9, s[16:17]
	v_lshrrev_b32_e32 v10, 24, v56
	v_lshlrev_b32_e32 v51, 5, v52
	v_and_or_b32 v10, v51, s20, v10
	v_lshlrev_b32_e32 v10, 2, v10
	global_load_dword v10, v10, s[16:17]
	v_lshrrev_b16_e32 v51, 8, v58
	v_bfe_u32 v63, v51, 3, 1
	v_lshlrev_b32_e32 v56, 5, v51
	v_lshrrev_b32_e32 v62, 1, v51
	v_cmp_ne_u16_e32 vcc, 0, v63
	v_lshlrev_b16_e32 v61, 7, v58
	v_bfe_i32 v62, v62, 0, 1
	v_lshrrev_b16_e32 v56, 7, v56
	v_cndmask_b32_e64 v63, 0, -1, vcc
	v_ashrrev_i16_e32 v61, 15, v61
	v_bfe_i32 v56, v56, 0, 1
	v_lshlrev_b16_e32 v62, 8, v62
	v_lshlrev_b16_e32 v63, 8, v63
	v_or_b32_sdwa v64, v61, v62 dst_sel:DWORD dst_unused:UNUSED_PAD src0_sel:BYTE_0 src1_sel:DWORD
	v_or_b32_sdwa v65, v56, v63 dst_sel:WORD_1 dst_unused:UNUSED_PAD src0_sel:BYTE_0 src1_sel:DWORD
	v_bfe_i32 v66, v51, 4, 1
	v_or_b32_sdwa v64, v64, v65 dst_sel:DWORD dst_unused:UNUSED_PAD src0_sel:WORD_0 src1_sel:DWORD
	v_lshlrev_b32_e32 v65, 1, v51
	v_lshrrev_b32_e32 v67, 5, v51
	v_lshrrev_b32_e32 v51, 7, v51
	v_cmp_ne_u16_e32 vcc, 0, v51
	v_bfe_i32 v67, v67, 0, 1
	v_lshrrev_b16_e32 v65, 7, v65
	v_cndmask_b32_e64 v51, 0, -1, vcc
	v_lshlrev_b16_e32 v61, 8, v61
	v_bfe_i32 v65, v65, 0, 1
	v_lshlrev_b16_e32 v67, 8, v67
	v_lshlrev_b16_e32 v51, 8, v51
	v_or_b32_sdwa v68, v66, v67 dst_sel:DWORD dst_unused:UNUSED_PAD src0_sel:BYTE_0 src1_sel:DWORD
	v_or_b32_sdwa v69, v65, v51 dst_sel:WORD_1 dst_unused:UNUSED_PAD src0_sel:BYTE_0 src1_sel:DWORD
	v_lshlrev_b16_e32 v56, 8, v56
	v_or_b32_sdwa v68, v68, v69 dst_sel:DWORD dst_unused:UNUSED_PAD src0_sel:WORD_0 src1_sel:DWORD
	s_waitcnt vmcnt(1)
	v_xor_b32_e32 v9, v9, v64
	v_and_b32_e32 v64, 0xffffff00, v9
	v_sub_i16 v62, v64, v62 clamp
	v_lshlrev_b16_e32 v64, 8, v9
	v_and_b32_e32 v62, 0xffffff00, v62
	v_sub_i16 v61, v64, v61 clamp
	v_or_b32_sdwa v61, v61, v62 dst_sel:DWORD dst_unused:UNUSED_PAD src0_sel:BYTE_1 src1_sel:DWORD
	v_and_b32_sdwa v62, v9, s21 dst_sel:DWORD dst_unused:UNUSED_PAD src0_sel:WORD_1 src1_sel:DWORD
	v_sub_i16 v62, v62, v63 clamp
	v_lshlrev_b16_sdwa v9, v39, v9 dst_sel:DWORD dst_unused:UNUSED_PAD src0_sel:DWORD src1_sel:WORD_1
	v_and_b32_e32 v62, 0xffffff00, v62
	v_sub_i16 v9, v9, v56 clamp
	s_waitcnt vmcnt(0)
	v_xor_b32_e32 v10, v10, v68
	v_or_b32_sdwa v9, v9, v62 dst_sel:WORD_1 dst_unused:UNUSED_PAD src0_sel:BYTE_1 src1_sel:DWORD
	v_and_b32_e32 v56, 0xffffff00, v10
	v_or_b32_sdwa v9, v61, v9 dst_sel:DWORD dst_unused:UNUSED_PAD src0_sel:WORD_0 src1_sel:DWORD
	v_sub_i16 v56, v56, v67 clamp
	v_lshlrev_b16_e32 v61, 8, v10
	v_lshlrev_b16_e32 v62, 8, v66
	v_and_b32_e32 v56, 0xffffff00, v56
	v_sub_i16 v61, v61, v62 clamp
	v_or_b32_sdwa v56, v61, v56 dst_sel:DWORD dst_unused:UNUSED_PAD src0_sel:BYTE_1 src1_sel:DWORD
	v_and_b32_sdwa v61, v10, s21 dst_sel:DWORD dst_unused:UNUSED_PAD src0_sel:WORD_1 src1_sel:DWORD
	v_sub_i16 v51, v61, v51 clamp
	v_lshlrev_b16_sdwa v10, v39, v10 dst_sel:DWORD dst_unused:UNUSED_PAD src0_sel:DWORD src1_sel:WORD_1
	v_lshlrev_b16_e32 v61, 8, v65
	v_and_b32_e32 v51, 0xffffff00, v51
	v_sub_i16 v10, v10, v61 clamp
	v_or_b32_sdwa v10, v10, v51 dst_sel:WORD_1 dst_unused:UNUSED_PAD src0_sel:BYTE_1 src1_sel:DWORD
	v_dot4c_i32_i8_e32 v55, v9, v11
	v_or_b32_sdwa v10, v56, v10 dst_sel:DWORD dst_unused:UNUSED_PAD src0_sel:WORD_0 src1_sel:DWORD
	v_dot4c_i32_i8_e32 v55, v10, v4
	v_and_b32_e32 v4, 0xff, v57
	v_lshlrev_b32_e32 v11, 4, v52
	v_and_or_b32 v4, v11, s20, v4
	v_lshlrev_b32_e32 v4, 2, v4
	global_load_dword v4, v4, s[16:17]
	v_lshrrev_b16_e32 v11, 8, v57
	v_lshlrev_b32_e32 v51, 3, v52
	v_and_or_b32 v11, v51, s20, v11
	v_lshlrev_b32_e32 v11, 2, v11
	global_load_dword v51, v11, s[16:17]
	v_bfe_u32 v62, v58, 19, 1
	v_lshlrev_b32_sdwa v11, v37, v58 dst_sel:DWORD dst_unused:UNUSED_PAD src0_sel:DWORD src1_sel:BYTE_2
	v_bfe_u32 v61, v59, 1, 7
	v_cmp_ne_u16_e32 vcc, 0, v62
	v_and_b32_e32 v56, 1, v59
	v_bfe_i32 v61, v61, 0, 1
	v_lshrrev_b16_e32 v11, 7, v11
	v_cndmask_b32_e64 v62, 0, -1, vcc
	v_sub_u16_e32 v56, 0, v56
	v_bfe_i32 v11, v11, 0, 1
	v_lshlrev_b16_e32 v61, 8, v61
	v_lshlrev_b16_e32 v62, 8, v62
	v_or_b32_sdwa v63, v56, v61 dst_sel:DWORD dst_unused:UNUSED_PAD src0_sel:BYTE_0 src1_sel:DWORD
	v_or_b32_sdwa v64, v11, v62 dst_sel:WORD_1 dst_unused:UNUSED_PAD src0_sel:BYTE_0 src1_sel:DWORD
	v_bfe_u32 v67, v59, 7, 1
	v_or_b32_sdwa v63, v63, v64 dst_sel:DWORD dst_unused:UNUSED_PAD src0_sel:WORD_0 src1_sel:DWORD
	v_lshlrev_b16_e32 v56, 8, v56
	v_lshlrev_b32_sdwa v64, v38, v58 dst_sel:DWORD dst_unused:UNUSED_PAD src0_sel:DWORD src1_sel:BYTE_2
	v_bfe_u32 v66, v59, 5, 3
	v_cmp_ne_u16_e32 vcc, 0, v67
	v_bfe_i32 v66, v66, 0, 1
	v_lshrrev_b16_e32 v64, 7, v64
	v_cndmask_b32_e64 v67, 0, -1, vcc
	v_bfe_i32 v65, v58, 20, 1
	v_bfe_i32 v64, v64, 0, 1
	v_lshlrev_b16_e32 v66, 8, v66
	v_lshlrev_b16_e32 v67, 8, v67
	;; [unrolled: 1-line block ×3, first 2 shown]
	v_or_b32_sdwa v68, v65, v66 dst_sel:DWORD dst_unused:UNUSED_PAD src0_sel:BYTE_0 src1_sel:DWORD
	v_or_b32_sdwa v69, v64, v67 dst_sel:WORD_1 dst_unused:UNUSED_PAD src0_sel:BYTE_0 src1_sel:DWORD
	s_waitcnt vmcnt(1)
	v_xor_b32_e32 v4, v4, v63
	v_and_b32_e32 v63, 0xffffff00, v4
	v_sub_i16 v61, v63, v61 clamp
	v_lshlrev_b16_e32 v63, 8, v4
	v_and_b32_e32 v61, 0xffffff00, v61
	v_sub_i16 v56, v63, v56 clamp
	v_or_b32_sdwa v56, v56, v61 dst_sel:DWORD dst_unused:UNUSED_PAD src0_sel:BYTE_1 src1_sel:DWORD
	v_and_b32_sdwa v61, v4, s21 dst_sel:DWORD dst_unused:UNUSED_PAD src0_sel:WORD_1 src1_sel:DWORD
	v_sub_i16 v61, v61, v62 clamp
	v_lshlrev_b16_sdwa v4, v39, v4 dst_sel:DWORD dst_unused:UNUSED_PAD src0_sel:DWORD src1_sel:WORD_1
	v_and_b32_e32 v61, 0xffffff00, v61
	v_sub_i16 v4, v4, v11 clamp
	v_or_b32_sdwa v68, v68, v69 dst_sel:DWORD dst_unused:UNUSED_PAD src0_sel:WORD_0 src1_sel:DWORD
	v_or_b32_sdwa v4, v4, v61 dst_sel:WORD_1 dst_unused:UNUSED_PAD src0_sel:BYTE_1 src1_sel:DWORD
	v_lshlrev_b16_e32 v61, 8, v65
	v_or_b32_sdwa v11, v56, v4 dst_sel:DWORD dst_unused:UNUSED_PAD src0_sel:WORD_0 src1_sel:DWORD
	s_waitcnt vmcnt(0)
	v_xor_b32_e32 v4, v51, v68
	v_and_b32_e32 v51, 0xffffff00, v4
	v_sub_i16 v51, v51, v66 clamp
	v_lshlrev_b16_e32 v56, 8, v4
	v_and_b32_e32 v51, 0xffffff00, v51
	v_sub_i16 v56, v56, v61 clamp
	v_or_b32_sdwa v51, v56, v51 dst_sel:DWORD dst_unused:UNUSED_PAD src0_sel:BYTE_1 src1_sel:DWORD
	v_and_b32_sdwa v56, v4, s21 dst_sel:DWORD dst_unused:UNUSED_PAD src0_sel:WORD_1 src1_sel:DWORD
	v_sub_i16 v56, v56, v67 clamp
	v_lshlrev_b16_sdwa v4, v39, v4 dst_sel:DWORD dst_unused:UNUSED_PAD src0_sel:DWORD src1_sel:WORD_1
	v_lshlrev_b16_e32 v61, 8, v64
	v_and_b32_e32 v56, 0xffffff00, v56
	v_sub_i16 v4, v4, v61 clamp
	v_or_b32_sdwa v4, v4, v56 dst_sel:WORD_1 dst_unused:UNUSED_PAD src0_sel:BYTE_1 src1_sel:DWORD
	v_dot4c_i32_i8_e32 v55, v11, v5
	v_or_b32_sdwa v51, v51, v4 dst_sel:DWORD dst_unused:UNUSED_PAD src0_sel:WORD_0 src1_sel:DWORD
	v_bfe_u32 v4, v57, 16, 8
	v_lshlrev_b32_e32 v5, 2, v52
	v_and_or_b32 v4, v5, s20, v4
	v_lshlrev_b32_e32 v4, 2, v4
	global_load_dword v4, v4, s[16:17]
	v_dot4c_i32_i8_e32 v55, v51, v6
	v_lshrrev_b32_e32 v5, 24, v57
	v_lshlrev_b32_e32 v6, 1, v52
	v_and_or_b32 v5, v6, s20, v5
	v_lshlrev_b32_e32 v5, 2, v5
	global_load_dword v5, v5, s[16:17]
	v_bfe_u32 v57, v58, 27, 1
	v_lshlrev_b32_e32 v6, 5, v60
	v_lshrrev_b32_e32 v56, 25, v58
	v_cmp_ne_u16_e32 vcc, 0, v57
	v_lshlrev_b16_e32 v52, 7, v59
	v_bfe_i32 v56, v56, 0, 1
	v_lshrrev_b16_e32 v6, 7, v6
	v_cndmask_b32_e64 v57, 0, -1, vcc
	v_ashrrev_i16_e32 v52, 15, v52
	v_bfe_i32 v6, v6, 0, 1
	v_lshlrev_b16_e32 v56, 8, v56
	v_lshlrev_b16_e32 v57, 8, v57
	v_or_b32_sdwa v59, v52, v56 dst_sel:DWORD dst_unused:UNUSED_PAD src0_sel:BYTE_0 src1_sel:DWORD
	v_or_b32_sdwa v61, v6, v57 dst_sel:WORD_1 dst_unused:UNUSED_PAD src0_sel:BYTE_0 src1_sel:DWORD
	v_lshrrev_b32_e32 v62, 29, v58
	v_or_b32_sdwa v59, v59, v61 dst_sel:DWORD dst_unused:UNUSED_PAD src0_sel:WORD_0 src1_sel:DWORD
	v_lshrrev_b32_e32 v58, 31, v58
	v_lshlrev_b16_e32 v52, 8, v52
	v_lshlrev_b32_e32 v61, 1, v60
	v_cmp_ne_u16_e32 vcc, 0, v58
	v_bfe_i32 v62, v62, 0, 1
	v_lshrrev_b16_e32 v61, 7, v61
	v_cndmask_b32_e64 v58, 0, -1, vcc
	v_bfe_i32 v60, v60, 4, 1
	v_bfe_i32 v61, v61, 0, 1
	v_lshlrev_b16_e32 v62, 8, v62
	v_lshlrev_b16_e32 v58, 8, v58
	;; [unrolled: 1-line block ×3, first 2 shown]
	v_or_b32_sdwa v63, v60, v62 dst_sel:DWORD dst_unused:UNUSED_PAD src0_sel:BYTE_0 src1_sel:DWORD
	v_or_b32_sdwa v64, v61, v58 dst_sel:WORD_1 dst_unused:UNUSED_PAD src0_sel:BYTE_0 src1_sel:DWORD
	v_cmp_le_u32_e32 vcc, s2, v34
	v_or_b32_sdwa v63, v63, v64 dst_sel:DWORD dst_unused:UNUSED_PAD src0_sel:WORD_0 src1_sel:DWORD
	s_or_b64 s[8:9], vcc, s[8:9]
	s_waitcnt vmcnt(1)
	v_xor_b32_e32 v4, v4, v59
	v_and_b32_e32 v59, 0xffffff00, v4
	v_sub_i16 v56, v59, v56 clamp
	v_lshlrev_b16_e32 v59, 8, v4
	v_and_b32_e32 v56, 0xffffff00, v56
	v_sub_i16 v52, v59, v52 clamp
	v_or_b32_sdwa v52, v52, v56 dst_sel:DWORD dst_unused:UNUSED_PAD src0_sel:BYTE_1 src1_sel:DWORD
	v_and_b32_sdwa v56, v4, s21 dst_sel:DWORD dst_unused:UNUSED_PAD src0_sel:WORD_1 src1_sel:DWORD
	v_sub_i16 v56, v56, v57 clamp
	v_lshlrev_b16_sdwa v4, v39, v4 dst_sel:DWORD dst_unused:UNUSED_PAD src0_sel:DWORD src1_sel:WORD_1
	v_and_b32_e32 v56, 0xffffff00, v56
	v_sub_i16 v4, v4, v6 clamp
	v_or_b32_sdwa v4, v4, v56 dst_sel:WORD_1 dst_unused:UNUSED_PAD src0_sel:BYTE_1 src1_sel:DWORD
	v_lshlrev_b16_e32 v56, 8, v60
	v_or_b32_sdwa v6, v52, v4 dst_sel:DWORD dst_unused:UNUSED_PAD src0_sel:WORD_0 src1_sel:DWORD
	s_waitcnt vmcnt(0)
	v_xor_b32_e32 v4, v5, v63
	v_and_b32_e32 v5, 0xffffff00, v4
	v_sub_i16 v5, v5, v62 clamp
	v_lshlrev_b16_e32 v52, 8, v4
	v_and_b32_e32 v5, 0xffffff00, v5
	v_sub_i16 v52, v52, v56 clamp
	v_or_b32_sdwa v5, v52, v5 dst_sel:DWORD dst_unused:UNUSED_PAD src0_sel:BYTE_1 src1_sel:DWORD
	v_and_b32_sdwa v52, v4, s21 dst_sel:DWORD dst_unused:UNUSED_PAD src0_sel:WORD_1 src1_sel:DWORD
	v_sub_i16 v52, v52, v58 clamp
	v_lshlrev_b16_sdwa v4, v39, v4 dst_sel:DWORD dst_unused:UNUSED_PAD src0_sel:DWORD src1_sel:WORD_1
	v_lshlrev_b16_e32 v56, 8, v61
	v_and_b32_e32 v52, 0xffffff00, v52
	v_sub_i16 v4, v4, v56 clamp
	v_or_b32_sdwa v4, v4, v52 dst_sel:WORD_1 dst_unused:UNUSED_PAD src0_sel:BYTE_1 src1_sel:DWORD
	v_dot4c_i32_i8_e32 v55, v6, v7
	v_or_b32_sdwa v52, v5, v4 dst_sel:DWORD dst_unused:UNUSED_PAD src0_sel:WORD_0 src1_sel:DWORD
	v_dot4c_i32_i8_e32 v55, v52, v54
	v_lshl_add_u64 v[4:5], v[30:31], 0, v[16:17]
	global_load_ushort v54, v[30:31], off
	global_load_ubyte v7, v[28:29], off offset:106
	global_load_ubyte v56, v[4:5], off offset:106
	s_waitcnt vmcnt(1)
	v_lshrrev_b32_e32 v5, v18, v7
	s_waitcnt vmcnt(0)
	v_lshrrev_b32_e32 v4, v19, v56
	v_lshlrev_b32_e32 v5, 1, v5
	v_lshlrev_b32_e32 v4, 1, v4
	v_and_or_b32 v7, v4, 30, 1
	v_and_or_b32 v28, v5, 30, 1
	v_mul_lo_u32 v29, v50, v28
	v_mul_lo_u32 v50, v55, v7
	v_cvt_f32_f16_e32 v5, v54
	v_cvt_f32_f16_e32 v4, v53
	v_cvt_f32_i32_e32 v55, v50
	v_cvt_f32_i32_e32 v54, v29
	v_pk_mul_f32 v[30:31], v[8:9], v[4:5] op_sel_hi:[0,1]
	v_pk_fma_f32 v[0:1], v[30:31], v[54:55], v[0:1]
	v_mad_u64_u32 v[30:31], s[16:17], v35, 36, s[24:25]
	v_mad_u64_u32 v[30:31], s[16:17], v14, 36, v[30:31]
	global_load_dword v29, v[30:31], off offset:32
	global_load_dwordx4 v[54:57], v[30:31], off offset:16
	global_load_dwordx4 v[58:61], v[30:31], off
	v_mov_b32_e32 v30, 0
	v_mov_b32_e32 v31, 0
	v_add_u32_e32 v35, 0x80, v35
	s_waitcnt vmcnt(0)
	v_dot4c_i32_i8_e32 v30, v40, v59
	v_dot4c_i32_i8_e32 v31, v48, v59
	;; [unrolled: 1-line block ×16, first 2 shown]
	v_cvt_f32_f16_e32 v8, v58
	s_nop 0
	v_mul_lo_u32 v29, v30, v28
	v_mul_lo_u32 v50, v31, v7
	v_cvt_f32_i32_e32 v55, v50
	v_cvt_f32_i32_e32 v54, v29
	v_pk_mul_f32 v[30:31], v[8:9], v[4:5] op_sel_hi:[0,1]
	v_pk_fma_f32 v[2:3], v[30:31], v[54:55], v[2:3]
	v_mad_u64_u32 v[30:31], s[16:17], v36, 36, s[24:25]
	v_mad_u64_u32 v[30:31], s[16:17], v14, 36, v[30:31]
	global_load_dword v29, v[30:31], off offset:32
	global_load_dwordx4 v[54:57], v[30:31], off offset:16
	global_load_dwordx4 v[58:61], v[30:31], off
	v_mov_b32_e32 v30, 0
	v_mov_b32_e32 v31, 0
	v_add_u32_e32 v36, 0x80, v36
	s_waitcnt vmcnt(0)
	v_dot4c_i32_i8_e32 v30, v40, v59
	v_dot4c_i32_i8_e32 v31, v48, v59
	;; [unrolled: 1-line block ×16, first 2 shown]
	v_cvt_f32_f16_e32 v8, v58
	v_pk_mul_f32 v[4:5], v[8:9], v[4:5] op_sel_hi:[0,1]
	v_mul_lo_u32 v6, v30, v28
	v_mul_lo_u32 v7, v31, v7
	v_cvt_f32_i32_e32 v7, v7
	v_cvt_f32_i32_e32 v6, v6
	v_pk_fma_f32 v[12:13], v[4:5], v[6:7], v[12:13]
	s_andn2_b64 exec, exec, s[8:9]
	s_cbranch_execnz .LBB258_2
; %bb.3:
	s_or_b64 exec, exec, s[8:9]
	scratch_store_dwordx4 off, v[0:3], off
	scratch_store_dwordx2 off, v[12:13], off offset:16
.LBB258_4:
	s_or_b64 exec, exec, s[6:7]
	v_cmp_eq_u32_e32 vcc, 0, v33
	v_cmp_ne_u32_e64 s[6:7], 0, v33
	v_lshlrev_b32_e32 v4, 2, v32
	s_and_saveexec_b64 s[8:9], s[6:7]
	s_cbranch_execz .LBB258_6
; %bb.5:
	v_mul_u32_u24_e32 v5, 0x600, v33
	s_movk_i32 s2, 0xfa00
	v_add3_u32 v5, v5, v4, s2
	ds_write2st64_b32 v5, v0, v1 offset1:1
	ds_write2st64_b32 v5, v2, v3 offset0:2 offset1:3
	ds_write2st64_b32 v5, v12, v13 offset0:4 offset1:5
.LBB258_6:
	s_or_b64 exec, exec, s[8:9]
	s_waitcnt lgkmcnt(0)
	s_barrier
	s_and_saveexec_b64 s[6:7], vcc
	s_cbranch_execz .LBB258_13
; %bb.7:
	scratch_load_dwordx2 v[2:3], off, off
	v_mbcnt_lo_u32_b32 v0, -1, 0
	ds_read2st64_b32 v[6:7], v4 offset1:1
	v_mbcnt_hi_u32_b32 v12, -1, v0
	v_and_b32_e32 v0, 64, v12
	v_xor_b32_e32 v1, 32, v12
	v_add_u32_e32 v13, 64, v0
	v_cmp_lt_i32_e32 vcc, v1, v13
	v_xor_b32_e32 v5, 16, v12
	v_xor_b32_e32 v10, 8, v12
	v_cndmask_b32_e32 v0, v12, v1, vcc
	v_lshlrev_b32_e32 v0, 2, v0
	v_cmp_lt_i32_e32 vcc, v5, v13
	v_xor_b32_e32 v11, 4, v12
	v_xor_b32_e32 v14, 1, v12
	v_cndmask_b32_e32 v1, v12, v5, vcc
	v_lshlrev_b32_e32 v1, 2, v1
	v_cmp_lt_i32_e32 vcc, v10, v13
	v_xor_b32_e32 v5, 2, v12
	s_load_dwordx2 s[0:1], s[0:1], 0x38
	s_mul_i32 s2, s3, s14
	s_mul_i32 s4, s4, s18
	s_add_i32 s2, s2, s5
	s_mov_b32 s3, 0
	s_add_i32 s2, s2, s4
	s_lshl_b64 s[2:3], s[2:3], 2
	s_waitcnt lgkmcnt(0)
	s_add_u32 s2, s0, s2
	s_addc_u32 s3, s1, s3
	s_waitcnt vmcnt(0)
	v_pk_add_f32 v[2:3], v[6:7], v[2:3]
	ds_bpermute_b32 v6, v0, v2
	ds_bpermute_b32 v7, v0, v3
	s_waitcnt lgkmcnt(0)
	v_pk_add_f32 v[6:7], v[2:3], v[6:7]
	ds_bpermute_b32 v8, v1, v6
	ds_bpermute_b32 v9, v1, v7
	v_cndmask_b32_e32 v2, v12, v10, vcc
	v_lshlrev_b32_e32 v2, 2, v2
	v_cmp_lt_i32_e32 vcc, v11, v13
	s_waitcnt lgkmcnt(0)
	v_pk_add_f32 v[6:7], v[6:7], v[8:9]
	ds_bpermute_b32 v8, v2, v6
	ds_bpermute_b32 v9, v2, v7
	v_cndmask_b32_e32 v3, v12, v11, vcc
	v_lshlrev_b32_e32 v3, 2, v3
	v_cmp_lt_i32_e32 vcc, v5, v13
	;; [unrolled: 7-line block ×3, first 2 shown]
	s_waitcnt lgkmcnt(0)
	v_pk_add_f32 v[8:9], v[6:7], v[8:9]
	ds_bpermute_b32 v10, v5, v8
	ds_bpermute_b32 v11, v5, v9
	v_cndmask_b32_e32 v6, v12, v14, vcc
	v_lshlrev_b32_e32 v6, 2, v6
	v_or_b32_e32 v7, s5, v32
	v_cmp_gt_u32_e32 vcc, 2, v32
	s_waitcnt lgkmcnt(0)
	v_pk_add_f32 v[8:9], v[8:9], v[10:11]
	ds_bpermute_b32 v10, v6, v8
	ds_bpermute_b32 v11, v6, v9
	v_cmp_gt_u32_e64 s[0:1], s10, v7
	s_and_b64 s[0:1], vcc, s[0:1]
	s_waitcnt lgkmcnt(0)
	v_pk_add_f32 v[8:9], v[8:9], v[10:11]
	scratch_store_dwordx2 off, v[8:9], off
	s_and_saveexec_b64 s[4:5], s[0:1]
	s_cbranch_execz .LBB258_9
; %bb.8:
	scratch_load_dword v7, v4, off
	s_waitcnt vmcnt(0)
	global_store_dword v4, v7, s[2:3]
.LBB258_9:
	s_or_b64 exec, exec, s[4:5]
	scratch_load_dwordx2 v[8:9], off, off offset:8
	ds_read2st64_b32 v[10:11], v4 offset0:2 offset1:3
	s_waitcnt vmcnt(0) lgkmcnt(0)
	v_pk_add_f32 v[8:9], v[10:11], v[8:9]
	ds_bpermute_b32 v10, v0, v8
	ds_bpermute_b32 v11, v0, v9
	s_waitcnt lgkmcnt(0)
	v_pk_add_f32 v[8:9], v[8:9], v[10:11]
	ds_bpermute_b32 v10, v1, v8
	ds_bpermute_b32 v11, v1, v9
	s_waitcnt lgkmcnt(0)
	;; [unrolled: 4-line block ×6, first 2 shown]
	v_pk_add_f32 v[8:9], v[8:9], v[10:11]
	scratch_store_dwordx2 off, v[8:9], off offset:8
	s_and_saveexec_b64 s[4:5], s[0:1]
	s_cbranch_execz .LBB258_11
; %bb.10:
	scratch_load_dword v7, v4, off offset:8
	v_add_u32_e32 v8, s10, v32
	v_mov_b32_e32 v9, 0
	v_lshl_add_u64 v[8:9], v[8:9], 2, s[2:3]
	s_waitcnt vmcnt(0)
	global_store_dword v[8:9], v7, off
.LBB258_11:
	s_or_b64 exec, exec, s[4:5]
	scratch_load_dwordx2 v[8:9], off, off offset:16
	ds_read2st64_b32 v[10:11], v4 offset0:4 offset1:5
	s_waitcnt vmcnt(0) lgkmcnt(0)
	v_pk_add_f32 v[8:9], v[10:11], v[8:9]
	ds_bpermute_b32 v10, v0, v8
	ds_bpermute_b32 v11, v0, v9
	s_waitcnt lgkmcnt(0)
	v_pk_add_f32 v[8:9], v[8:9], v[10:11]
	ds_bpermute_b32 v0, v1, v8
	ds_bpermute_b32 v1, v1, v9
	s_waitcnt lgkmcnt(0)
	;; [unrolled: 4-line block ×6, first 2 shown]
	v_pk_add_f32 v[0:1], v[0:1], v[2:3]
	scratch_store_dwordx2 off, v[0:1], off offset:16
	s_and_b64 exec, exec, s[0:1]
	s_cbranch_execz .LBB258_13
; %bb.12:
	scratch_load_dword v2, v4, off offset:16
	v_lshl_or_b32 v0, s10, 1, v32
	v_mov_b32_e32 v1, 0
	v_lshl_add_u64 v[0:1], v[0:1], 2, s[2:3]
	s_waitcnt vmcnt(0)
	global_store_dword v[0:1], v2, off
.LBB258_13:
	s_endpgm
	.section	.rodata,"a",@progbits
	.p2align	6, 0x0
	.amdhsa_kernel _ZL13mul_mat_vec_qIL9ggml_type21ELi3ELb0ELb0EEvPKvS2_PKi31ggml_cuda_mm_fusion_args_devicePfj15HIP_vector_typeIjLj3EEjjjS8_jjjS8_jjjj
		.amdhsa_group_segment_fixed_size 1536
		.amdhsa_private_segment_fixed_size 32
		.amdhsa_kernarg_size 144
		.amdhsa_user_sgpr_count 2
		.amdhsa_user_sgpr_dispatch_ptr 0
		.amdhsa_user_sgpr_queue_ptr 0
		.amdhsa_user_sgpr_kernarg_segment_ptr 1
		.amdhsa_user_sgpr_dispatch_id 0
		.amdhsa_user_sgpr_kernarg_preload_length 0
		.amdhsa_user_sgpr_kernarg_preload_offset 0
		.amdhsa_user_sgpr_private_segment_size 0
		.amdhsa_uses_dynamic_stack 0
		.amdhsa_enable_private_segment 1
		.amdhsa_system_sgpr_workgroup_id_x 1
		.amdhsa_system_sgpr_workgroup_id_y 1
		.amdhsa_system_sgpr_workgroup_id_z 1
		.amdhsa_system_sgpr_workgroup_info 0
		.amdhsa_system_vgpr_workitem_id 1
		.amdhsa_next_free_vgpr 70
		.amdhsa_next_free_sgpr 30
		.amdhsa_accum_offset 72
		.amdhsa_reserve_vcc 1
		.amdhsa_float_round_mode_32 0
		.amdhsa_float_round_mode_16_64 0
		.amdhsa_float_denorm_mode_32 3
		.amdhsa_float_denorm_mode_16_64 3
		.amdhsa_dx10_clamp 1
		.amdhsa_ieee_mode 1
		.amdhsa_fp16_overflow 0
		.amdhsa_tg_split 0
		.amdhsa_exception_fp_ieee_invalid_op 0
		.amdhsa_exception_fp_denorm_src 0
		.amdhsa_exception_fp_ieee_div_zero 0
		.amdhsa_exception_fp_ieee_overflow 0
		.amdhsa_exception_fp_ieee_underflow 0
		.amdhsa_exception_fp_ieee_inexact 0
		.amdhsa_exception_int_div_zero 0
	.end_amdhsa_kernel
	.section	.text._ZL13mul_mat_vec_qIL9ggml_type21ELi3ELb0ELb0EEvPKvS2_PKi31ggml_cuda_mm_fusion_args_devicePfj15HIP_vector_typeIjLj3EEjjjS8_jjjS8_jjjj,"axG",@progbits,_ZL13mul_mat_vec_qIL9ggml_type21ELi3ELb0ELb0EEvPKvS2_PKi31ggml_cuda_mm_fusion_args_devicePfj15HIP_vector_typeIjLj3EEjjjS8_jjjS8_jjjj,comdat
.Lfunc_end258:
	.size	_ZL13mul_mat_vec_qIL9ggml_type21ELi3ELb0ELb0EEvPKvS2_PKi31ggml_cuda_mm_fusion_args_devicePfj15HIP_vector_typeIjLj3EEjjjS8_jjjS8_jjjj, .Lfunc_end258-_ZL13mul_mat_vec_qIL9ggml_type21ELi3ELb0ELb0EEvPKvS2_PKi31ggml_cuda_mm_fusion_args_devicePfj15HIP_vector_typeIjLj3EEjjjS8_jjjS8_jjjj
                                        ; -- End function
	.section	.AMDGPU.csdata,"",@progbits
; Kernel info:
; codeLenInByte = 6060
; NumSgprs: 36
; NumVgprs: 70
; NumAgprs: 0
; TotalNumVgprs: 70
; ScratchSize: 32
; MemoryBound: 0
; FloatMode: 240
; IeeeMode: 1
; LDSByteSize: 1536 bytes/workgroup (compile time only)
; SGPRBlocks: 4
; VGPRBlocks: 8
; NumSGPRsForWavesPerEU: 36
; NumVGPRsForWavesPerEU: 70
; AccumOffset: 72
; Occupancy: 7
; WaveLimiterHint : 0
; COMPUTE_PGM_RSRC2:SCRATCH_EN: 1
; COMPUTE_PGM_RSRC2:USER_SGPR: 2
; COMPUTE_PGM_RSRC2:TRAP_HANDLER: 0
; COMPUTE_PGM_RSRC2:TGID_X_EN: 1
; COMPUTE_PGM_RSRC2:TGID_Y_EN: 1
; COMPUTE_PGM_RSRC2:TGID_Z_EN: 1
; COMPUTE_PGM_RSRC2:TIDIG_COMP_CNT: 1
; COMPUTE_PGM_RSRC3_GFX90A:ACCUM_OFFSET: 17
; COMPUTE_PGM_RSRC3_GFX90A:TG_SPLIT: 0
	.section	.text._ZL13mul_mat_vec_qIL9ggml_type21ELi4ELb0ELb0EEvPKvS2_PKi31ggml_cuda_mm_fusion_args_devicePfj15HIP_vector_typeIjLj3EEjjjS8_jjjS8_jjjj,"axG",@progbits,_ZL13mul_mat_vec_qIL9ggml_type21ELi4ELb0ELb0EEvPKvS2_PKi31ggml_cuda_mm_fusion_args_devicePfj15HIP_vector_typeIjLj3EEjjjS8_jjjS8_jjjj,comdat
	.globl	_ZL13mul_mat_vec_qIL9ggml_type21ELi4ELb0ELb0EEvPKvS2_PKi31ggml_cuda_mm_fusion_args_devicePfj15HIP_vector_typeIjLj3EEjjjS8_jjjS8_jjjj ; -- Begin function _ZL13mul_mat_vec_qIL9ggml_type21ELi4ELb0ELb0EEvPKvS2_PKi31ggml_cuda_mm_fusion_args_devicePfj15HIP_vector_typeIjLj3EEjjjS8_jjjS8_jjjj
	.p2align	8
	.type	_ZL13mul_mat_vec_qIL9ggml_type21ELi4ELb0ELb0EEvPKvS2_PKi31ggml_cuda_mm_fusion_args_devicePfj15HIP_vector_typeIjLj3EEjjjS8_jjjS8_jjjj,@function
_ZL13mul_mat_vec_qIL9ggml_type21ELi4ELb0ELb0EEvPKvS2_PKi31ggml_cuda_mm_fusion_args_devicePfj15HIP_vector_typeIjLj3EEjjjS8_jjjS8_jjjj: ; @_ZL13mul_mat_vec_qIL9ggml_type21ELi4ELb0ELb0EEvPKvS2_PKi31ggml_cuda_mm_fusion_args_devicePfj15HIP_vector_typeIjLj3EEjjjS8_jjjS8_jjjj
; %bb.0:
	s_mov_b32 s20, 0
	v_bfe_u32 v23, v0, 10, 10
	v_and_b32_e32 v16, 0x3ff, v0
	s_mov_b32 s21, s20
	v_lshl_add_u32 v4, v23, 6, v16
	s_mov_b32 s22, s20
	s_mov_b32 s23, s20
	v_mov_b64_e32 v[0:1], s[20:21]
	s_load_dword s6, s[0:1], 0x40
	s_load_dwordx4 s[8:11], s[0:1], 0x50
	s_load_dword s27, s[0:1], 0x60
	s_load_dwordx4 s[12:15], s[0:1], 0x68
	;; [unrolled: 2-line block ×3, first 2 shown]
	s_lshl_b32 s5, s2, 1
	s_waitcnt lgkmcnt(0)
	s_lshr_b32 s2, s6, 8
	v_mov_b64_e32 v[2:3], s[22:23]
	v_lshrrev_b32_e32 v38, 3, v4
	scratch_store_dwordx4 off, v[0:3], off offset:16
	scratch_store_dwordx4 off, v[0:3], off
	v_cmp_gt_u32_e32 vcc, s2, v38
	v_mov_b32_e32 v7, 0
	v_mov_b32_e32 v0, 0
	;; [unrolled: 1-line block ×8, first 2 shown]
	s_and_saveexec_b64 s[6:7], vcc
	s_cbranch_execz .LBB259_4
; %bb.1:
	s_load_dwordx4 s[20:23], s[0:1], 0x0
	s_mul_i32 s17, s4, s17
	s_mul_i32 s24, s17, 36
	;; [unrolled: 1-line block ×3, first 2 shown]
	s_mul_hi_u32 s19, s17, 36
	s_waitcnt lgkmcnt(0)
	s_add_u32 s24, s22, s24
	s_addc_u32 s19, s23, s19
	s_mul_i32 s28, s13, 36
	s_mul_hi_u32 s29, s13, 36
	s_add_u32 s24, s24, s28
	s_mul_hi_u32 s11, s11, s3
	s_addc_u32 s25, s19, s29
	s_add_i32 s11, s3, s11
	s_lshr_b32 s11, s11, s27
	s_mul_i32 s11, s11, s12
	s_mul_hi_u32 s12, s15, s4
	s_add_i32 s12, s4, s12
	s_lshr_b32 s12, s12, s26
	s_mul_i32 s12, s12, s16
	s_mul_i32 s13, s5, s8
	s_add_i32 s15, s12, s11
	s_add_i32 s12, s5, 1
	v_lshlrev_b32_e32 v4, 3, v38
	s_add_i32 s11, s15, s13
	s_mul_i32 s8, s8, s12
	v_mad_u64_u32 v[24:25], s[12:13], s9, 3, v[4:5]
	s_add_i32 s15, s15, s8
	v_add_u32_e32 v39, s9, v4
	v_lshl_add_u32 v25, s9, 1, v4
	s_movk_i32 s8, 0x120
	v_mov_b64_e32 v[4:5], s[28:29]
	v_lshlrev_b32_e32 v1, 1, v16
	v_mad_u64_u32 v[4:5], s[8:9], v38, s8, v[4:5]
	v_and_b32_e32 v0, 14, v1
	v_and_b32_e32 v18, 7, v16
	v_mad_u64_u32 v[4:5], s[8:9], s17, 36, v[4:5]
	v_lshlrev_b32_e32 v2, 1, v0
	v_mad_u64_u32 v[4:5], s[8:9], v18, 36, v[4:5]
	v_mov_b32_e32 v19, 0
	v_and_b32_e32 v22, 4, v2
	v_lshl_add_u64 v[4:5], v[4:5], 0, s[22:23]
	v_bfe_u32 v20, v1, 2, 2
	v_mov_b32_e32 v21, v19
	v_mov_b32_e32 v17, v22
	v_lshl_add_u64 v[26:27], v[4:5], 0, 32
	s_mov_b64 s[8:9], 0
	s_movk_i32 s19, 0x6e
	v_mov_b64_e32 v[28:29], s[20:21]
	v_lshlrev_b32_e32 v30, 1, v2
	v_lshlrev_b32_e32 v32, 1, v0
	s_movk_i32 s20, 0x100
	s_movk_i32 s21, 0xff00
	s_mov_b64 s[12:13], 0x1200
	v_mov_b32_e32 v31, v19
	v_mov_b32_e32 v33, v19
	;; [unrolled: 1-line block ×13, first 2 shown]
.LBB259_2:                              ; =>This Inner Loop Header: Depth=1
	v_add_u32_e32 v34, s11, v38
	v_mad_i64_i32 v[36:37], s[16:17], v34, s19, v[28:29]
	v_lshl_add_u64 v[34:35], v[36:37], 0, v[30:31]
	v_lshl_add_u64 v[44:45], v[36:37], 0, v[18:19]
	global_load_dword v57, v[26:27], off
	global_load_dwordx4 v[8:11], v[26:27], off offset:-16
	global_load_dwordx4 v[12:15], v[26:27], off offset:-32
	global_load_ubyte v49, v[44:45], off offset:66
	v_lshl_add_u64 v[44:45], v[36:37], 0, v[32:33]
	global_load_dwordx2 v[34:35], v[34:35], off offset:2
	s_getpc_b64 s[16:17]
	s_add_u32 s16, s16, _ZL9iq3s_grid@rel32@lo+4
	s_addc_u32 s17, s17, _ZL9iq3s_grid@rel32@hi+12
	global_load_dword v50, v[44:45], off offset:74
	v_lshl_add_u64 v[26:27], v[26:27], 0, s[12:13]
	s_waitcnt vmcnt(3)
	v_cvt_f32_f16_e32 v12, v12
	s_waitcnt vmcnt(2)
	v_lshlrev_b32_e32 v44, 8, v49
	v_lshlrev_b32_e32 v45, 7, v49
	s_waitcnt vmcnt(1)
	v_and_b32_e32 v43, 0xff, v34
	v_and_or_b32 v43, v44, s20, v43
	v_lshlrev_b32_e32 v43, 2, v43
	global_load_dword v43, v43, s[16:17]
	v_lshrrev_b16_e32 v44, 8, v34
	v_and_or_b32 v44, v45, s20, v44
	v_lshlrev_b32_e32 v44, 2, v44
	global_load_dword v44, v44, s[16:17]
	s_waitcnt vmcnt(2)
	v_bfe_u32 v48, v50, 3, 1
	v_lshlrev_b32_sdwa v45, v40, v50 dst_sel:DWORD dst_unused:UNUSED_PAD src0_sel:DWORD src1_sel:BYTE_0
	v_bfe_u32 v47, v50, 1, 7
	v_cmp_ne_u16_e32 vcc, 0, v48
	v_and_b32_e32 v46, 1, v50
	v_bfe_i32 v47, v47, 0, 1
	v_lshrrev_b16_e32 v45, 7, v45
	v_cndmask_b32_e64 v48, 0, -1, vcc
	v_sub_u16_e32 v46, 0, v46
	v_bfe_i32 v45, v45, 0, 1
	v_lshlrev_b16_e32 v47, 8, v47
	v_lshlrev_b16_e32 v48, 8, v48
	v_or_b32_sdwa v53, v46, v47 dst_sel:DWORD dst_unused:UNUSED_PAD src0_sel:BYTE_0 src1_sel:DWORD
	v_or_b32_sdwa v54, v45, v48 dst_sel:WORD_1 dst_unused:UNUSED_PAD src0_sel:BYTE_0 src1_sel:DWORD
	v_bfe_u32 v58, v50, 7, 1
	v_or_b32_sdwa v53, v53, v54 dst_sel:DWORD dst_unused:UNUSED_PAD src0_sel:WORD_0 src1_sel:DWORD
	v_lshlrev_b32_sdwa v54, v41, v50 dst_sel:DWORD dst_unused:UNUSED_PAD src0_sel:DWORD src1_sel:BYTE_0
	v_bfe_u32 v56, v50, 5, 3
	v_cmp_ne_u16_e32 vcc, 0, v58
	v_bfe_i32 v56, v56, 0, 1
	v_lshrrev_b16_e32 v54, 7, v54
	v_cndmask_b32_e64 v58, 0, -1, vcc
	v_lshlrev_b16_e32 v46, 8, v46
	v_bfe_i32 v55, v50, 4, 1
	v_bfe_i32 v54, v54, 0, 1
	v_lshlrev_b16_e32 v56, 8, v56
	v_lshlrev_b16_e32 v58, 8, v58
	v_or_b32_sdwa v59, v55, v56 dst_sel:DWORD dst_unused:UNUSED_PAD src0_sel:BYTE_0 src1_sel:DWORD
	v_or_b32_sdwa v60, v54, v58 dst_sel:WORD_1 dst_unused:UNUSED_PAD src0_sel:BYTE_0 src1_sel:DWORD
	v_lshlrev_b16_e32 v45, 8, v45
	v_or_b32_sdwa v59, v59, v60 dst_sel:DWORD dst_unused:UNUSED_PAD src0_sel:WORD_0 src1_sel:DWORD
	v_lshrrev_b32_e32 v51, 16, v50
	v_lshrrev_b32_e32 v52, 24, v50
	s_waitcnt vmcnt(1)
	v_xor_b32_e32 v43, v43, v53
	v_and_b32_e32 v53, 0xffffff00, v43
	v_sub_i16 v47, v53, v47 clamp
	v_lshlrev_b16_e32 v53, 8, v43
	v_and_b32_e32 v47, 0xffffff00, v47
	v_sub_i16 v46, v53, v46 clamp
	v_or_b32_sdwa v46, v46, v47 dst_sel:DWORD dst_unused:UNUSED_PAD src0_sel:BYTE_1 src1_sel:DWORD
	v_and_b32_sdwa v47, v43, s21 dst_sel:DWORD dst_unused:UNUSED_PAD src0_sel:WORD_1 src1_sel:DWORD
	v_sub_i16 v47, v47, v48 clamp
	v_lshlrev_b16_sdwa v43, v42, v43 dst_sel:DWORD dst_unused:UNUSED_PAD src0_sel:DWORD src1_sel:WORD_1
	v_and_b32_e32 v47, 0xffffff00, v47
	v_sub_i16 v43, v43, v45 clamp
	s_waitcnt vmcnt(0)
	v_xor_b32_e32 v44, v44, v59
	v_or_b32_sdwa v43, v43, v47 dst_sel:WORD_1 dst_unused:UNUSED_PAD src0_sel:BYTE_1 src1_sel:DWORD
	v_and_b32_e32 v45, 0xffffff00, v44
	v_or_b32_sdwa v43, v46, v43 dst_sel:DWORD dst_unused:UNUSED_PAD src0_sel:WORD_0 src1_sel:DWORD
	v_sub_i16 v45, v45, v56 clamp
	v_lshlrev_b16_e32 v46, 8, v44
	v_lshlrev_b16_e32 v47, 8, v55
	v_and_b32_e32 v45, 0xffffff00, v45
	v_sub_i16 v46, v46, v47 clamp
	v_or_b32_sdwa v45, v46, v45 dst_sel:DWORD dst_unused:UNUSED_PAD src0_sel:BYTE_1 src1_sel:DWORD
	v_and_b32_sdwa v46, v44, s21 dst_sel:DWORD dst_unused:UNUSED_PAD src0_sel:WORD_1 src1_sel:DWORD
	v_sub_i16 v46, v46, v58 clamp
	v_lshlrev_b16_sdwa v44, v42, v44 dst_sel:DWORD dst_unused:UNUSED_PAD src0_sel:DWORD src1_sel:WORD_1
	v_lshlrev_b16_e32 v47, 8, v54
	v_and_b32_e32 v46, 0xffffff00, v46
	v_sub_i16 v44, v44, v47 clamp
	v_or_b32_sdwa v44, v44, v46 dst_sel:WORD_1 dst_unused:UNUSED_PAD src0_sel:BYTE_1 src1_sel:DWORD
	v_lshlrev_b32_e32 v46, 6, v49
	v_or_b32_sdwa v44, v45, v44 dst_sel:DWORD dst_unused:UNUSED_PAD src0_sel:WORD_0 src1_sel:DWORD
	v_bfe_u32 v45, v34, 16, 8
	v_and_or_b32 v45, v46, s20, v45
	v_lshlrev_b32_e32 v45, 2, v45
	global_load_dword v45, v45, s[16:17]
	v_lshrrev_b32_e32 v34, 24, v34
	v_lshlrev_b32_e32 v46, 5, v49
	v_and_or_b32 v34, v46, s20, v34
	v_lshlrev_b32_e32 v34, 2, v34
	global_load_dword v34, v34, s[16:17]
	v_lshrrev_b16_e32 v46, 8, v50
	v_bfe_u32 v54, v46, 3, 1
	v_lshlrev_b32_e32 v47, 5, v46
	v_lshrrev_b32_e32 v53, 1, v46
	v_cmp_ne_u16_e32 vcc, 0, v54
	v_lshlrev_b16_e32 v48, 7, v50
	v_bfe_i32 v53, v53, 0, 1
	v_lshrrev_b16_e32 v47, 7, v47
	v_cndmask_b32_e64 v54, 0, -1, vcc
	v_ashrrev_i16_e32 v48, 15, v48
	v_bfe_i32 v47, v47, 0, 1
	v_lshlrev_b16_e32 v53, 8, v53
	v_lshlrev_b16_e32 v54, 8, v54
	v_or_b32_sdwa v56, v48, v53 dst_sel:DWORD dst_unused:UNUSED_PAD src0_sel:BYTE_0 src1_sel:DWORD
	v_or_b32_sdwa v58, v47, v54 dst_sel:WORD_1 dst_unused:UNUSED_PAD src0_sel:BYTE_0 src1_sel:DWORD
	v_bfe_i32 v59, v46, 4, 1
	v_or_b32_sdwa v56, v56, v58 dst_sel:DWORD dst_unused:UNUSED_PAD src0_sel:WORD_0 src1_sel:DWORD
	v_lshlrev_b32_e32 v58, 1, v46
	v_lshrrev_b32_e32 v60, 5, v46
	v_lshrrev_b32_e32 v46, 7, v46
	v_cmp_ne_u16_e32 vcc, 0, v46
	v_bfe_i32 v60, v60, 0, 1
	v_lshrrev_b16_e32 v58, 7, v58
	v_cndmask_b32_e64 v46, 0, -1, vcc
	v_lshlrev_b16_e32 v48, 8, v48
	v_bfe_i32 v58, v58, 0, 1
	v_lshlrev_b16_e32 v60, 8, v60
	v_lshlrev_b16_e32 v46, 8, v46
	v_or_b32_sdwa v61, v59, v60 dst_sel:DWORD dst_unused:UNUSED_PAD src0_sel:BYTE_0 src1_sel:DWORD
	v_or_b32_sdwa v62, v58, v46 dst_sel:WORD_1 dst_unused:UNUSED_PAD src0_sel:BYTE_0 src1_sel:DWORD
	v_lshlrev_b16_e32 v47, 8, v47
	v_or_b32_sdwa v61, v61, v62 dst_sel:DWORD dst_unused:UNUSED_PAD src0_sel:WORD_0 src1_sel:DWORD
	v_bfe_u32 v62, v51, 7, 1
	v_mov_b32_e32 v55, 0
	v_dot4c_i32_i8_e32 v55, v43, v13
	v_dot4c_i32_i8_e32 v55, v44, v14
	s_waitcnt vmcnt(1)
	v_xor_b32_e32 v45, v45, v56
	v_and_b32_e32 v56, 0xffffff00, v45
	v_sub_i16 v53, v56, v53 clamp
	v_lshlrev_b16_e32 v56, 8, v45
	v_and_b32_e32 v53, 0xffffff00, v53
	v_sub_i16 v48, v56, v48 clamp
	v_or_b32_sdwa v48, v48, v53 dst_sel:DWORD dst_unused:UNUSED_PAD src0_sel:BYTE_1 src1_sel:DWORD
	v_and_b32_sdwa v53, v45, s21 dst_sel:DWORD dst_unused:UNUSED_PAD src0_sel:WORD_1 src1_sel:DWORD
	v_sub_i16 v53, v53, v54 clamp
	v_lshlrev_b16_sdwa v45, v42, v45 dst_sel:DWORD dst_unused:UNUSED_PAD src0_sel:DWORD src1_sel:WORD_1
	v_and_b32_e32 v53, 0xffffff00, v53
	v_sub_i16 v45, v45, v47 clamp
	s_waitcnt vmcnt(0)
	v_xor_b32_e32 v34, v34, v61
	v_or_b32_sdwa v45, v45, v53 dst_sel:WORD_1 dst_unused:UNUSED_PAD src0_sel:BYTE_1 src1_sel:DWORD
	v_and_b32_e32 v47, 0xffffff00, v34
	v_or_b32_sdwa v45, v48, v45 dst_sel:DWORD dst_unused:UNUSED_PAD src0_sel:WORD_0 src1_sel:DWORD
	v_sub_i16 v47, v47, v60 clamp
	v_lshlrev_b16_e32 v48, 8, v34
	v_lshlrev_b16_e32 v53, 8, v59
	v_and_b32_e32 v47, 0xffffff00, v47
	v_sub_i16 v48, v48, v53 clamp
	v_or_b32_sdwa v47, v48, v47 dst_sel:DWORD dst_unused:UNUSED_PAD src0_sel:BYTE_1 src1_sel:DWORD
	v_and_b32_sdwa v48, v34, s21 dst_sel:DWORD dst_unused:UNUSED_PAD src0_sel:WORD_1 src1_sel:DWORD
	v_sub_i16 v46, v48, v46 clamp
	v_lshlrev_b16_sdwa v34, v42, v34 dst_sel:DWORD dst_unused:UNUSED_PAD src0_sel:DWORD src1_sel:WORD_1
	v_lshlrev_b16_e32 v48, 8, v58
	v_and_b32_e32 v46, 0xffffff00, v46
	v_sub_i16 v34, v34, v48 clamp
	v_or_b32_sdwa v34, v34, v46 dst_sel:WORD_1 dst_unused:UNUSED_PAD src0_sel:BYTE_1 src1_sel:DWORD
	v_lshlrev_b32_e32 v48, 3, v49
	v_or_b32_sdwa v46, v47, v34 dst_sel:DWORD dst_unused:UNUSED_PAD src0_sel:WORD_0 src1_sel:DWORD
	v_and_b32_e32 v34, 0xff, v35
	v_lshlrev_b32_e32 v47, 4, v49
	v_and_or_b32 v34, v47, s20, v34
	v_lshlrev_b32_e32 v34, 2, v34
	global_load_dword v34, v34, s[16:17]
	v_lshrrev_b16_e32 v47, 8, v35
	v_and_or_b32 v47, v48, s20, v47
	v_lshlrev_b32_e32 v47, 2, v47
	global_load_dword v48, v47, s[16:17]
	v_bfe_u32 v56, v50, 19, 1
	v_lshlrev_b32_sdwa v47, v40, v50 dst_sel:DWORD dst_unused:UNUSED_PAD src0_sel:DWORD src1_sel:BYTE_2
	v_bfe_u32 v54, v51, 1, 7
	v_cmp_ne_u16_e32 vcc, 0, v56
	v_and_b32_e32 v53, 1, v51
	v_bfe_i32 v54, v54, 0, 1
	v_lshrrev_b16_e32 v47, 7, v47
	v_cndmask_b32_e64 v56, 0, -1, vcc
	v_sub_u16_e32 v53, 0, v53
	v_bfe_i32 v47, v47, 0, 1
	v_lshlrev_b16_e32 v54, 8, v54
	v_lshlrev_b16_e32 v56, 8, v56
	v_or_b32_sdwa v58, v53, v54 dst_sel:DWORD dst_unused:UNUSED_PAD src0_sel:BYTE_0 src1_sel:DWORD
	v_or_b32_sdwa v59, v47, v56 dst_sel:WORD_1 dst_unused:UNUSED_PAD src0_sel:BYTE_0 src1_sel:DWORD
	v_lshlrev_b16_e32 v53, 8, v53
	v_or_b32_sdwa v58, v58, v59 dst_sel:DWORD dst_unused:UNUSED_PAD src0_sel:WORD_0 src1_sel:DWORD
	v_lshlrev_b32_sdwa v59, v41, v50 dst_sel:DWORD dst_unused:UNUSED_PAD src0_sel:DWORD src1_sel:BYTE_2
	v_bfe_u32 v61, v51, 5, 3
	v_cmp_ne_u16_e32 vcc, 0, v62
	v_bfe_i32 v61, v61, 0, 1
	v_lshrrev_b16_e32 v59, 7, v59
	v_cndmask_b32_e64 v62, 0, -1, vcc
	v_bfe_i32 v60, v50, 20, 1
	v_bfe_i32 v59, v59, 0, 1
	v_lshlrev_b16_e32 v61, 8, v61
	v_lshlrev_b16_e32 v62, 8, v62
	;; [unrolled: 1-line block ×3, first 2 shown]
	v_or_b32_sdwa v63, v60, v61 dst_sel:DWORD dst_unused:UNUSED_PAD src0_sel:BYTE_0 src1_sel:DWORD
	v_or_b32_sdwa v64, v59, v62 dst_sel:WORD_1 dst_unused:UNUSED_PAD src0_sel:BYTE_0 src1_sel:DWORD
	v_lshlrev_b16_e32 v51, 7, v51
	v_or_b32_sdwa v63, v63, v64 dst_sel:DWORD dst_unused:UNUSED_PAD src0_sel:WORD_0 src1_sel:DWORD
	v_ashrrev_i16_e32 v51, 15, v51
	v_dot4c_i32_i8_e32 v55, v45, v15
	v_dot4c_i32_i8_e32 v55, v46, v8
	s_waitcnt vmcnt(1)
	v_xor_b32_e32 v34, v34, v58
	v_and_b32_e32 v58, 0xffffff00, v34
	v_sub_i16 v54, v58, v54 clamp
	v_lshlrev_b16_e32 v58, 8, v34
	v_and_b32_e32 v54, 0xffffff00, v54
	v_sub_i16 v53, v58, v53 clamp
	v_or_b32_sdwa v53, v53, v54 dst_sel:DWORD dst_unused:UNUSED_PAD src0_sel:BYTE_1 src1_sel:DWORD
	v_and_b32_sdwa v54, v34, s21 dst_sel:DWORD dst_unused:UNUSED_PAD src0_sel:WORD_1 src1_sel:DWORD
	v_sub_i16 v54, v54, v56 clamp
	v_lshlrev_b16_sdwa v34, v42, v34 dst_sel:DWORD dst_unused:UNUSED_PAD src0_sel:DWORD src1_sel:WORD_1
	v_and_b32_e32 v54, 0xffffff00, v54
	v_sub_i16 v34, v34, v47 clamp
	v_or_b32_sdwa v34, v34, v54 dst_sel:WORD_1 dst_unused:UNUSED_PAD src0_sel:BYTE_1 src1_sel:DWORD
	v_lshlrev_b16_e32 v54, 8, v60
	v_or_b32_sdwa v47, v53, v34 dst_sel:DWORD dst_unused:UNUSED_PAD src0_sel:WORD_0 src1_sel:DWORD
	s_waitcnt vmcnt(0)
	v_xor_b32_e32 v34, v48, v63
	v_and_b32_e32 v48, 0xffffff00, v34
	v_sub_i16 v48, v48, v61 clamp
	v_lshlrev_b16_e32 v53, 8, v34
	v_and_b32_e32 v48, 0xffffff00, v48
	v_sub_i16 v53, v53, v54 clamp
	v_or_b32_sdwa v48, v53, v48 dst_sel:DWORD dst_unused:UNUSED_PAD src0_sel:BYTE_1 src1_sel:DWORD
	v_and_b32_sdwa v53, v34, s21 dst_sel:DWORD dst_unused:UNUSED_PAD src0_sel:WORD_1 src1_sel:DWORD
	v_sub_i16 v53, v53, v62 clamp
	v_lshlrev_b16_sdwa v34, v42, v34 dst_sel:DWORD dst_unused:UNUSED_PAD src0_sel:DWORD src1_sel:WORD_1
	v_lshlrev_b16_e32 v54, 8, v59
	v_and_b32_e32 v53, 0xffffff00, v53
	v_sub_i16 v34, v34, v54 clamp
	v_or_b32_sdwa v34, v34, v53 dst_sel:WORD_1 dst_unused:UNUSED_PAD src0_sel:BYTE_1 src1_sel:DWORD
	v_lshlrev_b32_e32 v53, 2, v49
	v_or_b32_sdwa v48, v48, v34 dst_sel:DWORD dst_unused:UNUSED_PAD src0_sel:WORD_0 src1_sel:DWORD
	v_bfe_u32 v34, v35, 16, 8
	v_and_or_b32 v34, v53, s20, v34
	v_lshlrev_b32_e32 v34, 2, v34
	global_load_dword v34, v34, s[16:17]
	v_lshrrev_b32_e32 v35, 24, v35
	v_lshlrev_b32_e32 v49, 1, v49
	v_and_or_b32 v35, v49, s20, v35
	v_lshlrev_b32_e32 v35, 2, v35
	global_load_dword v35, v35, s[16:17]
	v_bfe_u32 v54, v50, 27, 1
	v_lshlrev_b32_e32 v49, 5, v52
	v_lshrrev_b32_e32 v53, 25, v50
	v_cmp_ne_u16_e32 vcc, 0, v54
	v_bfe_i32 v53, v53, 0, 1
	v_lshrrev_b16_e32 v49, 7, v49
	v_cndmask_b32_e64 v54, 0, -1, vcc
	v_bfe_i32 v49, v49, 0, 1
	v_lshlrev_b16_e32 v53, 8, v53
	v_lshlrev_b16_e32 v54, 8, v54
	v_or_b32_sdwa v56, v51, v53 dst_sel:DWORD dst_unused:UNUSED_PAD src0_sel:BYTE_0 src1_sel:DWORD
	v_or_b32_sdwa v58, v49, v54 dst_sel:WORD_1 dst_unused:UNUSED_PAD src0_sel:BYTE_0 src1_sel:DWORD
	v_lshrrev_b32_e32 v59, 29, v50
	v_or_b32_sdwa v56, v56, v58 dst_sel:DWORD dst_unused:UNUSED_PAD src0_sel:WORD_0 src1_sel:DWORD
	v_lshrrev_b32_e32 v50, 31, v50
	v_lshlrev_b16_e32 v51, 8, v51
	v_lshlrev_b32_e32 v58, 1, v52
	v_cmp_ne_u16_e32 vcc, 0, v50
	v_bfe_i32 v59, v59, 0, 1
	v_lshrrev_b16_e32 v58, 7, v58
	v_cndmask_b32_e64 v50, 0, -1, vcc
	v_bfe_i32 v52, v52, 4, 1
	v_bfe_i32 v58, v58, 0, 1
	v_lshlrev_b16_e32 v59, 8, v59
	v_lshlrev_b16_e32 v50, 8, v50
	;; [unrolled: 1-line block ×3, first 2 shown]
	v_or_b32_sdwa v60, v52, v59 dst_sel:DWORD dst_unused:UNUSED_PAD src0_sel:BYTE_0 src1_sel:DWORD
	v_or_b32_sdwa v61, v58, v50 dst_sel:WORD_1 dst_unused:UNUSED_PAD src0_sel:BYTE_0 src1_sel:DWORD
	v_lshlrev_b16_e32 v52, 8, v52
	v_or_b32_sdwa v60, v60, v61 dst_sel:DWORD dst_unused:UNUSED_PAD src0_sel:WORD_0 src1_sel:DWORD
	v_dot4c_i32_i8_e32 v55, v47, v9
	v_dot4c_i32_i8_e32 v55, v48, v10
	s_waitcnt vmcnt(1)
	v_xor_b32_e32 v34, v34, v56
	v_and_b32_e32 v56, 0xffffff00, v34
	v_sub_i16 v53, v56, v53 clamp
	v_lshlrev_b16_e32 v56, 8, v34
	v_and_b32_e32 v53, 0xffffff00, v53
	v_sub_i16 v51, v56, v51 clamp
	v_or_b32_sdwa v51, v51, v53 dst_sel:DWORD dst_unused:UNUSED_PAD src0_sel:BYTE_1 src1_sel:DWORD
	v_and_b32_sdwa v53, v34, s21 dst_sel:DWORD dst_unused:UNUSED_PAD src0_sel:WORD_1 src1_sel:DWORD
	v_sub_i16 v53, v53, v54 clamp
	v_lshlrev_b16_sdwa v34, v42, v34 dst_sel:DWORD dst_unused:UNUSED_PAD src0_sel:DWORD src1_sel:WORD_1
	v_and_b32_e32 v53, 0xffffff00, v53
	v_sub_i16 v34, v34, v49 clamp
	v_or_b32_sdwa v34, v34, v53 dst_sel:WORD_1 dst_unused:UNUSED_PAD src0_sel:BYTE_1 src1_sel:DWORD
	global_load_ushort v56, v[36:37], off
	v_or_b32_sdwa v49, v51, v34 dst_sel:DWORD dst_unused:UNUSED_PAD src0_sel:WORD_0 src1_sel:DWORD
	s_waitcnt vmcnt(1)
	v_xor_b32_e32 v34, v35, v60
	v_and_b32_e32 v35, 0xffffff00, v34
	v_sub_i16 v35, v35, v59 clamp
	v_lshlrev_b16_e32 v51, 8, v34
	v_and_b32_e32 v35, 0xffffff00, v35
	v_sub_i16 v51, v51, v52 clamp
	v_or_b32_sdwa v35, v51, v35 dst_sel:DWORD dst_unused:UNUSED_PAD src0_sel:BYTE_1 src1_sel:DWORD
	v_and_b32_sdwa v51, v34, s21 dst_sel:DWORD dst_unused:UNUSED_PAD src0_sel:WORD_1 src1_sel:DWORD
	v_sub_i16 v50, v51, v50 clamp
	v_lshlrev_b16_sdwa v34, v42, v34 dst_sel:DWORD dst_unused:UNUSED_PAD src0_sel:DWORD src1_sel:WORD_1
	v_lshlrev_b16_e32 v51, 8, v58
	v_and_b32_e32 v50, 0xffffff00, v50
	v_sub_i16 v34, v34, v51 clamp
	v_or_b32_sdwa v34, v34, v50 dst_sel:WORD_1 dst_unused:UNUSED_PAD src0_sel:BYTE_1 src1_sel:DWORD
	v_dot4c_i32_i8_e32 v55, v49, v11
	v_or_b32_sdwa v50, v35, v34 dst_sel:DWORD dst_unused:UNUSED_PAD src0_sel:WORD_0 src1_sel:DWORD
	v_lshl_add_u64 v[34:35], v[36:37], 0, v[20:21]
	v_add_u32_e32 v36, s15, v38
	v_mad_i64_i32 v[36:37], s[22:23], v36, s19, v[28:29]
	v_lshl_add_u64 v[52:53], v[36:37], 0, v[30:31]
	global_load_dwordx2 v[60:61], v[52:53], off offset:2
	v_lshl_add_u64 v[52:53], v[36:37], 0, v[18:19]
	global_load_ubyte v54, v[52:53], off offset:66
	v_lshl_add_u64 v[52:53], v[36:37], 0, v[32:33]
	global_load_dword v59, v[52:53], off offset:74
	v_dot4c_i32_i8_e32 v55, v50, v57
	v_add_u32_e32 v38, 16, v38
	s_waitcnt vmcnt(2)
	v_and_b32_e32 v51, 0xff, v60
	s_waitcnt vmcnt(1)
	v_lshlrev_b32_e32 v52, 8, v54
	v_and_or_b32 v51, v52, s20, v51
	v_lshlrev_b32_e32 v51, 2, v51
	global_load_dword v51, v51, s[16:17]
	v_lshrrev_b16_e32 v52, 8, v60
	v_lshlrev_b32_e32 v53, 7, v54
	v_and_or_b32 v52, v53, s20, v52
	v_lshlrev_b32_e32 v52, 2, v52
	global_load_dword v52, v52, s[16:17]
	s_waitcnt vmcnt(2)
	v_bfe_u32 v65, v59, 3, 1
	v_lshlrev_b32_sdwa v53, v40, v59 dst_sel:DWORD dst_unused:UNUSED_PAD src0_sel:DWORD src1_sel:BYTE_0
	v_bfe_u32 v64, v59, 1, 7
	v_cmp_ne_u16_e32 vcc, 0, v65
	v_and_b32_e32 v58, 1, v59
	v_bfe_i32 v64, v64, 0, 1
	v_lshrrev_b16_e32 v53, 7, v53
	v_cndmask_b32_e64 v65, 0, -1, vcc
	v_sub_u16_e32 v58, 0, v58
	v_bfe_i32 v53, v53, 0, 1
	v_lshlrev_b16_e32 v64, 8, v64
	v_lshlrev_b16_e32 v65, 8, v65
	v_or_b32_sdwa v66, v58, v64 dst_sel:DWORD dst_unused:UNUSED_PAD src0_sel:BYTE_0 src1_sel:DWORD
	v_or_b32_sdwa v67, v53, v65 dst_sel:WORD_1 dst_unused:UNUSED_PAD src0_sel:BYTE_0 src1_sel:DWORD
	v_bfe_u32 v70, v59, 7, 1
	v_or_b32_sdwa v66, v66, v67 dst_sel:DWORD dst_unused:UNUSED_PAD src0_sel:WORD_0 src1_sel:DWORD
	v_lshlrev_b32_sdwa v67, v41, v59 dst_sel:DWORD dst_unused:UNUSED_PAD src0_sel:DWORD src1_sel:BYTE_0
	v_bfe_u32 v69, v59, 5, 3
	v_cmp_ne_u16_e32 vcc, 0, v70
	v_bfe_i32 v69, v69, 0, 1
	v_lshrrev_b16_e32 v67, 7, v67
	v_cndmask_b32_e64 v70, 0, -1, vcc
	v_lshlrev_b16_e32 v58, 8, v58
	v_bfe_i32 v68, v59, 4, 1
	v_bfe_i32 v67, v67, 0, 1
	v_lshlrev_b16_e32 v69, 8, v69
	v_lshlrev_b16_e32 v70, 8, v70
	v_or_b32_sdwa v71, v68, v69 dst_sel:DWORD dst_unused:UNUSED_PAD src0_sel:BYTE_0 src1_sel:DWORD
	v_or_b32_sdwa v72, v67, v70 dst_sel:WORD_1 dst_unused:UNUSED_PAD src0_sel:BYTE_0 src1_sel:DWORD
	v_lshlrev_b16_e32 v53, 8, v53
	v_or_b32_sdwa v71, v71, v72 dst_sel:DWORD dst_unused:UNUSED_PAD src0_sel:WORD_0 src1_sel:DWORD
	v_lshrrev_b32_e32 v62, 16, v59
	v_lshrrev_b32_e32 v63, 24, v59
	s_waitcnt vmcnt(1)
	v_xor_b32_e32 v51, v51, v66
	v_and_b32_e32 v66, 0xffffff00, v51
	v_sub_i16 v64, v66, v64 clamp
	v_lshlrev_b16_e32 v66, 8, v51
	v_and_b32_e32 v64, 0xffffff00, v64
	v_sub_i16 v58, v66, v58 clamp
	v_or_b32_sdwa v58, v58, v64 dst_sel:DWORD dst_unused:UNUSED_PAD src0_sel:BYTE_1 src1_sel:DWORD
	v_and_b32_sdwa v64, v51, s21 dst_sel:DWORD dst_unused:UNUSED_PAD src0_sel:WORD_1 src1_sel:DWORD
	v_sub_i16 v64, v64, v65 clamp
	v_lshlrev_b16_sdwa v51, v42, v51 dst_sel:DWORD dst_unused:UNUSED_PAD src0_sel:DWORD src1_sel:WORD_1
	v_and_b32_e32 v64, 0xffffff00, v64
	v_sub_i16 v51, v51, v53 clamp
	s_waitcnt vmcnt(0)
	v_xor_b32_e32 v52, v52, v71
	v_or_b32_sdwa v51, v51, v64 dst_sel:WORD_1 dst_unused:UNUSED_PAD src0_sel:BYTE_1 src1_sel:DWORD
	v_and_b32_e32 v53, 0xffffff00, v52
	v_or_b32_sdwa v51, v58, v51 dst_sel:DWORD dst_unused:UNUSED_PAD src0_sel:WORD_0 src1_sel:DWORD
	v_sub_i16 v53, v53, v69 clamp
	v_lshlrev_b16_e32 v58, 8, v52
	v_lshlrev_b16_e32 v64, 8, v68
	v_and_b32_e32 v53, 0xffffff00, v53
	v_sub_i16 v58, v58, v64 clamp
	v_or_b32_sdwa v53, v58, v53 dst_sel:DWORD dst_unused:UNUSED_PAD src0_sel:BYTE_1 src1_sel:DWORD
	v_and_b32_sdwa v58, v52, s21 dst_sel:DWORD dst_unused:UNUSED_PAD src0_sel:WORD_1 src1_sel:DWORD
	v_sub_i16 v58, v58, v70 clamp
	v_lshlrev_b16_sdwa v52, v42, v52 dst_sel:DWORD dst_unused:UNUSED_PAD src0_sel:DWORD src1_sel:WORD_1
	v_lshlrev_b16_e32 v64, 8, v67
	v_and_b32_e32 v58, 0xffffff00, v58
	v_sub_i16 v52, v52, v64 clamp
	v_or_b32_sdwa v52, v52, v58 dst_sel:WORD_1 dst_unused:UNUSED_PAD src0_sel:BYTE_1 src1_sel:DWORD
	v_mov_b32_e32 v58, 0
	v_or_b32_sdwa v52, v53, v52 dst_sel:DWORD dst_unused:UNUSED_PAD src0_sel:WORD_0 src1_sel:DWORD
	v_dot4c_i32_i8_e32 v58, v51, v13
	v_dot4c_i32_i8_e32 v58, v52, v14
	v_bfe_u32 v13, v60, 16, 8
	v_lshlrev_b32_e32 v14, 6, v54
	v_and_or_b32 v13, v14, s20, v13
	v_lshlrev_b32_e32 v13, 2, v13
	global_load_dword v13, v13, s[16:17]
	v_lshrrev_b32_e32 v14, 24, v60
	v_lshlrev_b32_e32 v53, 5, v54
	v_and_or_b32 v14, v53, s20, v14
	v_lshlrev_b32_e32 v14, 2, v14
	global_load_dword v14, v14, s[16:17]
	v_lshrrev_b16_e32 v53, 8, v59
	v_bfe_u32 v66, v53, 3, 1
	v_lshlrev_b32_e32 v60, 5, v53
	v_lshrrev_b32_e32 v65, 1, v53
	v_cmp_ne_u16_e32 vcc, 0, v66
	v_lshlrev_b16_e32 v64, 7, v59
	v_bfe_i32 v65, v65, 0, 1
	v_lshrrev_b16_e32 v60, 7, v60
	v_cndmask_b32_e64 v66, 0, -1, vcc
	v_ashrrev_i16_e32 v64, 15, v64
	v_bfe_i32 v60, v60, 0, 1
	v_lshlrev_b16_e32 v65, 8, v65
	v_lshlrev_b16_e32 v66, 8, v66
	v_or_b32_sdwa v67, v64, v65 dst_sel:DWORD dst_unused:UNUSED_PAD src0_sel:BYTE_0 src1_sel:DWORD
	v_or_b32_sdwa v68, v60, v66 dst_sel:WORD_1 dst_unused:UNUSED_PAD src0_sel:BYTE_0 src1_sel:DWORD
	v_bfe_i32 v69, v53, 4, 1
	v_or_b32_sdwa v67, v67, v68 dst_sel:DWORD dst_unused:UNUSED_PAD src0_sel:WORD_0 src1_sel:DWORD
	v_lshlrev_b32_e32 v68, 1, v53
	v_lshrrev_b32_e32 v70, 5, v53
	v_lshrrev_b32_e32 v53, 7, v53
	v_cmp_ne_u16_e32 vcc, 0, v53
	v_bfe_i32 v70, v70, 0, 1
	v_lshrrev_b16_e32 v68, 7, v68
	v_cndmask_b32_e64 v53, 0, -1, vcc
	v_lshlrev_b16_e32 v64, 8, v64
	v_bfe_i32 v68, v68, 0, 1
	v_lshlrev_b16_e32 v70, 8, v70
	v_lshlrev_b16_e32 v53, 8, v53
	v_or_b32_sdwa v71, v69, v70 dst_sel:DWORD dst_unused:UNUSED_PAD src0_sel:BYTE_0 src1_sel:DWORD
	v_or_b32_sdwa v72, v68, v53 dst_sel:WORD_1 dst_unused:UNUSED_PAD src0_sel:BYTE_0 src1_sel:DWORD
	v_lshlrev_b16_e32 v60, 8, v60
	v_or_b32_sdwa v71, v71, v72 dst_sel:DWORD dst_unused:UNUSED_PAD src0_sel:WORD_0 src1_sel:DWORD
	s_waitcnt vmcnt(1)
	v_xor_b32_e32 v13, v13, v67
	v_and_b32_e32 v67, 0xffffff00, v13
	v_sub_i16 v65, v67, v65 clamp
	v_lshlrev_b16_e32 v67, 8, v13
	v_and_b32_e32 v65, 0xffffff00, v65
	v_sub_i16 v64, v67, v64 clamp
	v_or_b32_sdwa v64, v64, v65 dst_sel:DWORD dst_unused:UNUSED_PAD src0_sel:BYTE_1 src1_sel:DWORD
	v_and_b32_sdwa v65, v13, s21 dst_sel:DWORD dst_unused:UNUSED_PAD src0_sel:WORD_1 src1_sel:DWORD
	v_sub_i16 v65, v65, v66 clamp
	v_lshlrev_b16_sdwa v13, v42, v13 dst_sel:DWORD dst_unused:UNUSED_PAD src0_sel:DWORD src1_sel:WORD_1
	v_and_b32_e32 v65, 0xffffff00, v65
	v_sub_i16 v13, v13, v60 clamp
	s_waitcnt vmcnt(0)
	v_xor_b32_e32 v14, v14, v71
	v_or_b32_sdwa v13, v13, v65 dst_sel:WORD_1 dst_unused:UNUSED_PAD src0_sel:BYTE_1 src1_sel:DWORD
	v_and_b32_e32 v60, 0xffffff00, v14
	v_or_b32_sdwa v13, v64, v13 dst_sel:DWORD dst_unused:UNUSED_PAD src0_sel:WORD_0 src1_sel:DWORD
	v_sub_i16 v60, v60, v70 clamp
	v_lshlrev_b16_e32 v64, 8, v14
	v_lshlrev_b16_e32 v65, 8, v69
	v_and_b32_e32 v60, 0xffffff00, v60
	v_sub_i16 v64, v64, v65 clamp
	v_or_b32_sdwa v60, v64, v60 dst_sel:DWORD dst_unused:UNUSED_PAD src0_sel:BYTE_1 src1_sel:DWORD
	v_and_b32_sdwa v64, v14, s21 dst_sel:DWORD dst_unused:UNUSED_PAD src0_sel:WORD_1 src1_sel:DWORD
	v_sub_i16 v53, v64, v53 clamp
	v_lshlrev_b16_sdwa v14, v42, v14 dst_sel:DWORD dst_unused:UNUSED_PAD src0_sel:DWORD src1_sel:WORD_1
	v_lshlrev_b16_e32 v64, 8, v68
	v_and_b32_e32 v53, 0xffffff00, v53
	v_sub_i16 v14, v14, v64 clamp
	v_or_b32_sdwa v14, v14, v53 dst_sel:WORD_1 dst_unused:UNUSED_PAD src0_sel:BYTE_1 src1_sel:DWORD
	v_dot4c_i32_i8_e32 v58, v13, v15
	v_or_b32_sdwa v14, v60, v14 dst_sel:DWORD dst_unused:UNUSED_PAD src0_sel:WORD_0 src1_sel:DWORD
	v_dot4c_i32_i8_e32 v58, v14, v8
	v_and_b32_e32 v8, 0xff, v61
	v_lshlrev_b32_e32 v15, 4, v54
	v_and_or_b32 v8, v15, s20, v8
	v_lshlrev_b32_e32 v8, 2, v8
	global_load_dword v8, v8, s[16:17]
	v_lshrrev_b16_e32 v15, 8, v61
	v_lshlrev_b32_e32 v53, 3, v54
	v_and_or_b32 v15, v53, s20, v15
	v_lshlrev_b32_e32 v15, 2, v15
	global_load_dword v53, v15, s[16:17]
	v_bfe_u32 v65, v59, 19, 1
	v_lshlrev_b32_sdwa v15, v40, v59 dst_sel:DWORD dst_unused:UNUSED_PAD src0_sel:DWORD src1_sel:BYTE_2
	v_bfe_u32 v64, v62, 1, 7
	v_cmp_ne_u16_e32 vcc, 0, v65
	v_and_b32_e32 v60, 1, v62
	v_bfe_i32 v64, v64, 0, 1
	v_lshrrev_b16_e32 v15, 7, v15
	v_cndmask_b32_e64 v65, 0, -1, vcc
	v_sub_u16_e32 v60, 0, v60
	v_bfe_i32 v15, v15, 0, 1
	v_lshlrev_b16_e32 v64, 8, v64
	v_lshlrev_b16_e32 v65, 8, v65
	v_or_b32_sdwa v66, v60, v64 dst_sel:DWORD dst_unused:UNUSED_PAD src0_sel:BYTE_0 src1_sel:DWORD
	v_or_b32_sdwa v67, v15, v65 dst_sel:WORD_1 dst_unused:UNUSED_PAD src0_sel:BYTE_0 src1_sel:DWORD
	v_bfe_u32 v70, v62, 7, 1
	v_or_b32_sdwa v66, v66, v67 dst_sel:DWORD dst_unused:UNUSED_PAD src0_sel:WORD_0 src1_sel:DWORD
	v_lshlrev_b16_e32 v60, 8, v60
	v_lshlrev_b32_sdwa v67, v41, v59 dst_sel:DWORD dst_unused:UNUSED_PAD src0_sel:DWORD src1_sel:BYTE_2
	v_bfe_u32 v69, v62, 5, 3
	v_cmp_ne_u16_e32 vcc, 0, v70
	v_bfe_i32 v69, v69, 0, 1
	v_lshrrev_b16_e32 v67, 7, v67
	v_cndmask_b32_e64 v70, 0, -1, vcc
	v_bfe_i32 v68, v59, 20, 1
	v_bfe_i32 v67, v67, 0, 1
	v_lshlrev_b16_e32 v69, 8, v69
	v_lshlrev_b16_e32 v70, 8, v70
	v_lshlrev_b16_e32 v15, 8, v15
	v_or_b32_sdwa v71, v68, v69 dst_sel:DWORD dst_unused:UNUSED_PAD src0_sel:BYTE_0 src1_sel:DWORD
	v_or_b32_sdwa v72, v67, v70 dst_sel:WORD_1 dst_unused:UNUSED_PAD src0_sel:BYTE_0 src1_sel:DWORD
	s_waitcnt vmcnt(1)
	v_xor_b32_e32 v8, v8, v66
	v_and_b32_e32 v66, 0xffffff00, v8
	v_sub_i16 v64, v66, v64 clamp
	v_lshlrev_b16_e32 v66, 8, v8
	v_and_b32_e32 v64, 0xffffff00, v64
	v_sub_i16 v60, v66, v60 clamp
	v_or_b32_sdwa v60, v60, v64 dst_sel:DWORD dst_unused:UNUSED_PAD src0_sel:BYTE_1 src1_sel:DWORD
	v_and_b32_sdwa v64, v8, s21 dst_sel:DWORD dst_unused:UNUSED_PAD src0_sel:WORD_1 src1_sel:DWORD
	v_sub_i16 v64, v64, v65 clamp
	v_lshlrev_b16_sdwa v8, v42, v8 dst_sel:DWORD dst_unused:UNUSED_PAD src0_sel:DWORD src1_sel:WORD_1
	v_and_b32_e32 v64, 0xffffff00, v64
	v_sub_i16 v8, v8, v15 clamp
	v_or_b32_sdwa v71, v71, v72 dst_sel:DWORD dst_unused:UNUSED_PAD src0_sel:WORD_0 src1_sel:DWORD
	v_or_b32_sdwa v8, v8, v64 dst_sel:WORD_1 dst_unused:UNUSED_PAD src0_sel:BYTE_1 src1_sel:DWORD
	v_lshlrev_b16_e32 v64, 8, v68
	v_or_b32_sdwa v15, v60, v8 dst_sel:DWORD dst_unused:UNUSED_PAD src0_sel:WORD_0 src1_sel:DWORD
	s_waitcnt vmcnt(0)
	v_xor_b32_e32 v8, v53, v71
	v_and_b32_e32 v53, 0xffffff00, v8
	v_sub_i16 v53, v53, v69 clamp
	v_lshlrev_b16_e32 v60, 8, v8
	v_and_b32_e32 v53, 0xffffff00, v53
	v_sub_i16 v60, v60, v64 clamp
	v_or_b32_sdwa v53, v60, v53 dst_sel:DWORD dst_unused:UNUSED_PAD src0_sel:BYTE_1 src1_sel:DWORD
	v_and_b32_sdwa v60, v8, s21 dst_sel:DWORD dst_unused:UNUSED_PAD src0_sel:WORD_1 src1_sel:DWORD
	v_sub_i16 v60, v60, v70 clamp
	v_lshlrev_b16_sdwa v8, v42, v8 dst_sel:DWORD dst_unused:UNUSED_PAD src0_sel:DWORD src1_sel:WORD_1
	v_lshlrev_b16_e32 v64, 8, v67
	v_and_b32_e32 v60, 0xffffff00, v60
	v_sub_i16 v8, v8, v64 clamp
	v_or_b32_sdwa v8, v8, v60 dst_sel:WORD_1 dst_unused:UNUSED_PAD src0_sel:BYTE_1 src1_sel:DWORD
	v_dot4c_i32_i8_e32 v58, v15, v9
	v_or_b32_sdwa v53, v53, v8 dst_sel:DWORD dst_unused:UNUSED_PAD src0_sel:WORD_0 src1_sel:DWORD
	v_bfe_u32 v8, v61, 16, 8
	v_lshlrev_b32_e32 v9, 2, v54
	v_and_or_b32 v8, v9, s20, v8
	v_lshlrev_b32_e32 v8, 2, v8
	global_load_dword v8, v8, s[16:17]
	v_dot4c_i32_i8_e32 v58, v53, v10
	v_lshrrev_b32_e32 v9, 24, v61
	v_lshlrev_b32_e32 v10, 1, v54
	v_and_or_b32 v9, v10, s20, v9
	v_lshlrev_b32_e32 v9, 2, v9
	global_load_dword v9, v9, s[16:17]
	v_bfe_u32 v61, v59, 27, 1
	v_lshlrev_b32_e32 v10, 5, v63
	v_lshrrev_b32_e32 v60, 25, v59
	v_cmp_ne_u16_e32 vcc, 0, v61
	v_lshlrev_b16_e32 v54, 7, v62
	v_bfe_i32 v60, v60, 0, 1
	v_lshrrev_b16_e32 v10, 7, v10
	v_cndmask_b32_e64 v61, 0, -1, vcc
	v_ashrrev_i16_e32 v54, 15, v54
	v_bfe_i32 v10, v10, 0, 1
	v_lshlrev_b16_e32 v60, 8, v60
	v_lshlrev_b16_e32 v61, 8, v61
	v_or_b32_sdwa v62, v54, v60 dst_sel:DWORD dst_unused:UNUSED_PAD src0_sel:BYTE_0 src1_sel:DWORD
	v_or_b32_sdwa v64, v10, v61 dst_sel:WORD_1 dst_unused:UNUSED_PAD src0_sel:BYTE_0 src1_sel:DWORD
	v_lshrrev_b32_e32 v65, 29, v59
	v_or_b32_sdwa v62, v62, v64 dst_sel:DWORD dst_unused:UNUSED_PAD src0_sel:WORD_0 src1_sel:DWORD
	v_lshrrev_b32_e32 v59, 31, v59
	v_lshlrev_b16_e32 v54, 8, v54
	v_lshlrev_b32_e32 v64, 1, v63
	v_cmp_ne_u16_e32 vcc, 0, v59
	v_bfe_i32 v65, v65, 0, 1
	v_lshrrev_b16_e32 v64, 7, v64
	v_cndmask_b32_e64 v59, 0, -1, vcc
	v_bfe_i32 v63, v63, 4, 1
	v_bfe_i32 v64, v64, 0, 1
	v_lshlrev_b16_e32 v65, 8, v65
	v_lshlrev_b16_e32 v59, 8, v59
	;; [unrolled: 1-line block ×3, first 2 shown]
	v_or_b32_sdwa v66, v63, v65 dst_sel:DWORD dst_unused:UNUSED_PAD src0_sel:BYTE_0 src1_sel:DWORD
	v_or_b32_sdwa v67, v64, v59 dst_sel:WORD_1 dst_unused:UNUSED_PAD src0_sel:BYTE_0 src1_sel:DWORD
	v_cmp_le_u32_e32 vcc, s2, v38
	v_or_b32_sdwa v66, v66, v67 dst_sel:DWORD dst_unused:UNUSED_PAD src0_sel:WORD_0 src1_sel:DWORD
	s_or_b64 s[8:9], vcc, s[8:9]
	s_waitcnt vmcnt(1)
	v_xor_b32_e32 v8, v8, v62
	v_and_b32_e32 v62, 0xffffff00, v8
	v_sub_i16 v60, v62, v60 clamp
	v_lshlrev_b16_e32 v62, 8, v8
	v_and_b32_e32 v60, 0xffffff00, v60
	v_sub_i16 v54, v62, v54 clamp
	v_or_b32_sdwa v54, v54, v60 dst_sel:DWORD dst_unused:UNUSED_PAD src0_sel:BYTE_1 src1_sel:DWORD
	v_and_b32_sdwa v60, v8, s21 dst_sel:DWORD dst_unused:UNUSED_PAD src0_sel:WORD_1 src1_sel:DWORD
	v_sub_i16 v60, v60, v61 clamp
	v_lshlrev_b16_sdwa v8, v42, v8 dst_sel:DWORD dst_unused:UNUSED_PAD src0_sel:DWORD src1_sel:WORD_1
	v_and_b32_e32 v60, 0xffffff00, v60
	v_sub_i16 v8, v8, v10 clamp
	v_or_b32_sdwa v8, v8, v60 dst_sel:WORD_1 dst_unused:UNUSED_PAD src0_sel:BYTE_1 src1_sel:DWORD
	v_lshlrev_b16_e32 v60, 8, v63
	v_or_b32_sdwa v10, v54, v8 dst_sel:DWORD dst_unused:UNUSED_PAD src0_sel:WORD_0 src1_sel:DWORD
	s_waitcnt vmcnt(0)
	v_xor_b32_e32 v8, v9, v66
	v_and_b32_e32 v9, 0xffffff00, v8
	v_sub_i16 v9, v9, v65 clamp
	v_lshlrev_b16_e32 v54, 8, v8
	v_and_b32_e32 v9, 0xffffff00, v9
	v_sub_i16 v54, v54, v60 clamp
	v_or_b32_sdwa v9, v54, v9 dst_sel:DWORD dst_unused:UNUSED_PAD src0_sel:BYTE_1 src1_sel:DWORD
	v_and_b32_sdwa v54, v8, s21 dst_sel:DWORD dst_unused:UNUSED_PAD src0_sel:WORD_1 src1_sel:DWORD
	v_sub_i16 v54, v54, v59 clamp
	v_lshlrev_b16_sdwa v8, v42, v8 dst_sel:DWORD dst_unused:UNUSED_PAD src0_sel:DWORD src1_sel:WORD_1
	v_lshlrev_b16_e32 v59, 8, v64
	v_and_b32_e32 v54, 0xffffff00, v54
	v_sub_i16 v8, v8, v59 clamp
	v_or_b32_sdwa v8, v8, v54 dst_sel:WORD_1 dst_unused:UNUSED_PAD src0_sel:BYTE_1 src1_sel:DWORD
	v_dot4c_i32_i8_e32 v58, v10, v11
	v_or_b32_sdwa v54, v9, v8 dst_sel:DWORD dst_unused:UNUSED_PAD src0_sel:WORD_0 src1_sel:DWORD
	v_dot4c_i32_i8_e32 v58, v54, v57
	v_lshl_add_u64 v[8:9], v[36:37], 0, v[20:21]
	global_load_ushort v57, v[36:37], off
	global_load_ubyte v11, v[34:35], off offset:106
	global_load_ubyte v59, v[8:9], off offset:106
	s_waitcnt vmcnt(1)
	v_lshrrev_b32_e32 v9, v22, v11
	s_waitcnt vmcnt(0)
	v_lshrrev_b32_e32 v8, v17, v59
	v_lshlrev_b32_e32 v9, 1, v9
	v_lshlrev_b32_e32 v8, 1, v8
	v_and_or_b32 v11, v8, 30, 1
	v_and_or_b32 v34, v9, 30, 1
	v_mul_lo_u32 v35, v55, v34
	v_mul_lo_u32 v55, v58, v11
	v_cvt_f32_f16_e32 v9, v57
	v_cvt_f32_f16_e32 v8, v56
	v_cvt_f32_i32_e32 v57, v55
	v_cvt_f32_i32_e32 v56, v35
	v_pk_mul_f32 v[36:37], v[12:13], v[8:9] op_sel_hi:[0,1]
	v_pk_fma_f32 v[0:1], v[36:37], v[56:57], v[0:1]
	v_mad_u64_u32 v[36:37], s[16:17], v39, 36, s[24:25]
	v_mad_u64_u32 v[36:37], s[16:17], v18, 36, v[36:37]
	global_load_dword v35, v[36:37], off offset:32
	global_load_dwordx4 v[56:59], v[36:37], off offset:16
	global_load_dwordx4 v[60:63], v[36:37], off
	v_mov_b32_e32 v36, 0
	v_mov_b32_e32 v37, 0
	v_add_u32_e32 v39, 0x80, v39
	s_waitcnt vmcnt(0)
	v_dot4c_i32_i8_e32 v36, v43, v61
	v_dot4c_i32_i8_e32 v37, v51, v61
	;; [unrolled: 1-line block ×16, first 2 shown]
	v_cvt_f32_f16_e32 v12, v60
	s_nop 0
	v_mul_lo_u32 v35, v36, v34
	v_mul_lo_u32 v55, v37, v11
	v_cvt_f32_i32_e32 v57, v55
	v_cvt_f32_i32_e32 v56, v35
	v_pk_mul_f32 v[36:37], v[12:13], v[8:9] op_sel_hi:[0,1]
	v_pk_fma_f32 v[2:3], v[36:37], v[56:57], v[2:3]
	v_mad_u64_u32 v[36:37], s[16:17], v25, 36, s[24:25]
	v_mad_u64_u32 v[36:37], s[16:17], v18, 36, v[36:37]
	global_load_dword v35, v[36:37], off offset:32
	global_load_dwordx4 v[56:59], v[36:37], off offset:16
	global_load_dwordx4 v[60:63], v[36:37], off
	v_mov_b32_e32 v36, 0
	v_mov_b32_e32 v37, 0
	v_add_u32_e32 v25, 0x80, v25
	s_waitcnt vmcnt(0)
	v_dot4c_i32_i8_e32 v36, v43, v61
	v_dot4c_i32_i8_e32 v37, v51, v61
	;; [unrolled: 1-line block ×16, first 2 shown]
	v_cvt_f32_f16_e32 v12, v60
	s_nop 0
	v_mul_lo_u32 v35, v36, v34
	v_mul_lo_u32 v55, v37, v11
	v_cvt_f32_i32_e32 v57, v55
	v_cvt_f32_i32_e32 v56, v35
	v_pk_mul_f32 v[36:37], v[12:13], v[8:9] op_sel_hi:[0,1]
	v_pk_fma_f32 v[4:5], v[36:37], v[56:57], v[4:5]
	v_mad_u64_u32 v[36:37], s[16:17], v24, 36, s[24:25]
	v_mad_u64_u32 v[36:37], s[16:17], v18, 36, v[36:37]
	global_load_dword v35, v[36:37], off offset:32
	global_load_dwordx4 v[56:59], v[36:37], off offset:16
	global_load_dwordx4 v[60:63], v[36:37], off
	v_mov_b32_e32 v36, 0
	v_mov_b32_e32 v37, 0
	v_add_u32_e32 v24, 0x80, v24
	s_waitcnt vmcnt(0)
	v_dot4c_i32_i8_e32 v36, v43, v61
	v_dot4c_i32_i8_e32 v37, v51, v61
	;; [unrolled: 1-line block ×16, first 2 shown]
	v_cvt_f32_f16_e32 v12, v60
	v_pk_mul_f32 v[8:9], v[12:13], v[8:9] op_sel_hi:[0,1]
	v_mul_lo_u32 v10, v36, v34
	v_mul_lo_u32 v11, v37, v11
	v_cvt_f32_i32_e32 v11, v11
	v_cvt_f32_i32_e32 v10, v10
	v_pk_fma_f32 v[6:7], v[8:9], v[10:11], v[6:7]
	s_andn2_b64 exec, exec, s[8:9]
	s_cbranch_execnz .LBB259_2
; %bb.3:
	s_or_b64 exec, exec, s[8:9]
	scratch_store_dwordx4 off, v[0:3], off
	scratch_store_dwordx4 off, v[4:7], off offset:16
.LBB259_4:
	s_or_b64 exec, exec, s[6:7]
	v_cmp_eq_u32_e32 vcc, 0, v23
	v_cmp_ne_u32_e64 s[6:7], 0, v23
	v_lshlrev_b32_e32 v8, 2, v16
	s_and_saveexec_b64 s[8:9], s[6:7]
	s_cbranch_execz .LBB259_6
; %bb.5:
	v_lshlrev_b32_e32 v9, 11, v23
	s_movk_i32 s2, 0xf800
	v_add3_u32 v9, v9, v8, s2
	ds_write2st64_b32 v9, v0, v1 offset1:1
	ds_write2st64_b32 v9, v2, v3 offset0:2 offset1:3
	ds_write2st64_b32 v9, v4, v5 offset0:4 offset1:5
	;; [unrolled: 1-line block ×3, first 2 shown]
.LBB259_6:
	s_or_b64 exec, exec, s[8:9]
	s_waitcnt lgkmcnt(0)
	s_barrier
	s_and_saveexec_b64 s[6:7], vcc
	s_cbranch_execz .LBB259_15
; %bb.7:
	scratch_load_dwordx2 v[2:3], off, off
	v_mbcnt_lo_u32_b32 v0, -1, 0
	ds_read2st64_b32 v[4:5], v8 offset1:1
	v_mbcnt_hi_u32_b32 v9, -1, v0
	v_and_b32_e32 v0, 64, v9
	v_xor_b32_e32 v1, 32, v9
	v_add_u32_e32 v12, 64, v0
	v_cmp_lt_i32_e32 vcc, v1, v12
	v_xor_b32_e32 v6, 16, v9
	v_xor_b32_e32 v10, 8, v9
	v_cndmask_b32_e32 v0, v9, v1, vcc
	v_lshlrev_b32_e32 v0, 2, v0
	v_cmp_lt_i32_e32 vcc, v6, v12
	v_xor_b32_e32 v11, 4, v9
	v_xor_b32_e32 v13, 2, v9
	v_cndmask_b32_e32 v1, v9, v6, vcc
	v_lshlrev_b32_e32 v1, 2, v1
	v_cmp_lt_i32_e32 vcc, v10, v12
	v_xor_b32_e32 v14, 1, v9
	s_load_dwordx2 s[0:1], s[0:1], 0x38
	s_mul_i32 s2, s3, s14
	s_mul_i32 s4, s4, s18
	s_add_i32 s2, s2, s5
	s_mov_b32 s3, 0
	s_add_i32 s2, s2, s4
	s_lshl_b64 s[2:3], s[2:3], 2
	s_waitcnt lgkmcnt(0)
	s_add_u32 s2, s0, s2
	s_addc_u32 s3, s1, s3
	s_waitcnt vmcnt(0)
	v_pk_add_f32 v[2:3], v[4:5], v[2:3]
	ds_bpermute_b32 v4, v0, v2
	ds_bpermute_b32 v5, v0, v3
	s_waitcnt lgkmcnt(0)
	v_pk_add_f32 v[4:5], v[2:3], v[4:5]
	ds_bpermute_b32 v6, v1, v4
	ds_bpermute_b32 v7, v1, v5
	v_cndmask_b32_e32 v2, v9, v10, vcc
	v_lshlrev_b32_e32 v2, 2, v2
	v_cmp_lt_i32_e32 vcc, v11, v12
	s_waitcnt lgkmcnt(0)
	v_pk_add_f32 v[4:5], v[4:5], v[6:7]
	ds_bpermute_b32 v6, v2, v4
	ds_bpermute_b32 v7, v2, v5
	v_cndmask_b32_e32 v3, v9, v11, vcc
	v_lshlrev_b32_e32 v3, 2, v3
	v_cmp_lt_i32_e32 vcc, v13, v12
	;; [unrolled: 7-line block ×3, first 2 shown]
	s_waitcnt lgkmcnt(0)
	v_pk_add_f32 v[6:7], v[6:7], v[10:11]
	ds_bpermute_b32 v10, v4, v6
	ds_bpermute_b32 v11, v4, v7
	v_cndmask_b32_e32 v5, v9, v14, vcc
	v_lshlrev_b32_e32 v5, 2, v5
	v_or_b32_e32 v9, s5, v16
	v_cmp_gt_u32_e32 vcc, 2, v16
	s_waitcnt lgkmcnt(0)
	v_pk_add_f32 v[6:7], v[6:7], v[10:11]
	ds_bpermute_b32 v10, v5, v6
	ds_bpermute_b32 v11, v5, v7
	v_cmp_gt_u32_e64 s[0:1], s10, v9
	s_and_b64 s[0:1], vcc, s[0:1]
	s_waitcnt lgkmcnt(0)
	v_pk_add_f32 v[6:7], v[6:7], v[10:11]
	scratch_store_dwordx2 off, v[6:7], off
	s_and_saveexec_b64 s[4:5], s[0:1]
	s_cbranch_execz .LBB259_9
; %bb.8:
	scratch_load_dword v6, v8, off
	s_waitcnt vmcnt(0)
	global_store_dword v8, v6, s[2:3]
.LBB259_9:
	s_or_b64 exec, exec, s[4:5]
	scratch_load_dwordx2 v[6:7], off, off offset:8
	ds_read2st64_b32 v[10:11], v8 offset0:2 offset1:3
	s_waitcnt vmcnt(0) lgkmcnt(0)
	v_pk_add_f32 v[6:7], v[10:11], v[6:7]
	ds_bpermute_b32 v10, v0, v6
	ds_bpermute_b32 v11, v0, v7
	s_waitcnt lgkmcnt(0)
	v_pk_add_f32 v[6:7], v[6:7], v[10:11]
	ds_bpermute_b32 v10, v1, v6
	ds_bpermute_b32 v11, v1, v7
	s_waitcnt lgkmcnt(0)
	;; [unrolled: 4-line block ×6, first 2 shown]
	v_pk_add_f32 v[6:7], v[6:7], v[10:11]
	scratch_store_dwordx2 off, v[6:7], off offset:8
	s_and_saveexec_b64 s[4:5], s[0:1]
	s_cbranch_execz .LBB259_11
; %bb.10:
	scratch_load_dword v9, v8, off offset:8
	v_add_u32_e32 v6, s10, v16
	v_mov_b32_e32 v7, 0
	v_lshl_add_u64 v[6:7], v[6:7], 2, s[2:3]
	s_waitcnt vmcnt(0)
	global_store_dword v[6:7], v9, off
.LBB259_11:
	s_or_b64 exec, exec, s[4:5]
	scratch_load_dwordx2 v[6:7], off, off offset:16
	ds_read2st64_b32 v[10:11], v8 offset0:4 offset1:5
	s_waitcnt vmcnt(0) lgkmcnt(0)
	v_pk_add_f32 v[6:7], v[10:11], v[6:7]
	ds_bpermute_b32 v10, v0, v6
	ds_bpermute_b32 v11, v0, v7
	s_waitcnt lgkmcnt(0)
	v_pk_add_f32 v[6:7], v[6:7], v[10:11]
	ds_bpermute_b32 v10, v1, v6
	ds_bpermute_b32 v11, v1, v7
	s_waitcnt lgkmcnt(0)
	;; [unrolled: 4-line block ×6, first 2 shown]
	v_pk_add_f32 v[6:7], v[6:7], v[10:11]
	scratch_store_dwordx2 off, v[6:7], off offset:16
	s_and_saveexec_b64 s[4:5], s[0:1]
	s_cbranch_execz .LBB259_13
; %bb.12:
	scratch_load_dword v9, v8, off offset:16
	v_lshl_or_b32 v6, s10, 1, v16
	v_mov_b32_e32 v7, 0
	v_lshl_add_u64 v[6:7], v[6:7], 2, s[2:3]
	s_waitcnt vmcnt(0)
	global_store_dword v[6:7], v9, off
.LBB259_13:
	s_or_b64 exec, exec, s[4:5]
	scratch_load_dwordx2 v[6:7], off, off offset:24
	ds_read2st64_b32 v[10:11], v8 offset0:6 offset1:7
	s_waitcnt vmcnt(0) lgkmcnt(0)
	v_pk_add_f32 v[6:7], v[10:11], v[6:7]
	ds_bpermute_b32 v10, v0, v6
	ds_bpermute_b32 v11, v0, v7
	s_waitcnt lgkmcnt(0)
	v_pk_add_f32 v[6:7], v[6:7], v[10:11]
	ds_bpermute_b32 v0, v1, v6
	ds_bpermute_b32 v1, v1, v7
	s_waitcnt lgkmcnt(0)
	;; [unrolled: 4-line block ×6, first 2 shown]
	v_pk_add_f32 v[0:1], v[0:1], v[2:3]
	scratch_store_dwordx2 off, v[0:1], off offset:24
	s_and_b64 exec, exec, s[0:1]
	s_cbranch_execz .LBB259_15
; %bb.14:
	scratch_load_dword v2, v8, off offset:24
	v_mad_u64_u32 v[0:1], s[0:1], s10, 3, v[16:17]
	v_mov_b32_e32 v1, 0
	v_lshl_add_u64 v[0:1], v[0:1], 2, s[2:3]
	s_waitcnt vmcnt(0)
	global_store_dword v[0:1], v2, off
.LBB259_15:
	s_endpgm
	.section	.rodata,"a",@progbits
	.p2align	6, 0x0
	.amdhsa_kernel _ZL13mul_mat_vec_qIL9ggml_type21ELi4ELb0ELb0EEvPKvS2_PKi31ggml_cuda_mm_fusion_args_devicePfj15HIP_vector_typeIjLj3EEjjjS8_jjjS8_jjjj
		.amdhsa_group_segment_fixed_size 2048
		.amdhsa_private_segment_fixed_size 48
		.amdhsa_kernarg_size 144
		.amdhsa_user_sgpr_count 2
		.amdhsa_user_sgpr_dispatch_ptr 0
		.amdhsa_user_sgpr_queue_ptr 0
		.amdhsa_user_sgpr_kernarg_segment_ptr 1
		.amdhsa_user_sgpr_dispatch_id 0
		.amdhsa_user_sgpr_kernarg_preload_length 0
		.amdhsa_user_sgpr_kernarg_preload_offset 0
		.amdhsa_user_sgpr_private_segment_size 0
		.amdhsa_uses_dynamic_stack 0
		.amdhsa_enable_private_segment 1
		.amdhsa_system_sgpr_workgroup_id_x 1
		.amdhsa_system_sgpr_workgroup_id_y 1
		.amdhsa_system_sgpr_workgroup_id_z 1
		.amdhsa_system_sgpr_workgroup_info 0
		.amdhsa_system_vgpr_workitem_id 1
		.amdhsa_next_free_vgpr 73
		.amdhsa_next_free_sgpr 30
		.amdhsa_accum_offset 76
		.amdhsa_reserve_vcc 1
		.amdhsa_float_round_mode_32 0
		.amdhsa_float_round_mode_16_64 0
		.amdhsa_float_denorm_mode_32 3
		.amdhsa_float_denorm_mode_16_64 3
		.amdhsa_dx10_clamp 1
		.amdhsa_ieee_mode 1
		.amdhsa_fp16_overflow 0
		.amdhsa_tg_split 0
		.amdhsa_exception_fp_ieee_invalid_op 0
		.amdhsa_exception_fp_denorm_src 0
		.amdhsa_exception_fp_ieee_div_zero 0
		.amdhsa_exception_fp_ieee_overflow 0
		.amdhsa_exception_fp_ieee_underflow 0
		.amdhsa_exception_fp_ieee_inexact 0
		.amdhsa_exception_int_div_zero 0
	.end_amdhsa_kernel
	.section	.text._ZL13mul_mat_vec_qIL9ggml_type21ELi4ELb0ELb0EEvPKvS2_PKi31ggml_cuda_mm_fusion_args_devicePfj15HIP_vector_typeIjLj3EEjjjS8_jjjS8_jjjj,"axG",@progbits,_ZL13mul_mat_vec_qIL9ggml_type21ELi4ELb0ELb0EEvPKvS2_PKi31ggml_cuda_mm_fusion_args_devicePfj15HIP_vector_typeIjLj3EEjjjS8_jjjS8_jjjj,comdat
.Lfunc_end259:
	.size	_ZL13mul_mat_vec_qIL9ggml_type21ELi4ELb0ELb0EEvPKvS2_PKi31ggml_cuda_mm_fusion_args_devicePfj15HIP_vector_typeIjLj3EEjjjS8_jjjS8_jjjj, .Lfunc_end259-_ZL13mul_mat_vec_qIL9ggml_type21ELi4ELb0ELb0EEvPKvS2_PKi31ggml_cuda_mm_fusion_args_devicePfj15HIP_vector_typeIjLj3EEjjjS8_jjjS8_jjjj
                                        ; -- End function
	.section	.AMDGPU.csdata,"",@progbits
; Kernel info:
; codeLenInByte = 6540
; NumSgprs: 36
; NumVgprs: 73
; NumAgprs: 0
; TotalNumVgprs: 73
; ScratchSize: 48
; MemoryBound: 0
; FloatMode: 240
; IeeeMode: 1
; LDSByteSize: 2048 bytes/workgroup (compile time only)
; SGPRBlocks: 4
; VGPRBlocks: 9
; NumSGPRsForWavesPerEU: 36
; NumVGPRsForWavesPerEU: 73
; AccumOffset: 76
; Occupancy: 6
; WaveLimiterHint : 0
; COMPUTE_PGM_RSRC2:SCRATCH_EN: 1
; COMPUTE_PGM_RSRC2:USER_SGPR: 2
; COMPUTE_PGM_RSRC2:TRAP_HANDLER: 0
; COMPUTE_PGM_RSRC2:TGID_X_EN: 1
; COMPUTE_PGM_RSRC2:TGID_Y_EN: 1
; COMPUTE_PGM_RSRC2:TGID_Z_EN: 1
; COMPUTE_PGM_RSRC2:TIDIG_COMP_CNT: 1
; COMPUTE_PGM_RSRC3_GFX90A:ACCUM_OFFSET: 18
; COMPUTE_PGM_RSRC3_GFX90A:TG_SPLIT: 0
	.section	.text._ZL13mul_mat_vec_qIL9ggml_type21ELi5ELb0ELb0EEvPKvS2_PKi31ggml_cuda_mm_fusion_args_devicePfj15HIP_vector_typeIjLj3EEjjjS8_jjjS8_jjjj,"axG",@progbits,_ZL13mul_mat_vec_qIL9ggml_type21ELi5ELb0ELb0EEvPKvS2_PKi31ggml_cuda_mm_fusion_args_devicePfj15HIP_vector_typeIjLj3EEjjjS8_jjjS8_jjjj,comdat
	.globl	_ZL13mul_mat_vec_qIL9ggml_type21ELi5ELb0ELb0EEvPKvS2_PKi31ggml_cuda_mm_fusion_args_devicePfj15HIP_vector_typeIjLj3EEjjjS8_jjjS8_jjjj ; -- Begin function _ZL13mul_mat_vec_qIL9ggml_type21ELi5ELb0ELb0EEvPKvS2_PKi31ggml_cuda_mm_fusion_args_devicePfj15HIP_vector_typeIjLj3EEjjjS8_jjjS8_jjjj
	.p2align	8
	.type	_ZL13mul_mat_vec_qIL9ggml_type21ELi5ELb0ELb0EEvPKvS2_PKi31ggml_cuda_mm_fusion_args_devicePfj15HIP_vector_typeIjLj3EEjjjS8_jjjS8_jjjj,@function
_ZL13mul_mat_vec_qIL9ggml_type21ELi5ELb0ELb0EEvPKvS2_PKi31ggml_cuda_mm_fusion_args_devicePfj15HIP_vector_typeIjLj3EEjjjS8_jjjS8_jjjj: ; @_ZL13mul_mat_vec_qIL9ggml_type21ELi5ELb0ELb0EEvPKvS2_PKi31ggml_cuda_mm_fusion_args_devicePfj15HIP_vector_typeIjLj3EEjjjS8_jjjS8_jjjj
; %bb.0:
	v_bfe_u32 v23, v0, 10, 10
	v_and_b32_e32 v16, 0x3ff, v0
	s_mov_b32 s20, 0
	s_load_dword s5, s[0:1], 0x40
	s_load_dwordx4 s[8:11], s[0:1], 0x50
	s_load_dword s27, s[0:1], 0x60
	s_load_dwordx4 s[12:15], s[0:1], 0x68
	s_load_dword s26, s[0:1], 0x78
	s_load_dwordx4 s[16:19], s[0:1], 0x80
	v_lshl_or_b32 v4, v23, 6, v16
	s_mov_b32 s21, s20
	s_waitcnt lgkmcnt(0)
	s_lshr_b32 s5, s5, 8
	v_mov_b32_e32 v19, 0
	s_mov_b32 s22, s20
	s_mov_b32 s23, s20
	v_mov_b64_e32 v[0:1], s[20:21]
	v_lshrrev_b32_e32 v38, 3, v4
	s_lshl_b32 s2, s2, 1
	v_mov_b32_e32 v18, v19
	v_mov_b64_e32 v[2:3], s[22:23]
	v_cmp_gt_u32_e32 vcc, s5, v38
	scratch_store_dwordx2 off, v[18:19], off offset:32
	scratch_store_dwordx4 off, v[0:3], off offset:16
	scratch_store_dwordx4 off, v[0:3], off
	s_and_saveexec_b64 s[6:7], vcc
	s_cbranch_execz .LBB260_4
; %bb.1:
	s_load_dwordx4 s[20:23], s[0:1], 0x0
	s_mul_i32 s17, s4, s17
	s_mul_i32 s24, s17, 36
	;; [unrolled: 1-line block ×3, first 2 shown]
	s_mul_hi_u32 s19, s17, 36
	s_waitcnt lgkmcnt(0)
	s_add_u32 s24, s22, s24
	s_addc_u32 s19, s23, s19
	s_mul_i32 s28, s13, 36
	s_mul_hi_u32 s29, s13, 36
	s_add_u32 s24, s24, s28
	s_mul_hi_u32 s11, s11, s3
	s_addc_u32 s25, s19, s29
	s_add_i32 s11, s3, s11
	s_lshr_b32 s11, s11, s27
	s_mul_i32 s11, s11, s12
	s_mul_hi_u32 s12, s15, s4
	s_add_i32 s12, s4, s12
	s_lshr_b32 s12, s12, s26
	s_mul_i32 s12, s12, s16
	s_mul_i32 s13, s2, s8
	s_add_i32 s12, s12, s11
	v_lshlrev_b32_e32 v1, 1, v16
	s_add_i32 s11, s12, s13
	s_add_i32 s13, s2, 1
	v_and_b32_e32 v0, 14, v1
	v_bfe_u32 v20, v1, 2, 2
	s_mul_i32 s8, s8, s13
	v_lshl_add_u32 v1, v23, 6, v16
	s_add_i32 s8, s12, s8
	v_lshrrev_b32_e32 v1, 3, v1
	s_movk_i32 s12, 0x120
	v_mov_b64_e32 v[4:5], s[28:29]
	v_mad_u64_u32 v[4:5], s[12:13], v1, s12, v[4:5]
	v_and_b32_e32 v18, 7, v16
	v_mad_u64_u32 v[4:5], s[12:13], s17, 36, v[4:5]
	v_lshlrev_b32_e32 v2, 1, v0
	v_mad_u64_u32 v[4:5], s[12:13], v18, 36, v[4:5]
	v_and_b32_e32 v22, 4, v2
	v_lshl_add_u64 v[4:5], v[4:5], 0, s[22:23]
	v_mov_b32_e32 v21, v19
	v_mov_b32_e32 v17, v22
	v_lshlrev_b32_e32 v39, 3, v38
	s_lshl_b32 s15, s9, 2
	s_mul_i32 s19, s9, 3
	s_lshl_b32 s26, s9, 1
	v_lshl_add_u64 v[24:25], v[4:5], 0, 16
	s_mov_b64 s[12:13], 0
	s_movk_i32 s22, 0x6e
	v_mov_b64_e32 v[26:27], s[20:21]
	v_lshlrev_b32_e32 v28, 1, v2
	v_lshlrev_b32_e32 v30, 1, v0
	s_movk_i32 s23, 0x100
	s_movk_i32 s27, 0xff00
	s_mov_b64 s[16:17], 0x900
	v_mov_b32_e32 v29, v19
	v_mov_b32_e32 v31, v19
	;; [unrolled: 1-line block ×15, first 2 shown]
.LBB260_2:                              ; =>This Inner Loop Header: Depth=1
	v_add_u32_e32 v34, s11, v38
	v_mad_i64_i32 v[36:37], s[20:21], v34, s22, v[26:27]
	v_lshl_add_u64 v[34:35], v[36:37], 0, v[28:29]
	v_lshl_add_u64 v[44:45], v[36:37], 0, v[18:19]
	global_load_dword v57, v[24:25], off offset:16
	global_load_dwordx4 v[8:11], v[24:25], off
	global_load_dwordx4 v[12:15], v[24:25], off offset:-16
	global_load_ubyte v49, v[44:45], off offset:66
	v_lshl_add_u64 v[44:45], v[36:37], 0, v[30:31]
	global_load_dwordx2 v[34:35], v[34:35], off offset:2
	s_getpc_b64 s[20:21]
	s_add_u32 s20, s20, _ZL9iq3s_grid@rel32@lo+4
	s_addc_u32 s21, s21, _ZL9iq3s_grid@rel32@hi+12
	global_load_dword v50, v[44:45], off offset:74
	v_lshl_add_u64 v[24:25], v[24:25], 0, s[16:17]
	s_waitcnt vmcnt(3)
	v_cvt_f32_f16_e32 v12, v12
	s_waitcnt vmcnt(2)
	v_lshlrev_b32_e32 v44, 8, v49
	v_lshlrev_b32_e32 v45, 7, v49
	s_waitcnt vmcnt(1)
	v_and_b32_e32 v43, 0xff, v34
	v_and_or_b32 v43, v44, s23, v43
	v_lshlrev_b32_e32 v43, 2, v43
	global_load_dword v43, v43, s[20:21]
	v_lshrrev_b16_e32 v44, 8, v34
	v_and_or_b32 v44, v45, s23, v44
	v_lshlrev_b32_e32 v44, 2, v44
	global_load_dword v44, v44, s[20:21]
	s_waitcnt vmcnt(2)
	v_bfe_u32 v48, v50, 3, 1
	v_lshlrev_b32_sdwa v45, v40, v50 dst_sel:DWORD dst_unused:UNUSED_PAD src0_sel:DWORD src1_sel:BYTE_0
	v_bfe_u32 v47, v50, 1, 7
	v_cmp_ne_u16_e32 vcc, 0, v48
	v_and_b32_e32 v46, 1, v50
	v_bfe_i32 v47, v47, 0, 1
	v_lshrrev_b16_e32 v45, 7, v45
	v_cndmask_b32_e64 v48, 0, -1, vcc
	v_sub_u16_e32 v46, 0, v46
	v_bfe_i32 v45, v45, 0, 1
	v_lshlrev_b16_e32 v47, 8, v47
	v_lshlrev_b16_e32 v48, 8, v48
	v_or_b32_sdwa v53, v46, v47 dst_sel:DWORD dst_unused:UNUSED_PAD src0_sel:BYTE_0 src1_sel:DWORD
	v_or_b32_sdwa v54, v45, v48 dst_sel:WORD_1 dst_unused:UNUSED_PAD src0_sel:BYTE_0 src1_sel:DWORD
	v_bfe_u32 v58, v50, 7, 1
	v_or_b32_sdwa v53, v53, v54 dst_sel:DWORD dst_unused:UNUSED_PAD src0_sel:WORD_0 src1_sel:DWORD
	v_lshlrev_b32_sdwa v54, v41, v50 dst_sel:DWORD dst_unused:UNUSED_PAD src0_sel:DWORD src1_sel:BYTE_0
	v_bfe_u32 v56, v50, 5, 3
	v_cmp_ne_u16_e32 vcc, 0, v58
	v_bfe_i32 v56, v56, 0, 1
	v_lshrrev_b16_e32 v54, 7, v54
	v_cndmask_b32_e64 v58, 0, -1, vcc
	v_lshlrev_b16_e32 v46, 8, v46
	v_bfe_i32 v55, v50, 4, 1
	v_bfe_i32 v54, v54, 0, 1
	v_lshlrev_b16_e32 v56, 8, v56
	v_lshlrev_b16_e32 v58, 8, v58
	v_or_b32_sdwa v59, v55, v56 dst_sel:DWORD dst_unused:UNUSED_PAD src0_sel:BYTE_0 src1_sel:DWORD
	v_or_b32_sdwa v60, v54, v58 dst_sel:WORD_1 dst_unused:UNUSED_PAD src0_sel:BYTE_0 src1_sel:DWORD
	v_lshlrev_b16_e32 v45, 8, v45
	v_or_b32_sdwa v59, v59, v60 dst_sel:DWORD dst_unused:UNUSED_PAD src0_sel:WORD_0 src1_sel:DWORD
	v_lshrrev_b32_e32 v51, 16, v50
	v_lshrrev_b32_e32 v52, 24, v50
	s_waitcnt vmcnt(1)
	v_xor_b32_e32 v43, v43, v53
	v_and_b32_e32 v53, 0xffffff00, v43
	v_sub_i16 v47, v53, v47 clamp
	v_lshlrev_b16_e32 v53, 8, v43
	v_and_b32_e32 v47, 0xffffff00, v47
	v_sub_i16 v46, v53, v46 clamp
	v_or_b32_sdwa v46, v46, v47 dst_sel:DWORD dst_unused:UNUSED_PAD src0_sel:BYTE_1 src1_sel:DWORD
	v_and_b32_sdwa v47, v43, s27 dst_sel:DWORD dst_unused:UNUSED_PAD src0_sel:WORD_1 src1_sel:DWORD
	v_sub_i16 v47, v47, v48 clamp
	v_lshlrev_b16_sdwa v43, v42, v43 dst_sel:DWORD dst_unused:UNUSED_PAD src0_sel:DWORD src1_sel:WORD_1
	v_and_b32_e32 v47, 0xffffff00, v47
	v_sub_i16 v43, v43, v45 clamp
	s_waitcnt vmcnt(0)
	v_xor_b32_e32 v44, v44, v59
	v_or_b32_sdwa v43, v43, v47 dst_sel:WORD_1 dst_unused:UNUSED_PAD src0_sel:BYTE_1 src1_sel:DWORD
	v_and_b32_e32 v45, 0xffffff00, v44
	v_or_b32_sdwa v43, v46, v43 dst_sel:DWORD dst_unused:UNUSED_PAD src0_sel:WORD_0 src1_sel:DWORD
	v_sub_i16 v45, v45, v56 clamp
	v_lshlrev_b16_e32 v46, 8, v44
	v_lshlrev_b16_e32 v47, 8, v55
	v_and_b32_e32 v45, 0xffffff00, v45
	v_sub_i16 v46, v46, v47 clamp
	v_or_b32_sdwa v45, v46, v45 dst_sel:DWORD dst_unused:UNUSED_PAD src0_sel:BYTE_1 src1_sel:DWORD
	v_and_b32_sdwa v46, v44, s27 dst_sel:DWORD dst_unused:UNUSED_PAD src0_sel:WORD_1 src1_sel:DWORD
	v_sub_i16 v46, v46, v58 clamp
	v_lshlrev_b16_sdwa v44, v42, v44 dst_sel:DWORD dst_unused:UNUSED_PAD src0_sel:DWORD src1_sel:WORD_1
	v_lshlrev_b16_e32 v47, 8, v54
	v_and_b32_e32 v46, 0xffffff00, v46
	v_sub_i16 v44, v44, v47 clamp
	v_or_b32_sdwa v44, v44, v46 dst_sel:WORD_1 dst_unused:UNUSED_PAD src0_sel:BYTE_1 src1_sel:DWORD
	v_lshlrev_b32_e32 v46, 6, v49
	v_or_b32_sdwa v44, v45, v44 dst_sel:DWORD dst_unused:UNUSED_PAD src0_sel:WORD_0 src1_sel:DWORD
	v_bfe_u32 v45, v34, 16, 8
	v_and_or_b32 v45, v46, s23, v45
	v_lshlrev_b32_e32 v45, 2, v45
	global_load_dword v45, v45, s[20:21]
	v_lshrrev_b32_e32 v34, 24, v34
	v_lshlrev_b32_e32 v46, 5, v49
	v_and_or_b32 v34, v46, s23, v34
	v_lshlrev_b32_e32 v34, 2, v34
	global_load_dword v34, v34, s[20:21]
	v_lshrrev_b16_e32 v46, 8, v50
	v_bfe_u32 v54, v46, 3, 1
	v_lshlrev_b32_e32 v47, 5, v46
	v_lshrrev_b32_e32 v53, 1, v46
	v_cmp_ne_u16_e32 vcc, 0, v54
	v_lshlrev_b16_e32 v48, 7, v50
	v_bfe_i32 v53, v53, 0, 1
	v_lshrrev_b16_e32 v47, 7, v47
	v_cndmask_b32_e64 v54, 0, -1, vcc
	v_ashrrev_i16_e32 v48, 15, v48
	v_bfe_i32 v47, v47, 0, 1
	v_lshlrev_b16_e32 v53, 8, v53
	v_lshlrev_b16_e32 v54, 8, v54
	v_or_b32_sdwa v56, v48, v53 dst_sel:DWORD dst_unused:UNUSED_PAD src0_sel:BYTE_0 src1_sel:DWORD
	v_or_b32_sdwa v58, v47, v54 dst_sel:WORD_1 dst_unused:UNUSED_PAD src0_sel:BYTE_0 src1_sel:DWORD
	v_bfe_i32 v59, v46, 4, 1
	v_or_b32_sdwa v56, v56, v58 dst_sel:DWORD dst_unused:UNUSED_PAD src0_sel:WORD_0 src1_sel:DWORD
	v_lshlrev_b32_e32 v58, 1, v46
	v_lshrrev_b32_e32 v60, 5, v46
	v_lshrrev_b32_e32 v46, 7, v46
	v_cmp_ne_u16_e32 vcc, 0, v46
	v_bfe_i32 v60, v60, 0, 1
	v_lshrrev_b16_e32 v58, 7, v58
	v_cndmask_b32_e64 v46, 0, -1, vcc
	v_lshlrev_b16_e32 v48, 8, v48
	v_bfe_i32 v58, v58, 0, 1
	v_lshlrev_b16_e32 v60, 8, v60
	v_lshlrev_b16_e32 v46, 8, v46
	v_or_b32_sdwa v61, v59, v60 dst_sel:DWORD dst_unused:UNUSED_PAD src0_sel:BYTE_0 src1_sel:DWORD
	v_or_b32_sdwa v62, v58, v46 dst_sel:WORD_1 dst_unused:UNUSED_PAD src0_sel:BYTE_0 src1_sel:DWORD
	v_lshlrev_b16_e32 v47, 8, v47
	v_or_b32_sdwa v61, v61, v62 dst_sel:DWORD dst_unused:UNUSED_PAD src0_sel:WORD_0 src1_sel:DWORD
	v_bfe_u32 v62, v51, 7, 1
	v_mov_b32_e32 v55, 0
	v_dot4c_i32_i8_e32 v55, v43, v13
	v_dot4c_i32_i8_e32 v55, v44, v14
	s_waitcnt vmcnt(1)
	v_xor_b32_e32 v45, v45, v56
	v_and_b32_e32 v56, 0xffffff00, v45
	v_sub_i16 v53, v56, v53 clamp
	v_lshlrev_b16_e32 v56, 8, v45
	v_and_b32_e32 v53, 0xffffff00, v53
	v_sub_i16 v48, v56, v48 clamp
	v_or_b32_sdwa v48, v48, v53 dst_sel:DWORD dst_unused:UNUSED_PAD src0_sel:BYTE_1 src1_sel:DWORD
	v_and_b32_sdwa v53, v45, s27 dst_sel:DWORD dst_unused:UNUSED_PAD src0_sel:WORD_1 src1_sel:DWORD
	v_sub_i16 v53, v53, v54 clamp
	v_lshlrev_b16_sdwa v45, v42, v45 dst_sel:DWORD dst_unused:UNUSED_PAD src0_sel:DWORD src1_sel:WORD_1
	v_and_b32_e32 v53, 0xffffff00, v53
	v_sub_i16 v45, v45, v47 clamp
	s_waitcnt vmcnt(0)
	v_xor_b32_e32 v34, v34, v61
	v_or_b32_sdwa v45, v45, v53 dst_sel:WORD_1 dst_unused:UNUSED_PAD src0_sel:BYTE_1 src1_sel:DWORD
	v_and_b32_e32 v47, 0xffffff00, v34
	v_or_b32_sdwa v45, v48, v45 dst_sel:DWORD dst_unused:UNUSED_PAD src0_sel:WORD_0 src1_sel:DWORD
	v_sub_i16 v47, v47, v60 clamp
	v_lshlrev_b16_e32 v48, 8, v34
	v_lshlrev_b16_e32 v53, 8, v59
	v_and_b32_e32 v47, 0xffffff00, v47
	v_sub_i16 v48, v48, v53 clamp
	v_or_b32_sdwa v47, v48, v47 dst_sel:DWORD dst_unused:UNUSED_PAD src0_sel:BYTE_1 src1_sel:DWORD
	v_and_b32_sdwa v48, v34, s27 dst_sel:DWORD dst_unused:UNUSED_PAD src0_sel:WORD_1 src1_sel:DWORD
	v_sub_i16 v46, v48, v46 clamp
	v_lshlrev_b16_sdwa v34, v42, v34 dst_sel:DWORD dst_unused:UNUSED_PAD src0_sel:DWORD src1_sel:WORD_1
	v_lshlrev_b16_e32 v48, 8, v58
	v_and_b32_e32 v46, 0xffffff00, v46
	v_sub_i16 v34, v34, v48 clamp
	v_or_b32_sdwa v34, v34, v46 dst_sel:WORD_1 dst_unused:UNUSED_PAD src0_sel:BYTE_1 src1_sel:DWORD
	v_lshlrev_b32_e32 v48, 3, v49
	v_or_b32_sdwa v46, v47, v34 dst_sel:DWORD dst_unused:UNUSED_PAD src0_sel:WORD_0 src1_sel:DWORD
	v_and_b32_e32 v34, 0xff, v35
	v_lshlrev_b32_e32 v47, 4, v49
	v_and_or_b32 v34, v47, s23, v34
	v_lshlrev_b32_e32 v34, 2, v34
	global_load_dword v34, v34, s[20:21]
	v_lshrrev_b16_e32 v47, 8, v35
	v_and_or_b32 v47, v48, s23, v47
	v_lshlrev_b32_e32 v47, 2, v47
	global_load_dword v48, v47, s[20:21]
	v_bfe_u32 v56, v50, 19, 1
	v_lshlrev_b32_sdwa v47, v40, v50 dst_sel:DWORD dst_unused:UNUSED_PAD src0_sel:DWORD src1_sel:BYTE_2
	v_bfe_u32 v54, v51, 1, 7
	v_cmp_ne_u16_e32 vcc, 0, v56
	v_and_b32_e32 v53, 1, v51
	v_bfe_i32 v54, v54, 0, 1
	v_lshrrev_b16_e32 v47, 7, v47
	v_cndmask_b32_e64 v56, 0, -1, vcc
	v_sub_u16_e32 v53, 0, v53
	v_bfe_i32 v47, v47, 0, 1
	v_lshlrev_b16_e32 v54, 8, v54
	v_lshlrev_b16_e32 v56, 8, v56
	v_or_b32_sdwa v58, v53, v54 dst_sel:DWORD dst_unused:UNUSED_PAD src0_sel:BYTE_0 src1_sel:DWORD
	v_or_b32_sdwa v59, v47, v56 dst_sel:WORD_1 dst_unused:UNUSED_PAD src0_sel:BYTE_0 src1_sel:DWORD
	v_lshlrev_b16_e32 v53, 8, v53
	v_or_b32_sdwa v58, v58, v59 dst_sel:DWORD dst_unused:UNUSED_PAD src0_sel:WORD_0 src1_sel:DWORD
	v_lshlrev_b32_sdwa v59, v41, v50 dst_sel:DWORD dst_unused:UNUSED_PAD src0_sel:DWORD src1_sel:BYTE_2
	v_bfe_u32 v61, v51, 5, 3
	v_cmp_ne_u16_e32 vcc, 0, v62
	v_bfe_i32 v61, v61, 0, 1
	v_lshrrev_b16_e32 v59, 7, v59
	v_cndmask_b32_e64 v62, 0, -1, vcc
	v_bfe_i32 v60, v50, 20, 1
	v_bfe_i32 v59, v59, 0, 1
	v_lshlrev_b16_e32 v61, 8, v61
	v_lshlrev_b16_e32 v62, 8, v62
	;; [unrolled: 1-line block ×3, first 2 shown]
	v_or_b32_sdwa v63, v60, v61 dst_sel:DWORD dst_unused:UNUSED_PAD src0_sel:BYTE_0 src1_sel:DWORD
	v_or_b32_sdwa v64, v59, v62 dst_sel:WORD_1 dst_unused:UNUSED_PAD src0_sel:BYTE_0 src1_sel:DWORD
	v_lshlrev_b16_e32 v51, 7, v51
	v_or_b32_sdwa v63, v63, v64 dst_sel:DWORD dst_unused:UNUSED_PAD src0_sel:WORD_0 src1_sel:DWORD
	v_ashrrev_i16_e32 v51, 15, v51
	v_dot4c_i32_i8_e32 v55, v45, v15
	v_dot4c_i32_i8_e32 v55, v46, v8
	s_waitcnt vmcnt(1)
	v_xor_b32_e32 v34, v34, v58
	v_and_b32_e32 v58, 0xffffff00, v34
	v_sub_i16 v54, v58, v54 clamp
	v_lshlrev_b16_e32 v58, 8, v34
	v_and_b32_e32 v54, 0xffffff00, v54
	v_sub_i16 v53, v58, v53 clamp
	v_or_b32_sdwa v53, v53, v54 dst_sel:DWORD dst_unused:UNUSED_PAD src0_sel:BYTE_1 src1_sel:DWORD
	v_and_b32_sdwa v54, v34, s27 dst_sel:DWORD dst_unused:UNUSED_PAD src0_sel:WORD_1 src1_sel:DWORD
	v_sub_i16 v54, v54, v56 clamp
	v_lshlrev_b16_sdwa v34, v42, v34 dst_sel:DWORD dst_unused:UNUSED_PAD src0_sel:DWORD src1_sel:WORD_1
	v_and_b32_e32 v54, 0xffffff00, v54
	v_sub_i16 v34, v34, v47 clamp
	v_or_b32_sdwa v34, v34, v54 dst_sel:WORD_1 dst_unused:UNUSED_PAD src0_sel:BYTE_1 src1_sel:DWORD
	v_lshlrev_b16_e32 v54, 8, v60
	v_or_b32_sdwa v47, v53, v34 dst_sel:DWORD dst_unused:UNUSED_PAD src0_sel:WORD_0 src1_sel:DWORD
	s_waitcnt vmcnt(0)
	v_xor_b32_e32 v34, v48, v63
	v_and_b32_e32 v48, 0xffffff00, v34
	v_sub_i16 v48, v48, v61 clamp
	v_lshlrev_b16_e32 v53, 8, v34
	v_and_b32_e32 v48, 0xffffff00, v48
	v_sub_i16 v53, v53, v54 clamp
	v_or_b32_sdwa v48, v53, v48 dst_sel:DWORD dst_unused:UNUSED_PAD src0_sel:BYTE_1 src1_sel:DWORD
	v_and_b32_sdwa v53, v34, s27 dst_sel:DWORD dst_unused:UNUSED_PAD src0_sel:WORD_1 src1_sel:DWORD
	v_sub_i16 v53, v53, v62 clamp
	v_lshlrev_b16_sdwa v34, v42, v34 dst_sel:DWORD dst_unused:UNUSED_PAD src0_sel:DWORD src1_sel:WORD_1
	v_lshlrev_b16_e32 v54, 8, v59
	v_and_b32_e32 v53, 0xffffff00, v53
	v_sub_i16 v34, v34, v54 clamp
	v_or_b32_sdwa v34, v34, v53 dst_sel:WORD_1 dst_unused:UNUSED_PAD src0_sel:BYTE_1 src1_sel:DWORD
	v_lshlrev_b32_e32 v53, 2, v49
	v_or_b32_sdwa v48, v48, v34 dst_sel:DWORD dst_unused:UNUSED_PAD src0_sel:WORD_0 src1_sel:DWORD
	v_bfe_u32 v34, v35, 16, 8
	v_and_or_b32 v34, v53, s23, v34
	v_lshlrev_b32_e32 v34, 2, v34
	global_load_dword v34, v34, s[20:21]
	v_lshrrev_b32_e32 v35, 24, v35
	v_lshlrev_b32_e32 v49, 1, v49
	v_and_or_b32 v35, v49, s23, v35
	v_lshlrev_b32_e32 v35, 2, v35
	global_load_dword v35, v35, s[20:21]
	v_bfe_u32 v54, v50, 27, 1
	v_lshlrev_b32_e32 v49, 5, v52
	v_lshrrev_b32_e32 v53, 25, v50
	v_cmp_ne_u16_e32 vcc, 0, v54
	v_bfe_i32 v53, v53, 0, 1
	v_lshrrev_b16_e32 v49, 7, v49
	v_cndmask_b32_e64 v54, 0, -1, vcc
	v_bfe_i32 v49, v49, 0, 1
	v_lshlrev_b16_e32 v53, 8, v53
	v_lshlrev_b16_e32 v54, 8, v54
	v_or_b32_sdwa v56, v51, v53 dst_sel:DWORD dst_unused:UNUSED_PAD src0_sel:BYTE_0 src1_sel:DWORD
	v_or_b32_sdwa v58, v49, v54 dst_sel:WORD_1 dst_unused:UNUSED_PAD src0_sel:BYTE_0 src1_sel:DWORD
	v_lshrrev_b32_e32 v59, 29, v50
	v_or_b32_sdwa v56, v56, v58 dst_sel:DWORD dst_unused:UNUSED_PAD src0_sel:WORD_0 src1_sel:DWORD
	v_lshrrev_b32_e32 v50, 31, v50
	v_lshlrev_b16_e32 v51, 8, v51
	v_lshlrev_b32_e32 v58, 1, v52
	v_cmp_ne_u16_e32 vcc, 0, v50
	v_bfe_i32 v59, v59, 0, 1
	v_lshrrev_b16_e32 v58, 7, v58
	v_cndmask_b32_e64 v50, 0, -1, vcc
	v_bfe_i32 v52, v52, 4, 1
	v_bfe_i32 v58, v58, 0, 1
	v_lshlrev_b16_e32 v59, 8, v59
	v_lshlrev_b16_e32 v50, 8, v50
	;; [unrolled: 1-line block ×3, first 2 shown]
	v_or_b32_sdwa v60, v52, v59 dst_sel:DWORD dst_unused:UNUSED_PAD src0_sel:BYTE_0 src1_sel:DWORD
	v_or_b32_sdwa v61, v58, v50 dst_sel:WORD_1 dst_unused:UNUSED_PAD src0_sel:BYTE_0 src1_sel:DWORD
	v_lshlrev_b16_e32 v52, 8, v52
	v_or_b32_sdwa v60, v60, v61 dst_sel:DWORD dst_unused:UNUSED_PAD src0_sel:WORD_0 src1_sel:DWORD
	v_dot4c_i32_i8_e32 v55, v47, v9
	v_dot4c_i32_i8_e32 v55, v48, v10
	s_waitcnt vmcnt(1)
	v_xor_b32_e32 v34, v34, v56
	v_and_b32_e32 v56, 0xffffff00, v34
	v_sub_i16 v53, v56, v53 clamp
	v_lshlrev_b16_e32 v56, 8, v34
	v_and_b32_e32 v53, 0xffffff00, v53
	v_sub_i16 v51, v56, v51 clamp
	v_or_b32_sdwa v51, v51, v53 dst_sel:DWORD dst_unused:UNUSED_PAD src0_sel:BYTE_1 src1_sel:DWORD
	v_and_b32_sdwa v53, v34, s27 dst_sel:DWORD dst_unused:UNUSED_PAD src0_sel:WORD_1 src1_sel:DWORD
	v_sub_i16 v53, v53, v54 clamp
	v_lshlrev_b16_sdwa v34, v42, v34 dst_sel:DWORD dst_unused:UNUSED_PAD src0_sel:DWORD src1_sel:WORD_1
	v_and_b32_e32 v53, 0xffffff00, v53
	v_sub_i16 v34, v34, v49 clamp
	v_or_b32_sdwa v34, v34, v53 dst_sel:WORD_1 dst_unused:UNUSED_PAD src0_sel:BYTE_1 src1_sel:DWORD
	global_load_ushort v56, v[36:37], off
	v_or_b32_sdwa v49, v51, v34 dst_sel:DWORD dst_unused:UNUSED_PAD src0_sel:WORD_0 src1_sel:DWORD
	s_waitcnt vmcnt(1)
	v_xor_b32_e32 v34, v35, v60
	v_and_b32_e32 v35, 0xffffff00, v34
	v_sub_i16 v35, v35, v59 clamp
	v_lshlrev_b16_e32 v51, 8, v34
	v_and_b32_e32 v35, 0xffffff00, v35
	v_sub_i16 v51, v51, v52 clamp
	v_or_b32_sdwa v35, v51, v35 dst_sel:DWORD dst_unused:UNUSED_PAD src0_sel:BYTE_1 src1_sel:DWORD
	v_and_b32_sdwa v51, v34, s27 dst_sel:DWORD dst_unused:UNUSED_PAD src0_sel:WORD_1 src1_sel:DWORD
	v_sub_i16 v50, v51, v50 clamp
	v_lshlrev_b16_sdwa v34, v42, v34 dst_sel:DWORD dst_unused:UNUSED_PAD src0_sel:DWORD src1_sel:WORD_1
	v_lshlrev_b16_e32 v51, 8, v58
	v_and_b32_e32 v50, 0xffffff00, v50
	v_sub_i16 v34, v34, v51 clamp
	v_or_b32_sdwa v34, v34, v50 dst_sel:WORD_1 dst_unused:UNUSED_PAD src0_sel:BYTE_1 src1_sel:DWORD
	v_dot4c_i32_i8_e32 v55, v49, v11
	v_or_b32_sdwa v50, v35, v34 dst_sel:DWORD dst_unused:UNUSED_PAD src0_sel:WORD_0 src1_sel:DWORD
	v_lshl_add_u64 v[34:35], v[36:37], 0, v[20:21]
	v_add_u32_e32 v36, s8, v38
	v_mad_i64_i32 v[36:37], s[28:29], v36, s22, v[26:27]
	v_lshl_add_u64 v[52:53], v[36:37], 0, v[28:29]
	global_load_dwordx2 v[60:61], v[52:53], off offset:2
	v_lshl_add_u64 v[52:53], v[36:37], 0, v[18:19]
	global_load_ubyte v54, v[52:53], off offset:66
	v_lshl_add_u64 v[52:53], v[36:37], 0, v[30:31]
	global_load_dword v59, v[52:53], off offset:74
	v_dot4c_i32_i8_e32 v55, v50, v57
	v_add_u32_e32 v38, 8, v38
	s_waitcnt vmcnt(2)
	v_and_b32_e32 v51, 0xff, v60
	s_waitcnt vmcnt(1)
	v_lshlrev_b32_e32 v52, 8, v54
	v_and_or_b32 v51, v52, s23, v51
	v_lshlrev_b32_e32 v51, 2, v51
	global_load_dword v51, v51, s[20:21]
	v_lshrrev_b16_e32 v52, 8, v60
	v_lshlrev_b32_e32 v53, 7, v54
	v_and_or_b32 v52, v53, s23, v52
	v_lshlrev_b32_e32 v52, 2, v52
	global_load_dword v52, v52, s[20:21]
	s_waitcnt vmcnt(2)
	v_bfe_u32 v65, v59, 3, 1
	v_lshlrev_b32_sdwa v53, v40, v59 dst_sel:DWORD dst_unused:UNUSED_PAD src0_sel:DWORD src1_sel:BYTE_0
	v_bfe_u32 v64, v59, 1, 7
	v_cmp_ne_u16_e32 vcc, 0, v65
	v_and_b32_e32 v58, 1, v59
	v_bfe_i32 v64, v64, 0, 1
	v_lshrrev_b16_e32 v53, 7, v53
	v_cndmask_b32_e64 v65, 0, -1, vcc
	v_sub_u16_e32 v58, 0, v58
	v_bfe_i32 v53, v53, 0, 1
	v_lshlrev_b16_e32 v64, 8, v64
	v_lshlrev_b16_e32 v65, 8, v65
	v_or_b32_sdwa v66, v58, v64 dst_sel:DWORD dst_unused:UNUSED_PAD src0_sel:BYTE_0 src1_sel:DWORD
	v_or_b32_sdwa v67, v53, v65 dst_sel:WORD_1 dst_unused:UNUSED_PAD src0_sel:BYTE_0 src1_sel:DWORD
	v_bfe_u32 v70, v59, 7, 1
	v_or_b32_sdwa v66, v66, v67 dst_sel:DWORD dst_unused:UNUSED_PAD src0_sel:WORD_0 src1_sel:DWORD
	v_lshlrev_b32_sdwa v67, v41, v59 dst_sel:DWORD dst_unused:UNUSED_PAD src0_sel:DWORD src1_sel:BYTE_0
	v_bfe_u32 v69, v59, 5, 3
	v_cmp_ne_u16_e32 vcc, 0, v70
	v_bfe_i32 v69, v69, 0, 1
	v_lshrrev_b16_e32 v67, 7, v67
	v_cndmask_b32_e64 v70, 0, -1, vcc
	v_lshlrev_b16_e32 v58, 8, v58
	v_bfe_i32 v68, v59, 4, 1
	v_bfe_i32 v67, v67, 0, 1
	v_lshlrev_b16_e32 v69, 8, v69
	v_lshlrev_b16_e32 v70, 8, v70
	v_or_b32_sdwa v71, v68, v69 dst_sel:DWORD dst_unused:UNUSED_PAD src0_sel:BYTE_0 src1_sel:DWORD
	v_or_b32_sdwa v72, v67, v70 dst_sel:WORD_1 dst_unused:UNUSED_PAD src0_sel:BYTE_0 src1_sel:DWORD
	v_lshlrev_b16_e32 v53, 8, v53
	v_or_b32_sdwa v71, v71, v72 dst_sel:DWORD dst_unused:UNUSED_PAD src0_sel:WORD_0 src1_sel:DWORD
	v_lshrrev_b32_e32 v62, 16, v59
	v_lshrrev_b32_e32 v63, 24, v59
	s_waitcnt vmcnt(1)
	v_xor_b32_e32 v51, v51, v66
	v_and_b32_e32 v66, 0xffffff00, v51
	v_sub_i16 v64, v66, v64 clamp
	v_lshlrev_b16_e32 v66, 8, v51
	v_and_b32_e32 v64, 0xffffff00, v64
	v_sub_i16 v58, v66, v58 clamp
	v_or_b32_sdwa v58, v58, v64 dst_sel:DWORD dst_unused:UNUSED_PAD src0_sel:BYTE_1 src1_sel:DWORD
	v_and_b32_sdwa v64, v51, s27 dst_sel:DWORD dst_unused:UNUSED_PAD src0_sel:WORD_1 src1_sel:DWORD
	v_sub_i16 v64, v64, v65 clamp
	v_lshlrev_b16_sdwa v51, v42, v51 dst_sel:DWORD dst_unused:UNUSED_PAD src0_sel:DWORD src1_sel:WORD_1
	v_and_b32_e32 v64, 0xffffff00, v64
	v_sub_i16 v51, v51, v53 clamp
	s_waitcnt vmcnt(0)
	v_xor_b32_e32 v52, v52, v71
	v_or_b32_sdwa v51, v51, v64 dst_sel:WORD_1 dst_unused:UNUSED_PAD src0_sel:BYTE_1 src1_sel:DWORD
	v_and_b32_e32 v53, 0xffffff00, v52
	v_or_b32_sdwa v51, v58, v51 dst_sel:DWORD dst_unused:UNUSED_PAD src0_sel:WORD_0 src1_sel:DWORD
	v_sub_i16 v53, v53, v69 clamp
	v_lshlrev_b16_e32 v58, 8, v52
	v_lshlrev_b16_e32 v64, 8, v68
	v_and_b32_e32 v53, 0xffffff00, v53
	v_sub_i16 v58, v58, v64 clamp
	v_or_b32_sdwa v53, v58, v53 dst_sel:DWORD dst_unused:UNUSED_PAD src0_sel:BYTE_1 src1_sel:DWORD
	v_and_b32_sdwa v58, v52, s27 dst_sel:DWORD dst_unused:UNUSED_PAD src0_sel:WORD_1 src1_sel:DWORD
	v_sub_i16 v58, v58, v70 clamp
	v_lshlrev_b16_sdwa v52, v42, v52 dst_sel:DWORD dst_unused:UNUSED_PAD src0_sel:DWORD src1_sel:WORD_1
	v_lshlrev_b16_e32 v64, 8, v67
	v_and_b32_e32 v58, 0xffffff00, v58
	v_sub_i16 v52, v52, v64 clamp
	v_or_b32_sdwa v52, v52, v58 dst_sel:WORD_1 dst_unused:UNUSED_PAD src0_sel:BYTE_1 src1_sel:DWORD
	v_mov_b32_e32 v58, 0
	v_or_b32_sdwa v52, v53, v52 dst_sel:DWORD dst_unused:UNUSED_PAD src0_sel:WORD_0 src1_sel:DWORD
	v_dot4c_i32_i8_e32 v58, v51, v13
	v_dot4c_i32_i8_e32 v58, v52, v14
	v_bfe_u32 v13, v60, 16, 8
	v_lshlrev_b32_e32 v14, 6, v54
	v_and_or_b32 v13, v14, s23, v13
	v_lshlrev_b32_e32 v13, 2, v13
	global_load_dword v13, v13, s[20:21]
	v_lshrrev_b32_e32 v14, 24, v60
	v_lshlrev_b32_e32 v53, 5, v54
	v_and_or_b32 v14, v53, s23, v14
	v_lshlrev_b32_e32 v14, 2, v14
	global_load_dword v14, v14, s[20:21]
	v_lshrrev_b16_e32 v53, 8, v59
	v_bfe_u32 v66, v53, 3, 1
	v_lshlrev_b32_e32 v60, 5, v53
	v_lshrrev_b32_e32 v65, 1, v53
	v_cmp_ne_u16_e32 vcc, 0, v66
	v_lshlrev_b16_e32 v64, 7, v59
	v_bfe_i32 v65, v65, 0, 1
	v_lshrrev_b16_e32 v60, 7, v60
	v_cndmask_b32_e64 v66, 0, -1, vcc
	v_ashrrev_i16_e32 v64, 15, v64
	v_bfe_i32 v60, v60, 0, 1
	v_lshlrev_b16_e32 v65, 8, v65
	v_lshlrev_b16_e32 v66, 8, v66
	v_or_b32_sdwa v67, v64, v65 dst_sel:DWORD dst_unused:UNUSED_PAD src0_sel:BYTE_0 src1_sel:DWORD
	v_or_b32_sdwa v68, v60, v66 dst_sel:WORD_1 dst_unused:UNUSED_PAD src0_sel:BYTE_0 src1_sel:DWORD
	v_bfe_i32 v69, v53, 4, 1
	v_or_b32_sdwa v67, v67, v68 dst_sel:DWORD dst_unused:UNUSED_PAD src0_sel:WORD_0 src1_sel:DWORD
	v_lshlrev_b32_e32 v68, 1, v53
	v_lshrrev_b32_e32 v70, 5, v53
	v_lshrrev_b32_e32 v53, 7, v53
	v_cmp_ne_u16_e32 vcc, 0, v53
	v_bfe_i32 v70, v70, 0, 1
	v_lshrrev_b16_e32 v68, 7, v68
	v_cndmask_b32_e64 v53, 0, -1, vcc
	v_lshlrev_b16_e32 v64, 8, v64
	v_bfe_i32 v68, v68, 0, 1
	v_lshlrev_b16_e32 v70, 8, v70
	v_lshlrev_b16_e32 v53, 8, v53
	v_or_b32_sdwa v71, v69, v70 dst_sel:DWORD dst_unused:UNUSED_PAD src0_sel:BYTE_0 src1_sel:DWORD
	v_or_b32_sdwa v72, v68, v53 dst_sel:WORD_1 dst_unused:UNUSED_PAD src0_sel:BYTE_0 src1_sel:DWORD
	v_lshlrev_b16_e32 v60, 8, v60
	v_or_b32_sdwa v71, v71, v72 dst_sel:DWORD dst_unused:UNUSED_PAD src0_sel:WORD_0 src1_sel:DWORD
	s_waitcnt vmcnt(1)
	v_xor_b32_e32 v13, v13, v67
	v_and_b32_e32 v67, 0xffffff00, v13
	v_sub_i16 v65, v67, v65 clamp
	v_lshlrev_b16_e32 v67, 8, v13
	v_and_b32_e32 v65, 0xffffff00, v65
	v_sub_i16 v64, v67, v64 clamp
	v_or_b32_sdwa v64, v64, v65 dst_sel:DWORD dst_unused:UNUSED_PAD src0_sel:BYTE_1 src1_sel:DWORD
	v_and_b32_sdwa v65, v13, s27 dst_sel:DWORD dst_unused:UNUSED_PAD src0_sel:WORD_1 src1_sel:DWORD
	v_sub_i16 v65, v65, v66 clamp
	v_lshlrev_b16_sdwa v13, v42, v13 dst_sel:DWORD dst_unused:UNUSED_PAD src0_sel:DWORD src1_sel:WORD_1
	v_and_b32_e32 v65, 0xffffff00, v65
	v_sub_i16 v13, v13, v60 clamp
	s_waitcnt vmcnt(0)
	v_xor_b32_e32 v14, v14, v71
	v_or_b32_sdwa v13, v13, v65 dst_sel:WORD_1 dst_unused:UNUSED_PAD src0_sel:BYTE_1 src1_sel:DWORD
	v_and_b32_e32 v60, 0xffffff00, v14
	v_or_b32_sdwa v13, v64, v13 dst_sel:DWORD dst_unused:UNUSED_PAD src0_sel:WORD_0 src1_sel:DWORD
	v_sub_i16 v60, v60, v70 clamp
	v_lshlrev_b16_e32 v64, 8, v14
	v_lshlrev_b16_e32 v65, 8, v69
	v_and_b32_e32 v60, 0xffffff00, v60
	v_sub_i16 v64, v64, v65 clamp
	v_or_b32_sdwa v60, v64, v60 dst_sel:DWORD dst_unused:UNUSED_PAD src0_sel:BYTE_1 src1_sel:DWORD
	v_and_b32_sdwa v64, v14, s27 dst_sel:DWORD dst_unused:UNUSED_PAD src0_sel:WORD_1 src1_sel:DWORD
	v_sub_i16 v53, v64, v53 clamp
	v_lshlrev_b16_sdwa v14, v42, v14 dst_sel:DWORD dst_unused:UNUSED_PAD src0_sel:DWORD src1_sel:WORD_1
	v_lshlrev_b16_e32 v64, 8, v68
	v_and_b32_e32 v53, 0xffffff00, v53
	v_sub_i16 v14, v14, v64 clamp
	v_or_b32_sdwa v14, v14, v53 dst_sel:WORD_1 dst_unused:UNUSED_PAD src0_sel:BYTE_1 src1_sel:DWORD
	v_dot4c_i32_i8_e32 v58, v13, v15
	v_or_b32_sdwa v14, v60, v14 dst_sel:DWORD dst_unused:UNUSED_PAD src0_sel:WORD_0 src1_sel:DWORD
	v_dot4c_i32_i8_e32 v58, v14, v8
	v_and_b32_e32 v8, 0xff, v61
	v_lshlrev_b32_e32 v15, 4, v54
	v_and_or_b32 v8, v15, s23, v8
	v_lshlrev_b32_e32 v8, 2, v8
	global_load_dword v8, v8, s[20:21]
	v_lshrrev_b16_e32 v15, 8, v61
	v_lshlrev_b32_e32 v53, 3, v54
	v_and_or_b32 v15, v53, s23, v15
	v_lshlrev_b32_e32 v15, 2, v15
	global_load_dword v53, v15, s[20:21]
	v_bfe_u32 v65, v59, 19, 1
	v_lshlrev_b32_sdwa v15, v40, v59 dst_sel:DWORD dst_unused:UNUSED_PAD src0_sel:DWORD src1_sel:BYTE_2
	v_bfe_u32 v64, v62, 1, 7
	v_cmp_ne_u16_e32 vcc, 0, v65
	v_and_b32_e32 v60, 1, v62
	v_bfe_i32 v64, v64, 0, 1
	v_lshrrev_b16_e32 v15, 7, v15
	v_cndmask_b32_e64 v65, 0, -1, vcc
	v_sub_u16_e32 v60, 0, v60
	v_bfe_i32 v15, v15, 0, 1
	v_lshlrev_b16_e32 v64, 8, v64
	v_lshlrev_b16_e32 v65, 8, v65
	v_or_b32_sdwa v66, v60, v64 dst_sel:DWORD dst_unused:UNUSED_PAD src0_sel:BYTE_0 src1_sel:DWORD
	v_or_b32_sdwa v67, v15, v65 dst_sel:WORD_1 dst_unused:UNUSED_PAD src0_sel:BYTE_0 src1_sel:DWORD
	v_bfe_u32 v70, v62, 7, 1
	v_or_b32_sdwa v66, v66, v67 dst_sel:DWORD dst_unused:UNUSED_PAD src0_sel:WORD_0 src1_sel:DWORD
	v_lshlrev_b16_e32 v60, 8, v60
	v_lshlrev_b32_sdwa v67, v41, v59 dst_sel:DWORD dst_unused:UNUSED_PAD src0_sel:DWORD src1_sel:BYTE_2
	v_bfe_u32 v69, v62, 5, 3
	v_cmp_ne_u16_e32 vcc, 0, v70
	v_bfe_i32 v69, v69, 0, 1
	v_lshrrev_b16_e32 v67, 7, v67
	v_cndmask_b32_e64 v70, 0, -1, vcc
	v_bfe_i32 v68, v59, 20, 1
	v_bfe_i32 v67, v67, 0, 1
	v_lshlrev_b16_e32 v69, 8, v69
	v_lshlrev_b16_e32 v70, 8, v70
	;; [unrolled: 1-line block ×3, first 2 shown]
	v_or_b32_sdwa v71, v68, v69 dst_sel:DWORD dst_unused:UNUSED_PAD src0_sel:BYTE_0 src1_sel:DWORD
	v_or_b32_sdwa v72, v67, v70 dst_sel:WORD_1 dst_unused:UNUSED_PAD src0_sel:BYTE_0 src1_sel:DWORD
	s_waitcnt vmcnt(1)
	v_xor_b32_e32 v8, v8, v66
	v_and_b32_e32 v66, 0xffffff00, v8
	v_sub_i16 v64, v66, v64 clamp
	v_lshlrev_b16_e32 v66, 8, v8
	v_and_b32_e32 v64, 0xffffff00, v64
	v_sub_i16 v60, v66, v60 clamp
	v_or_b32_sdwa v60, v60, v64 dst_sel:DWORD dst_unused:UNUSED_PAD src0_sel:BYTE_1 src1_sel:DWORD
	v_and_b32_sdwa v64, v8, s27 dst_sel:DWORD dst_unused:UNUSED_PAD src0_sel:WORD_1 src1_sel:DWORD
	v_sub_i16 v64, v64, v65 clamp
	v_lshlrev_b16_sdwa v8, v42, v8 dst_sel:DWORD dst_unused:UNUSED_PAD src0_sel:DWORD src1_sel:WORD_1
	v_and_b32_e32 v64, 0xffffff00, v64
	v_sub_i16 v8, v8, v15 clamp
	v_or_b32_sdwa v71, v71, v72 dst_sel:DWORD dst_unused:UNUSED_PAD src0_sel:WORD_0 src1_sel:DWORD
	v_or_b32_sdwa v8, v8, v64 dst_sel:WORD_1 dst_unused:UNUSED_PAD src0_sel:BYTE_1 src1_sel:DWORD
	v_lshlrev_b16_e32 v64, 8, v68
	v_or_b32_sdwa v15, v60, v8 dst_sel:DWORD dst_unused:UNUSED_PAD src0_sel:WORD_0 src1_sel:DWORD
	s_waitcnt vmcnt(0)
	v_xor_b32_e32 v8, v53, v71
	v_and_b32_e32 v53, 0xffffff00, v8
	v_sub_i16 v53, v53, v69 clamp
	v_lshlrev_b16_e32 v60, 8, v8
	v_and_b32_e32 v53, 0xffffff00, v53
	v_sub_i16 v60, v60, v64 clamp
	v_or_b32_sdwa v53, v60, v53 dst_sel:DWORD dst_unused:UNUSED_PAD src0_sel:BYTE_1 src1_sel:DWORD
	v_and_b32_sdwa v60, v8, s27 dst_sel:DWORD dst_unused:UNUSED_PAD src0_sel:WORD_1 src1_sel:DWORD
	v_sub_i16 v60, v60, v70 clamp
	v_lshlrev_b16_sdwa v8, v42, v8 dst_sel:DWORD dst_unused:UNUSED_PAD src0_sel:DWORD src1_sel:WORD_1
	v_lshlrev_b16_e32 v64, 8, v67
	v_and_b32_e32 v60, 0xffffff00, v60
	v_sub_i16 v8, v8, v64 clamp
	v_or_b32_sdwa v8, v8, v60 dst_sel:WORD_1 dst_unused:UNUSED_PAD src0_sel:BYTE_1 src1_sel:DWORD
	v_dot4c_i32_i8_e32 v58, v15, v9
	v_or_b32_sdwa v53, v53, v8 dst_sel:DWORD dst_unused:UNUSED_PAD src0_sel:WORD_0 src1_sel:DWORD
	v_bfe_u32 v8, v61, 16, 8
	v_lshlrev_b32_e32 v9, 2, v54
	v_and_or_b32 v8, v9, s23, v8
	v_lshlrev_b32_e32 v8, 2, v8
	global_load_dword v8, v8, s[20:21]
	v_dot4c_i32_i8_e32 v58, v53, v10
	v_lshrrev_b32_e32 v9, 24, v61
	v_lshlrev_b32_e32 v10, 1, v54
	v_and_or_b32 v9, v10, s23, v9
	v_lshlrev_b32_e32 v9, 2, v9
	global_load_dword v9, v9, s[20:21]
	v_bfe_u32 v61, v59, 27, 1
	v_lshlrev_b32_e32 v10, 5, v63
	v_lshrrev_b32_e32 v60, 25, v59
	v_cmp_ne_u16_e32 vcc, 0, v61
	v_lshlrev_b16_e32 v54, 7, v62
	v_bfe_i32 v60, v60, 0, 1
	v_lshrrev_b16_e32 v10, 7, v10
	v_cndmask_b32_e64 v61, 0, -1, vcc
	v_ashrrev_i16_e32 v54, 15, v54
	v_bfe_i32 v10, v10, 0, 1
	v_lshlrev_b16_e32 v60, 8, v60
	v_lshlrev_b16_e32 v61, 8, v61
	v_or_b32_sdwa v62, v54, v60 dst_sel:DWORD dst_unused:UNUSED_PAD src0_sel:BYTE_0 src1_sel:DWORD
	v_or_b32_sdwa v64, v10, v61 dst_sel:WORD_1 dst_unused:UNUSED_PAD src0_sel:BYTE_0 src1_sel:DWORD
	v_lshrrev_b32_e32 v65, 29, v59
	v_or_b32_sdwa v62, v62, v64 dst_sel:DWORD dst_unused:UNUSED_PAD src0_sel:WORD_0 src1_sel:DWORD
	v_lshrrev_b32_e32 v59, 31, v59
	v_lshlrev_b16_e32 v54, 8, v54
	v_lshlrev_b32_e32 v64, 1, v63
	v_cmp_ne_u16_e32 vcc, 0, v59
	v_bfe_i32 v65, v65, 0, 1
	v_lshrrev_b16_e32 v64, 7, v64
	v_cndmask_b32_e64 v59, 0, -1, vcc
	v_bfe_i32 v63, v63, 4, 1
	v_bfe_i32 v64, v64, 0, 1
	v_lshlrev_b16_e32 v65, 8, v65
	v_lshlrev_b16_e32 v59, 8, v59
	;; [unrolled: 1-line block ×3, first 2 shown]
	v_or_b32_sdwa v66, v63, v65 dst_sel:DWORD dst_unused:UNUSED_PAD src0_sel:BYTE_0 src1_sel:DWORD
	v_or_b32_sdwa v67, v64, v59 dst_sel:WORD_1 dst_unused:UNUSED_PAD src0_sel:BYTE_0 src1_sel:DWORD
	v_cmp_le_u32_e32 vcc, s5, v38
	v_or_b32_sdwa v66, v66, v67 dst_sel:DWORD dst_unused:UNUSED_PAD src0_sel:WORD_0 src1_sel:DWORD
	s_or_b64 s[12:13], vcc, s[12:13]
	s_waitcnt vmcnt(1)
	v_xor_b32_e32 v8, v8, v62
	v_and_b32_e32 v62, 0xffffff00, v8
	v_sub_i16 v60, v62, v60 clamp
	v_lshlrev_b16_e32 v62, 8, v8
	v_and_b32_e32 v60, 0xffffff00, v60
	v_sub_i16 v54, v62, v54 clamp
	v_or_b32_sdwa v54, v54, v60 dst_sel:DWORD dst_unused:UNUSED_PAD src0_sel:BYTE_1 src1_sel:DWORD
	v_and_b32_sdwa v60, v8, s27 dst_sel:DWORD dst_unused:UNUSED_PAD src0_sel:WORD_1 src1_sel:DWORD
	v_sub_i16 v60, v60, v61 clamp
	v_lshlrev_b16_sdwa v8, v42, v8 dst_sel:DWORD dst_unused:UNUSED_PAD src0_sel:DWORD src1_sel:WORD_1
	v_and_b32_e32 v60, 0xffffff00, v60
	v_sub_i16 v8, v8, v10 clamp
	v_or_b32_sdwa v8, v8, v60 dst_sel:WORD_1 dst_unused:UNUSED_PAD src0_sel:BYTE_1 src1_sel:DWORD
	v_lshlrev_b16_e32 v60, 8, v63
	v_or_b32_sdwa v10, v54, v8 dst_sel:DWORD dst_unused:UNUSED_PAD src0_sel:WORD_0 src1_sel:DWORD
	s_waitcnt vmcnt(0)
	v_xor_b32_e32 v8, v9, v66
	v_and_b32_e32 v9, 0xffffff00, v8
	v_sub_i16 v9, v9, v65 clamp
	v_lshlrev_b16_e32 v54, 8, v8
	v_and_b32_e32 v9, 0xffffff00, v9
	v_sub_i16 v54, v54, v60 clamp
	v_or_b32_sdwa v9, v54, v9 dst_sel:DWORD dst_unused:UNUSED_PAD src0_sel:BYTE_1 src1_sel:DWORD
	v_and_b32_sdwa v54, v8, s27 dst_sel:DWORD dst_unused:UNUSED_PAD src0_sel:WORD_1 src1_sel:DWORD
	v_sub_i16 v54, v54, v59 clamp
	v_lshlrev_b16_sdwa v8, v42, v8 dst_sel:DWORD dst_unused:UNUSED_PAD src0_sel:DWORD src1_sel:WORD_1
	v_lshlrev_b16_e32 v59, 8, v64
	v_and_b32_e32 v54, 0xffffff00, v54
	v_sub_i16 v8, v8, v59 clamp
	v_or_b32_sdwa v8, v8, v54 dst_sel:WORD_1 dst_unused:UNUSED_PAD src0_sel:BYTE_1 src1_sel:DWORD
	v_dot4c_i32_i8_e32 v58, v10, v11
	v_or_b32_sdwa v54, v9, v8 dst_sel:DWORD dst_unused:UNUSED_PAD src0_sel:WORD_0 src1_sel:DWORD
	v_dot4c_i32_i8_e32 v58, v54, v57
	v_lshl_add_u64 v[8:9], v[36:37], 0, v[20:21]
	global_load_ushort v57, v[36:37], off
	global_load_ubyte v11, v[34:35], off offset:106
	global_load_ubyte v59, v[8:9], off offset:106
	s_waitcnt vmcnt(1)
	v_lshrrev_b32_e32 v9, v22, v11
	s_waitcnt vmcnt(0)
	v_lshrrev_b32_e32 v8, v17, v59
	v_lshlrev_b32_e32 v9, 1, v9
	v_lshlrev_b32_e32 v8, 1, v8
	v_and_or_b32 v11, v8, 30, 1
	v_and_or_b32 v34, v9, 30, 1
	v_mul_lo_u32 v35, v55, v34
	v_mul_lo_u32 v55, v58, v11
	v_cvt_f32_f16_e32 v9, v57
	v_cvt_f32_f16_e32 v8, v56
	v_cvt_f32_i32_e32 v57, v55
	v_cvt_f32_i32_e32 v56, v35
	v_pk_mul_f32 v[36:37], v[12:13], v[8:9] op_sel_hi:[0,1]
	v_add_u32_e32 v12, s9, v39
	v_pk_fma_f32 v[4:5], v[36:37], v[56:57], v[4:5]
	v_mad_u64_u32 v[36:37], s[20:21], v12, 36, s[24:25]
	v_mad_u64_u32 v[36:37], s[20:21], v18, 36, v[36:37]
	global_load_dword v35, v[36:37], off offset:32
	global_load_dwordx4 v[56:59], v[36:37], off offset:16
	global_load_dwordx4 v[60:63], v[36:37], off
	v_mov_b32_e32 v36, 0
	v_mov_b32_e32 v37, 0
	s_waitcnt vmcnt(0)
	v_dot4c_i32_i8_e32 v36, v43, v61
	v_dot4c_i32_i8_e32 v37, v51, v61
	v_dot4c_i32_i8_e32 v36, v44, v62
	v_dot4c_i32_i8_e32 v37, v52, v62
	v_dot4c_i32_i8_e32 v36, v45, v63
	v_dot4c_i32_i8_e32 v37, v13, v63
	v_dot4c_i32_i8_e32 v36, v46, v56
	v_dot4c_i32_i8_e32 v37, v14, v56
	v_dot4c_i32_i8_e32 v36, v47, v57
	v_dot4c_i32_i8_e32 v37, v15, v57
	v_dot4c_i32_i8_e32 v36, v48, v58
	v_dot4c_i32_i8_e32 v37, v53, v58
	v_dot4c_i32_i8_e32 v36, v49, v59
	v_dot4c_i32_i8_e32 v37, v10, v59
	v_dot4c_i32_i8_e32 v36, v50, v35
	v_dot4c_i32_i8_e32 v37, v54, v35
	v_cvt_f32_f16_e32 v12, v60
	s_nop 0
	v_mul_lo_u32 v35, v36, v34
	v_mul_lo_u32 v55, v37, v11
	v_cvt_f32_i32_e32 v57, v55
	v_cvt_f32_i32_e32 v56, v35
	v_pk_mul_f32 v[36:37], v[12:13], v[8:9] op_sel_hi:[0,1]
	v_add_u32_e32 v12, s26, v39
	v_pk_fma_f32 v[6:7], v[36:37], v[56:57], v[6:7]
	v_mad_u64_u32 v[36:37], s[20:21], v12, 36, s[24:25]
	v_mad_u64_u32 v[36:37], s[20:21], v18, 36, v[36:37]
	global_load_dword v35, v[36:37], off offset:32
	global_load_dwordx4 v[56:59], v[36:37], off offset:16
	global_load_dwordx4 v[60:63], v[36:37], off
	v_mov_b32_e32 v36, 0
	v_mov_b32_e32 v37, 0
	s_waitcnt vmcnt(0)
	v_dot4c_i32_i8_e32 v36, v43, v61
	v_dot4c_i32_i8_e32 v37, v51, v61
	v_dot4c_i32_i8_e32 v36, v44, v62
	v_dot4c_i32_i8_e32 v37, v52, v62
	v_dot4c_i32_i8_e32 v36, v45, v63
	v_dot4c_i32_i8_e32 v37, v13, v63
	v_dot4c_i32_i8_e32 v36, v46, v56
	v_dot4c_i32_i8_e32 v37, v14, v56
	v_dot4c_i32_i8_e32 v36, v47, v57
	v_dot4c_i32_i8_e32 v37, v15, v57
	v_dot4c_i32_i8_e32 v36, v48, v58
	v_dot4c_i32_i8_e32 v37, v53, v58
	v_dot4c_i32_i8_e32 v36, v49, v59
	v_dot4c_i32_i8_e32 v37, v10, v59
	v_dot4c_i32_i8_e32 v36, v50, v35
	v_dot4c_i32_i8_e32 v37, v54, v35
	v_cvt_f32_f16_e32 v12, v60
	s_nop 0
	v_mul_lo_u32 v35, v36, v34
	v_mul_lo_u32 v55, v37, v11
	;; [unrolled: 33-line block ×3, first 2 shown]
	v_cvt_f32_i32_e32 v57, v55
	v_cvt_f32_i32_e32 v56, v35
	v_pk_mul_f32 v[36:37], v[12:13], v[8:9] op_sel_hi:[0,1]
	v_add_u32_e32 v12, s15, v39
	v_add_u32_e32 v39, 64, v39
	v_pk_fma_f32 v[2:3], v[36:37], v[56:57], v[2:3]
	v_mad_u64_u32 v[36:37], s[20:21], v12, 36, s[24:25]
	v_mad_u64_u32 v[36:37], s[20:21], v18, 36, v[36:37]
	global_load_dword v35, v[36:37], off offset:32
	global_load_dwordx4 v[56:59], v[36:37], off offset:16
	global_load_dwordx4 v[60:63], v[36:37], off
	v_mov_b32_e32 v36, 0
	v_mov_b32_e32 v37, 0
	s_waitcnt vmcnt(0)
	v_dot4c_i32_i8_e32 v36, v43, v61
	v_dot4c_i32_i8_e32 v37, v51, v61
	;; [unrolled: 1-line block ×16, first 2 shown]
	v_cvt_f32_f16_e32 v12, v60
	v_pk_mul_f32 v[8:9], v[12:13], v[8:9] op_sel_hi:[0,1]
	v_mul_lo_u32 v10, v36, v34
	v_mul_lo_u32 v11, v37, v11
	v_cvt_f32_i32_e32 v11, v11
	v_cvt_f32_i32_e32 v10, v10
	v_pk_fma_f32 v[32:33], v[8:9], v[10:11], v[32:33]
	s_andn2_b64 exec, exec, s[12:13]
	s_cbranch_execnz .LBB260_2
; %bb.3:
	s_or_b64 exec, exec, s[12:13]
	scratch_store_dwordx4 off, v[4:7], off
	scratch_store_dwordx4 off, v[0:3], off offset:16
	scratch_store_dwordx2 off, v[32:33], off offset:32
.LBB260_4:
	s_or_b64 exec, exec, s[6:7]
	s_mov_b32 s5, 0
	v_cmp_eq_u32_e32 vcc, 0, v23
	s_waitcnt lgkmcnt(0)
	; wave barrier
	s_and_saveexec_b64 s[6:7], vcc
	s_cbranch_execz .LBB260_15
; %bb.5:
	scratch_load_dwordx2 v[2:3], off, off
	v_mbcnt_lo_u32_b32 v0, -1, 0
	v_mbcnt_hi_u32_b32 v12, -1, v0
	s_load_dwordx2 s[6:7], s[0:1], 0x38
	s_mul_i32 s0, s3, s14
	v_or_b32_e32 v1, s2, v16
	v_and_b32_e32 v0, 64, v12
	s_mul_i32 s4, s4, s18
	s_add_i32 s2, s0, s2
	v_cmp_gt_u32_e64 s[0:1], s10, v1
	v_xor_b32_e32 v1, 32, v12
	v_add_u32_e32 v13, 64, v0
	s_add_i32 s4, s2, s4
	v_cmp_lt_i32_e64 s[2:3], v1, v13
	v_cmp_gt_u32_e32 vcc, 2, v16
	s_nop 0
	v_cndmask_b32_e64 v0, v12, v1, s[2:3]
	v_lshlrev_b32_e32 v0, 2, v0
	v_xor_b32_e32 v1, 16, v12
	v_cmp_lt_i32_e64 s[2:3], v1, v13
	s_waitcnt vmcnt(0)
	ds_bpermute_b32 v4, v0, v2
	ds_bpermute_b32 v5, v0, v3
	v_cndmask_b32_e64 v1, v12, v1, s[2:3]
	v_lshlrev_b32_e32 v1, 2, v1
	s_waitcnt lgkmcnt(0)
	v_pk_add_f32 v[4:5], v[2:3], v[4:5]
	ds_bpermute_b32 v6, v1, v4
	ds_bpermute_b32 v7, v1, v5
	v_xor_b32_e32 v2, 8, v12
	v_cmp_lt_i32_e64 s[2:3], v2, v13
	v_xor_b32_e32 v3, 4, v12
	s_waitcnt lgkmcnt(0)
	v_pk_add_f32 v[4:5], v[4:5], v[6:7]
	v_cndmask_b32_e64 v2, v12, v2, s[2:3]
	v_lshlrev_b32_e32 v2, 2, v2
	ds_bpermute_b32 v6, v2, v4
	ds_bpermute_b32 v7, v2, v5
	v_cmp_lt_i32_e64 s[2:3], v3, v13
	s_waitcnt lgkmcnt(0)
	v_pk_add_f32 v[6:7], v[4:5], v[6:7]
	v_cndmask_b32_e64 v3, v12, v3, s[2:3]
	v_lshlrev_b32_e32 v3, 2, v3
	ds_bpermute_b32 v8, v3, v6
	ds_bpermute_b32 v9, v3, v7
	v_xor_b32_e32 v4, 2, v12
	v_cmp_lt_i32_e64 s[2:3], v4, v13
	v_xor_b32_e32 v5, 1, v12
	s_waitcnt lgkmcnt(0)
	v_pk_add_f32 v[8:9], v[6:7], v[8:9]
	v_cndmask_b32_e64 v4, v12, v4, s[2:3]
	v_lshlrev_b32_e32 v4, 2, v4
	ds_bpermute_b32 v10, v4, v8
	ds_bpermute_b32 v11, v4, v9
	v_cmp_lt_i32_e64 s[2:3], v5, v13
	s_waitcnt lgkmcnt(0)
	v_pk_add_f32 v[8:9], v[8:9], v[10:11]
	v_cndmask_b32_e64 v5, v12, v5, s[2:3]
	v_lshlrev_b32_e32 v6, 2, v5
	ds_bpermute_b32 v10, v6, v8
	ds_bpermute_b32 v11, v6, v9
	s_lshl_b64 s[2:3], s[4:5], 2
	s_add_u32 s2, s6, s2
	s_addc_u32 s3, s7, s3
	s_and_b64 s[0:1], vcc, s[0:1]
	s_waitcnt lgkmcnt(0)
	v_pk_add_f32 v[8:9], v[8:9], v[10:11]
	v_lshlrev_b32_e32 v5, 2, v16
	scratch_store_dwordx2 off, v[8:9], off
	s_and_saveexec_b64 s[4:5], s[0:1]
	s_cbranch_execz .LBB260_7
; %bb.6:
	scratch_load_dword v7, v5, off
	s_waitcnt vmcnt(0)
	global_store_dword v5, v7, s[2:3]
.LBB260_7:
	s_or_b64 exec, exec, s[4:5]
	scratch_load_dwordx2 v[8:9], off, off offset:8
	s_waitcnt vmcnt(0)
	ds_bpermute_b32 v10, v0, v8
	ds_bpermute_b32 v11, v0, v9
	s_waitcnt lgkmcnt(0)
	v_pk_add_f32 v[8:9], v[8:9], v[10:11]
	ds_bpermute_b32 v10, v1, v8
	ds_bpermute_b32 v11, v1, v9
	s_waitcnt lgkmcnt(0)
	v_pk_add_f32 v[8:9], v[8:9], v[10:11]
	;; [unrolled: 4-line block ×6, first 2 shown]
	scratch_store_dwordx2 off, v[8:9], off offset:8
	s_and_saveexec_b64 s[4:5], s[0:1]
	s_cbranch_execz .LBB260_9
; %bb.8:
	scratch_load_dword v7, v5, off offset:8
	v_add_u32_e32 v8, s10, v16
	v_mov_b32_e32 v9, 0
	v_lshl_add_u64 v[8:9], v[8:9], 2, s[2:3]
	s_waitcnt vmcnt(0)
	global_store_dword v[8:9], v7, off
.LBB260_9:
	s_or_b64 exec, exec, s[4:5]
	scratch_load_dwordx2 v[8:9], off, off offset:16
	s_waitcnt vmcnt(0)
	ds_bpermute_b32 v10, v0, v8
	ds_bpermute_b32 v11, v0, v9
	s_waitcnt lgkmcnt(0)
	v_pk_add_f32 v[8:9], v[8:9], v[10:11]
	ds_bpermute_b32 v10, v1, v8
	ds_bpermute_b32 v11, v1, v9
	s_waitcnt lgkmcnt(0)
	v_pk_add_f32 v[8:9], v[8:9], v[10:11]
	;; [unrolled: 4-line block ×6, first 2 shown]
	scratch_store_dwordx2 off, v[8:9], off offset:16
	s_and_saveexec_b64 s[4:5], s[0:1]
	s_cbranch_execz .LBB260_11
; %bb.10:
	scratch_load_dword v7, v5, off offset:16
	v_lshl_or_b32 v8, s10, 1, v16
	v_mov_b32_e32 v9, 0
	v_lshl_add_u64 v[8:9], v[8:9], 2, s[2:3]
	s_waitcnt vmcnt(0)
	global_store_dword v[8:9], v7, off
.LBB260_11:
	s_or_b64 exec, exec, s[4:5]
	scratch_load_dwordx2 v[8:9], off, off offset:24
	s_waitcnt vmcnt(0)
	ds_bpermute_b32 v10, v0, v8
	ds_bpermute_b32 v11, v0, v9
	s_waitcnt lgkmcnt(0)
	v_pk_add_f32 v[8:9], v[8:9], v[10:11]
	ds_bpermute_b32 v10, v1, v8
	ds_bpermute_b32 v11, v1, v9
	s_waitcnt lgkmcnt(0)
	v_pk_add_f32 v[8:9], v[8:9], v[10:11]
	;; [unrolled: 4-line block ×6, first 2 shown]
	scratch_store_dwordx2 off, v[8:9], off offset:24
	s_and_saveexec_b64 s[4:5], s[0:1]
	s_cbranch_execz .LBB260_13
; %bb.12:
	scratch_load_dword v7, v5, off offset:24
	v_mad_u64_u32 v[8:9], s[6:7], s10, 3, v[16:17]
	v_mov_b32_e32 v9, 0
	v_lshl_add_u64 v[8:9], v[8:9], 2, s[2:3]
	s_waitcnt vmcnt(0)
	global_store_dword v[8:9], v7, off
.LBB260_13:
	s_or_b64 exec, exec, s[4:5]
	scratch_load_dwordx2 v[8:9], off, off offset:32
	s_waitcnt vmcnt(0)
	ds_bpermute_b32 v10, v0, v8
	ds_bpermute_b32 v11, v0, v9
	s_waitcnt lgkmcnt(0)
	v_pk_add_f32 v[8:9], v[8:9], v[10:11]
	ds_bpermute_b32 v0, v1, v8
	ds_bpermute_b32 v1, v1, v9
	s_waitcnt lgkmcnt(0)
	v_pk_add_f32 v[0:1], v[8:9], v[0:1]
	;; [unrolled: 4-line block ×6, first 2 shown]
	scratch_store_dwordx2 off, v[0:1], off offset:32
	s_and_b64 exec, exec, s[0:1]
	s_cbranch_execz .LBB260_15
; %bb.14:
	scratch_load_dword v2, v5, off offset:32
	v_lshl_or_b32 v0, s10, 2, v16
	v_mov_b32_e32 v1, 0
	v_lshl_add_u64 v[0:1], v[0:1], 2, s[2:3]
	s_waitcnt vmcnt(0)
	global_store_dword v[0:1], v2, off
.LBB260_15:
	s_endpgm
	.section	.rodata,"a",@progbits
	.p2align	6, 0x0
	.amdhsa_kernel _ZL13mul_mat_vec_qIL9ggml_type21ELi5ELb0ELb0EEvPKvS2_PKi31ggml_cuda_mm_fusion_args_devicePfj15HIP_vector_typeIjLj3EEjjjS8_jjjS8_jjjj
		.amdhsa_group_segment_fixed_size 0
		.amdhsa_private_segment_fixed_size 48
		.amdhsa_kernarg_size 144
		.amdhsa_user_sgpr_count 2
		.amdhsa_user_sgpr_dispatch_ptr 0
		.amdhsa_user_sgpr_queue_ptr 0
		.amdhsa_user_sgpr_kernarg_segment_ptr 1
		.amdhsa_user_sgpr_dispatch_id 0
		.amdhsa_user_sgpr_kernarg_preload_length 0
		.amdhsa_user_sgpr_kernarg_preload_offset 0
		.amdhsa_user_sgpr_private_segment_size 0
		.amdhsa_uses_dynamic_stack 0
		.amdhsa_enable_private_segment 1
		.amdhsa_system_sgpr_workgroup_id_x 1
		.amdhsa_system_sgpr_workgroup_id_y 1
		.amdhsa_system_sgpr_workgroup_id_z 1
		.amdhsa_system_sgpr_workgroup_info 0
		.amdhsa_system_vgpr_workitem_id 1
		.amdhsa_next_free_vgpr 73
		.amdhsa_next_free_sgpr 30
		.amdhsa_accum_offset 76
		.amdhsa_reserve_vcc 1
		.amdhsa_float_round_mode_32 0
		.amdhsa_float_round_mode_16_64 0
		.amdhsa_float_denorm_mode_32 3
		.amdhsa_float_denorm_mode_16_64 3
		.amdhsa_dx10_clamp 1
		.amdhsa_ieee_mode 1
		.amdhsa_fp16_overflow 0
		.amdhsa_tg_split 0
		.amdhsa_exception_fp_ieee_invalid_op 0
		.amdhsa_exception_fp_denorm_src 0
		.amdhsa_exception_fp_ieee_div_zero 0
		.amdhsa_exception_fp_ieee_overflow 0
		.amdhsa_exception_fp_ieee_underflow 0
		.amdhsa_exception_fp_ieee_inexact 0
		.amdhsa_exception_int_div_zero 0
	.end_amdhsa_kernel
	.section	.text._ZL13mul_mat_vec_qIL9ggml_type21ELi5ELb0ELb0EEvPKvS2_PKi31ggml_cuda_mm_fusion_args_devicePfj15HIP_vector_typeIjLj3EEjjjS8_jjjS8_jjjj,"axG",@progbits,_ZL13mul_mat_vec_qIL9ggml_type21ELi5ELb0ELb0EEvPKvS2_PKi31ggml_cuda_mm_fusion_args_devicePfj15HIP_vector_typeIjLj3EEjjjS8_jjjS8_jjjj,comdat
.Lfunc_end260:
	.size	_ZL13mul_mat_vec_qIL9ggml_type21ELi5ELb0ELb0EEvPKvS2_PKi31ggml_cuda_mm_fusion_args_devicePfj15HIP_vector_typeIjLj3EEjjjS8_jjjS8_jjjj, .Lfunc_end260-_ZL13mul_mat_vec_qIL9ggml_type21ELi5ELb0ELb0EEvPKvS2_PKi31ggml_cuda_mm_fusion_args_devicePfj15HIP_vector_typeIjLj3EEjjjS8_jjjS8_jjjj
                                        ; -- End function
	.section	.AMDGPU.csdata,"",@progbits
; Kernel info:
; codeLenInByte = 6852
; NumSgprs: 36
; NumVgprs: 73
; NumAgprs: 0
; TotalNumVgprs: 73
; ScratchSize: 48
; MemoryBound: 0
; FloatMode: 240
; IeeeMode: 1
; LDSByteSize: 0 bytes/workgroup (compile time only)
; SGPRBlocks: 4
; VGPRBlocks: 9
; NumSGPRsForWavesPerEU: 36
; NumVGPRsForWavesPerEU: 73
; AccumOffset: 76
; Occupancy: 6
; WaveLimiterHint : 0
; COMPUTE_PGM_RSRC2:SCRATCH_EN: 1
; COMPUTE_PGM_RSRC2:USER_SGPR: 2
; COMPUTE_PGM_RSRC2:TRAP_HANDLER: 0
; COMPUTE_PGM_RSRC2:TGID_X_EN: 1
; COMPUTE_PGM_RSRC2:TGID_Y_EN: 1
; COMPUTE_PGM_RSRC2:TGID_Z_EN: 1
; COMPUTE_PGM_RSRC2:TIDIG_COMP_CNT: 1
; COMPUTE_PGM_RSRC3_GFX90A:ACCUM_OFFSET: 18
; COMPUTE_PGM_RSRC3_GFX90A:TG_SPLIT: 0
	.section	.text._ZL13mul_mat_vec_qIL9ggml_type21ELi6ELb0ELb0EEvPKvS2_PKi31ggml_cuda_mm_fusion_args_devicePfj15HIP_vector_typeIjLj3EEjjjS8_jjjS8_jjjj,"axG",@progbits,_ZL13mul_mat_vec_qIL9ggml_type21ELi6ELb0ELb0EEvPKvS2_PKi31ggml_cuda_mm_fusion_args_devicePfj15HIP_vector_typeIjLj3EEjjjS8_jjjS8_jjjj,comdat
	.globl	_ZL13mul_mat_vec_qIL9ggml_type21ELi6ELb0ELb0EEvPKvS2_PKi31ggml_cuda_mm_fusion_args_devicePfj15HIP_vector_typeIjLj3EEjjjS8_jjjS8_jjjj ; -- Begin function _ZL13mul_mat_vec_qIL9ggml_type21ELi6ELb0ELb0EEvPKvS2_PKi31ggml_cuda_mm_fusion_args_devicePfj15HIP_vector_typeIjLj3EEjjjS8_jjjS8_jjjj
	.p2align	8
	.type	_ZL13mul_mat_vec_qIL9ggml_type21ELi6ELb0ELb0EEvPKvS2_PKi31ggml_cuda_mm_fusion_args_devicePfj15HIP_vector_typeIjLj3EEjjjS8_jjjS8_jjjj,@function
_ZL13mul_mat_vec_qIL9ggml_type21ELi6ELb0ELb0EEvPKvS2_PKi31ggml_cuda_mm_fusion_args_devicePfj15HIP_vector_typeIjLj3EEjjjS8_jjjS8_jjjj: ; @_ZL13mul_mat_vec_qIL9ggml_type21ELi6ELb0ELb0EEvPKvS2_PKi31ggml_cuda_mm_fusion_args_devicePfj15HIP_vector_typeIjLj3EEjjjS8_jjjS8_jjjj
; %bb.0:
	v_bfe_u32 v19, v0, 10, 10
	v_and_b32_e32 v12, 0x3ff, v0
	s_mov_b32 s20, 0
	s_load_dword s5, s[0:1], 0x40
	s_load_dwordx4 s[8:11], s[0:1], 0x50
	s_load_dword s27, s[0:1], 0x60
	s_load_dwordx4 s[12:15], s[0:1], 0x68
	;; [unrolled: 2-line block ×3, first 2 shown]
	v_lshl_or_b32 v4, v19, 6, v12
	s_mov_b32 s21, s20
	s_waitcnt lgkmcnt(0)
	s_lshr_b32 s5, s5, 8
	s_mov_b32 s22, s20
	s_mov_b32 s23, s20
	v_mov_b64_e32 v[0:1], s[20:21]
	v_lshrrev_b32_e32 v50, 3, v4
	s_lshl_b32 s2, s2, 1
	v_mov_b64_e32 v[2:3], s[22:23]
	v_cmp_gt_u32_e32 vcc, s5, v50
	scratch_store_dwordx4 off, v[0:3], off offset:32
	scratch_store_dwordx4 off, v[0:3], off offset:16
	scratch_store_dwordx4 off, v[0:3], off
	s_and_saveexec_b64 s[6:7], vcc
	s_cbranch_execz .LBB261_3
; %bb.1:
	s_load_dwordx4 s[20:23], s[0:1], 0x0
	s_mul_i32 s17, s4, s17
	s_mul_i32 s24, s17, 36
	;; [unrolled: 1-line block ×3, first 2 shown]
	s_mul_hi_u32 s19, s17, 36
	s_waitcnt lgkmcnt(0)
	s_add_u32 s24, s22, s24
	s_addc_u32 s19, s23, s19
	s_mul_i32 s28, s13, 36
	s_mul_hi_u32 s29, s13, 36
	s_add_u32 s24, s24, s28
	s_mul_hi_u32 s11, s11, s3
	s_addc_u32 s25, s19, s29
	s_add_i32 s11, s3, s11
	s_lshr_b32 s11, s11, s27
	s_mul_i32 s11, s11, s12
	s_mul_hi_u32 s12, s15, s4
	s_add_i32 s12, s4, s12
	s_lshr_b32 s12, s12, s26
	s_mul_i32 s12, s12, s16
	s_mul_i32 s13, s2, s8
	s_add_i32 s12, s12, s11
	v_lshlrev_b32_e32 v1, 1, v12
	s_add_i32 s11, s12, s13
	s_add_i32 s13, s2, 1
	v_and_b32_e32 v0, 14, v1
	v_bfe_u32 v16, v1, 2, 2
	s_mul_i32 s8, s8, s13
	v_lshl_add_u32 v1, v19, 6, v12
	s_add_i32 s8, s12, s8
	v_lshrrev_b32_e32 v1, 3, v1
	s_movk_i32 s12, 0x120
	v_mov_b64_e32 v[4:5], s[28:29]
	v_mad_u64_u32 v[4:5], s[12:13], v1, s12, v[4:5]
	v_and_b32_e32 v14, 7, v12
	v_mad_u64_u32 v[4:5], s[12:13], s17, 36, v[4:5]
	v_lshlrev_b32_e32 v2, 1, v0
	v_mad_u64_u32 v[4:5], s[12:13], v14, 36, v[4:5]
	v_mov_b32_e32 v15, 0
	v_and_b32_e32 v18, 4, v2
	v_lshl_add_u64 v[4:5], v[4:5], 0, s[22:23]
	v_mov_b32_e32 v17, v15
	v_mov_b32_e32 v13, v18
	v_lshlrev_b32_e32 v51, 3, v50
	s_mul_i32 s15, s9, 5
	s_lshl_b32 s19, s9, 2
	s_mul_i32 s26, s9, 3
	s_lshl_b32 s27, s9, 1
	v_lshl_add_u64 v[20:21], v[4:5], 0, 16
	s_mov_b64 s[12:13], 0
	s_movk_i32 s22, 0x6e
	v_mov_b64_e32 v[22:23], s[20:21]
	v_lshlrev_b32_e32 v24, 1, v2
	v_lshlrev_b32_e32 v26, 1, v0
	s_movk_i32 s23, 0xff
	s_mov_b32 s28, 0xffff
	s_movk_i32 s29, 0x100
	s_movk_i32 s30, 0xff00
	s_mov_b64 s[16:17], 0x900
	v_mov_b32_e32 v25, v15
	v_mov_b32_e32 v27, v15
	;; [unrolled: 1-line block ×5, first 2 shown]
.LBB261_2:                              ; =>This Inner Loop Header: Depth=1
	v_add_u32_e32 v9, s11, v50
	v_mad_i64_i32 v[30:31], s[20:21], v9, s22, v[22:23]
	v_lshl_add_u64 v[36:37], v[30:31], 0, v[24:25]
	v_lshl_add_u64 v[38:39], v[30:31], 0, v[14:15]
	global_load_dword v8, v[20:21], off offset:16
	global_load_dwordx4 v[0:3], v[20:21], off
	global_load_dwordx4 v[4:7], v[20:21], off offset:-16
	global_load_ushort v9, v[36:37], off offset:2
	global_load_dword v62, v[36:37], off offset:2
	global_load_dword v56, v[36:37], off offset:4
	;; [unrolled: 1-line block ×3, first 2 shown]
	global_load_ubyte v29, v[38:39], off offset:66
	v_lshl_add_u64 v[40:41], v[30:31], 0, v[26:27]
	global_load_ushort v32, v[40:41], off offset:74
	global_load_dword v57, v[40:41], off offset:74
	s_getpc_b64 s[20:21]
	s_add_u32 s20, s20, _ZL9iq3s_grid@rel32@lo+4
	s_addc_u32 s21, s21, _ZL9iq3s_grid@rel32@hi+12
	v_lshl_add_u64 v[20:21], v[20:21], 0, s[16:17]
	s_waitcnt vmcnt(7)
	v_cvt_f32_f16_e32 v4, v4
	s_waitcnt vmcnt(6)
	v_and_b32_sdwa v35, s28, v9 dst_sel:DWORD dst_unused:UNUSED_PAD src0_sel:DWORD src1_sel:BYTE_0
	v_lshrrev_b16_e32 v9, 8, v9
	s_waitcnt vmcnt(5)
	v_lshrrev_b32_e32 v10, 16, v62
	s_waitcnt vmcnt(2)
	v_lshlrev_b32_e32 v42, 8, v29
	v_and_or_b32 v35, v42, s29, v35
	v_lshlrev_b32_e32 v35, 2, v35
	global_load_dword v35, v35, s[20:21]
	v_lshlrev_b32_e32 v42, 7, v29
	v_and_or_b32 v9, v42, s29, v9
	v_lshlrev_b32_e32 v9, 2, v9
	global_load_dword v9, v9, s[20:21]
	s_waitcnt vmcnt(3)
	v_and_b32_sdwa v42, s28, v32 dst_sel:DWORD dst_unused:UNUSED_PAD src0_sel:DWORD src1_sel:BYTE_0
	v_bfe_u32 v46, v42, 3, 1
	v_lshlrev_b32_e32 v43, 5, v42
	v_lshrrev_b32_e32 v45, 1, v42
	v_cmp_ne_u16_e32 vcc, 0, v46
	v_and_b32_e32 v44, 1, v32
	v_bfe_i32 v45, v45, 0, 1
	v_lshrrev_b16_e32 v43, 7, v43
	v_cndmask_b32_e64 v46, 0, -1, vcc
	v_sub_u16_e32 v44, 0, v44
	v_bfe_i32 v43, v43, 0, 1
	v_lshlrev_b16_e32 v45, 8, v45
	v_lshlrev_b16_e32 v46, 8, v46
	v_or_b32_sdwa v47, v44, v45 dst_sel:DWORD dst_unused:UNUSED_PAD src0_sel:BYTE_0 src1_sel:DWORD
	v_or_b32_sdwa v48, v43, v46 dst_sel:WORD_1 dst_unused:UNUSED_PAD src0_sel:BYTE_0 src1_sel:DWORD
	v_bfe_i32 v49, v42, 4, 1
	v_or_b32_sdwa v47, v47, v48 dst_sel:DWORD dst_unused:UNUSED_PAD src0_sel:WORD_0 src1_sel:DWORD
	v_lshlrev_b32_e32 v48, 1, v42
	v_lshrrev_b32_e32 v58, 5, v42
	v_lshrrev_b32_e32 v42, 7, v42
	v_cmp_ne_u16_e32 vcc, 0, v42
	v_lshlrev_b16_e32 v44, 8, v44
	v_bfe_i32 v58, v58, 0, 1
	v_lshrrev_b16_e32 v48, 7, v48
	v_cndmask_b32_e64 v42, 0, -1, vcc
	v_bfe_i32 v48, v48, 0, 1
	v_lshlrev_b16_e32 v58, 8, v58
	v_lshlrev_b16_e32 v42, 8, v42
	v_or_b32_sdwa v59, v49, v58 dst_sel:DWORD dst_unused:UNUSED_PAD src0_sel:BYTE_0 src1_sel:DWORD
	v_or_b32_sdwa v60, v48, v42 dst_sel:WORD_1 dst_unused:UNUSED_PAD src0_sel:BYTE_0 src1_sel:DWORD
	v_lshlrev_b16_e32 v43, 8, v43
	v_or_b32_sdwa v59, v59, v60 dst_sel:DWORD dst_unused:UNUSED_PAD src0_sel:WORD_0 src1_sel:DWORD
	v_lshrrev_b32_e32 v11, 16, v56
	s_waitcnt vmcnt(2)
	v_lshrrev_b32_e32 v33, 16, v57
	v_lshrrev_b32_e32 v28, 16, v55
	;; [unrolled: 1-line block ×3, first 2 shown]
	s_waitcnt vmcnt(1)
	v_xor_b32_e32 v35, v35, v47
	v_and_b32_e32 v47, 0xffffff00, v35
	v_sub_i16 v45, v47, v45 clamp
	v_lshlrev_b16_e32 v47, 8, v35
	v_and_b32_e32 v45, 0xffffff00, v45
	v_sub_i16 v44, v47, v44 clamp
	v_or_b32_sdwa v44, v44, v45 dst_sel:DWORD dst_unused:UNUSED_PAD src0_sel:BYTE_1 src1_sel:DWORD
	v_and_b32_sdwa v45, v35, s30 dst_sel:DWORD dst_unused:UNUSED_PAD src0_sel:WORD_1 src1_sel:DWORD
	v_sub_i16 v45, v45, v46 clamp
	v_lshlrev_b16_sdwa v35, v52, v35 dst_sel:DWORD dst_unused:UNUSED_PAD src0_sel:DWORD src1_sel:WORD_1
	v_and_b32_e32 v45, 0xffffff00, v45
	v_sub_i16 v35, v35, v43 clamp
	v_or_b32_sdwa v35, v35, v45 dst_sel:WORD_1 dst_unused:UNUSED_PAD src0_sel:BYTE_1 src1_sel:DWORD
	s_waitcnt vmcnt(0)
	v_xor_b32_e32 v9, v9, v59
	v_or_b32_sdwa v85, v44, v35 dst_sel:DWORD dst_unused:UNUSED_PAD src0_sel:WORD_0 src1_sel:DWORD
	v_and_b32_e32 v35, 0xffffff00, v9
	v_sub_i16 v35, v35, v58 clamp
	v_lshlrev_b16_e32 v43, 8, v9
	v_lshlrev_b16_e32 v44, 8, v49
	v_and_b32_e32 v35, 0xffffff00, v35
	v_sub_i16 v43, v43, v44 clamp
	v_or_b32_sdwa v35, v43, v35 dst_sel:DWORD dst_unused:UNUSED_PAD src0_sel:BYTE_1 src1_sel:DWORD
	v_and_b32_sdwa v43, v9, s30 dst_sel:DWORD dst_unused:UNUSED_PAD src0_sel:WORD_1 src1_sel:DWORD
	v_sub_i16 v42, v43, v42 clamp
	v_lshlrev_b16_sdwa v9, v52, v9 dst_sel:DWORD dst_unused:UNUSED_PAD src0_sel:DWORD src1_sel:WORD_1
	v_lshlrev_b16_e32 v43, 8, v48
	v_and_b32_e32 v42, 0xffffff00, v42
	v_sub_i16 v9, v9, v43 clamp
	v_or_b32_sdwa v9, v9, v42 dst_sel:WORD_1 dst_unused:UNUSED_PAD src0_sel:BYTE_1 src1_sel:DWORD
	v_lshrrev_b16_e32 v42, 8, v32
	v_or_b32_sdwa v86, v35, v9 dst_sel:DWORD dst_unused:UNUSED_PAD src0_sel:WORD_0 src1_sel:DWORD
	v_lshlrev_b32_e32 v35, 6, v29
	v_and_b32_e32 v87, 0x100, v35
	v_and_or_b32 v10, v10, s23, v87
	v_lshlrev_b32_e32 v10, 2, v10
	global_load_dword v10, v10, s[20:21]
	v_bfe_u32 v45, v42, 3, 1
	v_lshlrev_b32_e32 v43, 5, v42
	v_lshrrev_b32_e32 v44, 1, v42
	v_cmp_ne_u16_e32 vcc, 0, v45
	v_lshlrev_b16_e32 v32, 7, v32
	v_bfe_i32 v44, v44, 0, 1
	v_lshrrev_b16_e32 v43, 7, v43
	v_cndmask_b32_e64 v45, 0, -1, vcc
	v_ashrrev_i16_e32 v32, 15, v32
	v_bfe_i32 v43, v43, 0, 1
	v_lshlrev_b16_e32 v91, 8, v44
	v_lshlrev_b16_e32 v89, 8, v45
	v_lshlrev_b32_e32 v35, 5, v29
	v_or_b32_sdwa v44, v32, v91 dst_sel:DWORD dst_unused:UNUSED_PAD src0_sel:BYTE_0 src1_sel:DWORD
	v_or_b32_sdwa v45, v43, v89 dst_sel:WORD_1 dst_unused:UNUSED_PAD src0_sel:BYTE_0 src1_sel:DWORD
	v_and_b32_e32 v88, 0x100, v35
	v_or_b32_sdwa v93, v44, v45 dst_sel:DWORD dst_unused:UNUSED_PAD src0_sel:WORD_0 src1_sel:DWORD
	v_lshlrev_b32_e32 v44, 1, v42
	v_bfe_i32 v45, v42, 4, 1
	v_lshrrev_b32_e32 v46, 5, v42
	v_lshrrev_b32_e32 v42, 7, v42
	v_or_b32_sdwa v35, v88, v62 dst_sel:DWORD dst_unused:UNUSED_PAD src0_sel:DWORD src1_sel:BYTE_3
	v_cmp_ne_u16_e32 vcc, 0, v42
	v_lshlrev_b32_e32 v35, 2, v35
	global_load_dword v35, v35, s[20:21]
	v_bfe_i32 v46, v46, 0, 1
	v_lshrrev_b16_e32 v44, 7, v44
	v_cndmask_b32_e64 v42, 0, -1, vcc
	v_bfe_i32 v44, v44, 0, 1
	v_lshlrev_b16_e32 v92, 8, v46
	v_lshlrev_b16_e32 v90, 8, v42
	v_or_b32_sdwa v46, v45, v92 dst_sel:DWORD dst_unused:UNUSED_PAD src0_sel:BYTE_0 src1_sel:DWORD
	v_or_b32_sdwa v42, v44, v90 dst_sel:WORD_1 dst_unused:UNUSED_PAD src0_sel:BYTE_0 src1_sel:DWORD
	v_lshlrev_b16_e32 v95, 8, v32
	v_or_b32_sdwa v94, v46, v42 dst_sel:DWORD dst_unused:UNUSED_PAD src0_sel:WORD_0 src1_sel:DWORD
	v_lshlrev_b16_e32 v96, 8, v43
	v_mov_b32_e32 v9, 0
	v_dot4c_i32_i8_e32 v9, v85, v5
	v_dot4c_i32_i8_e32 v9, v86, v6
	v_lshlrev_b16_e32 v97, 8, v45
	v_lshlrev_b16_e32 v98, 8, v44
	v_bfe_u32 v43, v57, 19, 1
	v_cmp_ne_u16_e32 vcc, 0, v43
	v_bfe_u32 v48, v33, 7, 1
	v_bfe_u32 v47, v33, 5, 3
	v_cndmask_b32_e64 v43, 0, -1, vcc
	v_lshlrev_b16_e32 v43, 8, v43
	v_cmp_ne_u16_e32 vcc, 0, v48
	v_bfe_i32 v47, v47, 0, 1
	v_lshlrev_b16_e32 v47, 8, v47
	v_cndmask_b32_e64 v48, 0, -1, vcc
	v_lshlrev_b16_e32 v48, 8, v48
	s_waitcnt vmcnt(1)
	v_xor_b32_e32 v10, v10, v93
	v_and_b32_e32 v42, 0xffffff00, v10
	v_sub_i16 v42, v42, v91 clamp
	v_lshlrev_b16_e32 v46, 8, v10
	v_and_b32_e32 v42, 0xffffff00, v42
	v_sub_i16 v32, v46, v95 clamp
	v_or_b32_sdwa v32, v32, v42 dst_sel:DWORD dst_unused:UNUSED_PAD src0_sel:BYTE_1 src1_sel:DWORD
	v_and_b32_sdwa v42, v10, s30 dst_sel:DWORD dst_unused:UNUSED_PAD src0_sel:WORD_1 src1_sel:DWORD
	v_sub_i16 v42, v42, v89 clamp
	v_lshlrev_b16_sdwa v10, v52, v10 dst_sel:DWORD dst_unused:UNUSED_PAD src0_sel:DWORD src1_sel:WORD_1
	v_and_b32_e32 v42, 0xffffff00, v42
	v_sub_i16 v10, v10, v96 clamp
	v_or_b32_sdwa v10, v10, v42 dst_sel:WORD_1 dst_unused:UNUSED_PAD src0_sel:BYTE_1 src1_sel:DWORD
	v_bfe_i32 v46, v57, 20, 1
	v_or_b32_sdwa v10, v32, v10 dst_sel:DWORD dst_unused:UNUSED_PAD src0_sel:WORD_0 src1_sel:DWORD
	v_dot4c_i32_i8_e32 v9, v10, v7
	v_lshlrev_b32_e32 v10, 4, v29
	v_and_b32_e32 v99, 0x100, v10
	v_and_or_b32 v10, v11, s23, v99
	v_lshlrev_b32_e32 v10, 2, v10
	global_load_dword v10, v10, s[20:21]
	v_lshlrev_b32_e32 v11, 3, v29
	v_and_b32_e32 v100, 0x100, v11
	v_or_b32_sdwa v11, v100, v56 dst_sel:DWORD dst_unused:UNUSED_PAD src0_sel:DWORD src1_sel:BYTE_3
	v_lshlrev_b32_e32 v11, 2, v11
	global_load_dword v11, v11, s[20:21]
	s_waitcnt vmcnt(2)
	v_xor_b32_e32 v32, v35, v94
	v_and_b32_e32 v35, 0xffffff00, v32
	v_sub_i16 v35, v35, v92 clamp
	v_lshlrev_b16_e32 v42, 8, v32
	v_and_b32_e32 v35, 0xffffff00, v35
	v_sub_i16 v42, v42, v97 clamp
	v_or_b32_sdwa v35, v42, v35 dst_sel:DWORD dst_unused:UNUSED_PAD src0_sel:BYTE_1 src1_sel:DWORD
	v_and_b32_sdwa v42, v32, s30 dst_sel:DWORD dst_unused:UNUSED_PAD src0_sel:WORD_1 src1_sel:DWORD
	v_sub_i16 v42, v42, v90 clamp
	v_lshlrev_b16_sdwa v32, v52, v32 dst_sel:DWORD dst_unused:UNUSED_PAD src0_sel:DWORD src1_sel:WORD_1
	v_and_b32_e32 v42, 0xffffff00, v42
	v_sub_i16 v32, v32, v98 clamp
	v_or_b32_sdwa v32, v32, v42 dst_sel:WORD_1 dst_unused:UNUSED_PAD src0_sel:BYTE_1 src1_sel:DWORD
	v_bfe_u32 v42, v33, 1, 7
	v_or_b32_sdwa v32, v35, v32 dst_sel:DWORD dst_unused:UNUSED_PAD src0_sel:WORD_0 src1_sel:DWORD
	v_dot4c_i32_i8_e32 v9, v32, v0
	v_lshlrev_b32_sdwa v32, v53, v57 dst_sel:DWORD dst_unused:UNUSED_PAD src0_sel:DWORD src1_sel:BYTE_2
	v_and_b32_e32 v35, 1, v33
	v_bfe_i32 v42, v42, 0, 1
	v_lshrrev_b16_e32 v32, 7, v32
	v_sub_u16_e32 v35, 0, v35
	v_bfe_i32 v32, v32, 0, 1
	v_lshlrev_b16_e32 v42, 8, v42
	v_or_b32_sdwa v44, v35, v42 dst_sel:DWORD dst_unused:UNUSED_PAD src0_sel:BYTE_0 src1_sel:DWORD
	v_or_b32_sdwa v45, v32, v43 dst_sel:WORD_1 dst_unused:UNUSED_PAD src0_sel:BYTE_0 src1_sel:DWORD
	v_lshlrev_b16_e32 v35, 8, v35
	v_or_b32_sdwa v44, v44, v45 dst_sel:DWORD dst_unused:UNUSED_PAD src0_sel:WORD_0 src1_sel:DWORD
	v_lshlrev_b32_sdwa v45, v54, v57 dst_sel:DWORD dst_unused:UNUSED_PAD src0_sel:DWORD src1_sel:BYTE_2
	v_lshrrev_b16_e32 v45, 7, v45
	v_bfe_i32 v45, v45, 0, 1
	v_or_b32_sdwa v49, v46, v47 dst_sel:DWORD dst_unused:UNUSED_PAD src0_sel:BYTE_0 src1_sel:DWORD
	v_or_b32_sdwa v58, v45, v48 dst_sel:WORD_1 dst_unused:UNUSED_PAD src0_sel:BYTE_0 src1_sel:DWORD
	v_lshlrev_b16_e32 v32, 8, v32
	v_or_b32_sdwa v49, v49, v58 dst_sel:DWORD dst_unused:UNUSED_PAD src0_sel:WORD_0 src1_sel:DWORD
	s_waitcnt vmcnt(1)
	v_xor_b32_e32 v10, v10, v44
	v_and_b32_e32 v44, 0xffffff00, v10
	v_sub_i16 v42, v44, v42 clamp
	v_lshlrev_b16_e32 v44, 8, v10
	v_and_b32_e32 v42, 0xffffff00, v42
	v_sub_i16 v35, v44, v35 clamp
	v_or_b32_sdwa v35, v35, v42 dst_sel:DWORD dst_unused:UNUSED_PAD src0_sel:BYTE_1 src1_sel:DWORD
	v_and_b32_sdwa v42, v10, s30 dst_sel:DWORD dst_unused:UNUSED_PAD src0_sel:WORD_1 src1_sel:DWORD
	v_sub_i16 v42, v42, v43 clamp
	v_lshlrev_b16_sdwa v10, v52, v10 dst_sel:DWORD dst_unused:UNUSED_PAD src0_sel:DWORD src1_sel:WORD_1
	v_and_b32_e32 v42, 0xffffff00, v42
	v_sub_i16 v10, v10, v32 clamp
	s_waitcnt vmcnt(0)
	v_xor_b32_e32 v11, v11, v49
	v_or_b32_sdwa v10, v10, v42 dst_sel:WORD_1 dst_unused:UNUSED_PAD src0_sel:BYTE_1 src1_sel:DWORD
	v_and_b32_e32 v32, 0xffffff00, v11
	v_or_b32_sdwa v10, v35, v10 dst_sel:DWORD dst_unused:UNUSED_PAD src0_sel:WORD_0 src1_sel:DWORD
	v_sub_i16 v32, v32, v47 clamp
	v_lshlrev_b16_e32 v35, 8, v11
	v_lshlrev_b16_e32 v42, 8, v46
	v_and_b32_e32 v32, 0xffffff00, v32
	v_sub_i16 v35, v35, v42 clamp
	v_dot4c_i32_i8_e32 v9, v10, v1
	v_lshlrev_b32_e32 v10, 2, v29
	v_or_b32_sdwa v32, v35, v32 dst_sel:DWORD dst_unused:UNUSED_PAD src0_sel:BYTE_1 src1_sel:DWORD
	v_and_b32_sdwa v35, v11, s30 dst_sel:DWORD dst_unused:UNUSED_PAD src0_sel:WORD_1 src1_sel:DWORD
	v_and_b32_e32 v101, 0x100, v10
	v_sub_i16 v35, v35, v48 clamp
	v_lshlrev_b16_sdwa v11, v52, v11 dst_sel:DWORD dst_unused:UNUSED_PAD src0_sel:DWORD src1_sel:WORD_1
	v_lshlrev_b16_e32 v42, 8, v45
	v_and_or_b32 v10, v28, s23, v101
	v_and_b32_e32 v35, 0xffffff00, v35
	v_sub_i16 v11, v11, v42 clamp
	v_lshlrev_b32_e32 v10, 2, v10
	v_or_b32_sdwa v11, v11, v35 dst_sel:WORD_1 dst_unused:UNUSED_PAD src0_sel:BYTE_1 src1_sel:DWORD
	global_load_dword v10, v10, s[20:21]
	v_or_b32_sdwa v11, v32, v11 dst_sel:DWORD dst_unused:UNUSED_PAD src0_sel:WORD_0 src1_sel:DWORD
	v_dot4c_i32_i8_e32 v9, v11, v2
	v_lshlrev_b32_e32 v11, 1, v29
	v_and_b32_e32 v102, 0x100, v11
	v_or_b32_sdwa v11, v102, v55 dst_sel:DWORD dst_unused:UNUSED_PAD src0_sel:DWORD src1_sel:BYTE_3
	v_lshlrev_b32_e32 v11, 2, v11
	global_load_dword v11, v11, s[20:21]
	v_lshlrev_b16_e32 v29, 7, v33
	v_bfe_u32 v33, v57, 27, 1
	v_lshlrev_b32_e32 v28, 5, v34
	v_lshrrev_b32_e32 v32, 25, v57
	v_cmp_ne_u16_e32 vcc, 0, v33
	v_bfe_i32 v32, v32, 0, 1
	v_lshrrev_b16_e32 v28, 7, v28
	v_cndmask_b32_e64 v33, 0, -1, vcc
	v_ashrrev_i16_e32 v29, 15, v29
	v_bfe_i32 v28, v28, 0, 1
	v_lshlrev_b16_e32 v32, 8, v32
	v_lshlrev_b16_e32 v33, 8, v33
	v_or_b32_sdwa v35, v29, v32 dst_sel:DWORD dst_unused:UNUSED_PAD src0_sel:BYTE_0 src1_sel:DWORD
	v_or_b32_sdwa v42, v28, v33 dst_sel:WORD_1 dst_unused:UNUSED_PAD src0_sel:BYTE_0 src1_sel:DWORD
	v_lshrrev_b32_e32 v44, 31, v57
	v_or_b32_sdwa v35, v35, v42 dst_sel:DWORD dst_unused:UNUSED_PAD src0_sel:WORD_0 src1_sel:DWORD
	v_lshlrev_b32_e32 v42, 1, v34
	v_lshrrev_b32_e32 v43, 29, v57
	v_cmp_ne_u16_e32 vcc, 0, v44
	v_bfe_i32 v43, v43, 0, 1
	v_lshrrev_b16_e32 v42, 7, v42
	v_cndmask_b32_e64 v44, 0, -1, vcc
	v_lshlrev_b16_e32 v29, 8, v29
	v_bfe_i32 v34, v34, 4, 1
	v_bfe_i32 v42, v42, 0, 1
	v_lshlrev_b16_e32 v43, 8, v43
	v_lshlrev_b16_e32 v44, 8, v44
	v_or_b32_sdwa v45, v34, v43 dst_sel:DWORD dst_unused:UNUSED_PAD src0_sel:BYTE_0 src1_sel:DWORD
	v_or_b32_sdwa v46, v42, v44 dst_sel:WORD_1 dst_unused:UNUSED_PAD src0_sel:BYTE_0 src1_sel:DWORD
	v_lshlrev_b16_e32 v28, 8, v28
	v_or_b32_sdwa v45, v45, v46 dst_sel:DWORD dst_unused:UNUSED_PAD src0_sel:WORD_0 src1_sel:DWORD
	s_waitcnt vmcnt(1)
	v_xor_b32_e32 v10, v10, v35
	v_and_b32_e32 v35, 0xffffff00, v10
	v_sub_i16 v32, v35, v32 clamp
	v_lshlrev_b16_e32 v35, 8, v10
	v_and_b32_e32 v32, 0xffffff00, v32
	v_sub_i16 v29, v35, v29 clamp
	v_or_b32_sdwa v29, v29, v32 dst_sel:DWORD dst_unused:UNUSED_PAD src0_sel:BYTE_1 src1_sel:DWORD
	v_and_b32_sdwa v32, v10, s30 dst_sel:DWORD dst_unused:UNUSED_PAD src0_sel:WORD_1 src1_sel:DWORD
	v_sub_i16 v32, v32, v33 clamp
	v_lshlrev_b16_sdwa v10, v52, v10 dst_sel:DWORD dst_unused:UNUSED_PAD src0_sel:DWORD src1_sel:WORD_1
	v_and_b32_e32 v32, 0xffffff00, v32
	v_sub_i16 v10, v10, v28 clamp
	s_waitcnt vmcnt(0)
	v_xor_b32_e32 v11, v11, v45
	v_or_b32_sdwa v10, v10, v32 dst_sel:WORD_1 dst_unused:UNUSED_PAD src0_sel:BYTE_1 src1_sel:DWORD
	v_and_b32_e32 v28, 0xffffff00, v11
	v_or_b32_sdwa v10, v29, v10 dst_sel:DWORD dst_unused:UNUSED_PAD src0_sel:WORD_0 src1_sel:DWORD
	v_sub_i16 v28, v28, v43 clamp
	v_lshlrev_b16_e32 v29, 8, v11
	v_lshlrev_b16_e32 v32, 8, v34
	v_and_b32_e32 v28, 0xffffff00, v28
	v_sub_i16 v29, v29, v32 clamp
	v_or_b32_sdwa v28, v29, v28 dst_sel:DWORD dst_unused:UNUSED_PAD src0_sel:BYTE_1 src1_sel:DWORD
	v_and_b32_sdwa v29, v11, s30 dst_sel:DWORD dst_unused:UNUSED_PAD src0_sel:WORD_1 src1_sel:DWORD
	v_sub_i16 v29, v29, v44 clamp
	v_lshlrev_b16_sdwa v11, v52, v11 dst_sel:DWORD dst_unused:UNUSED_PAD src0_sel:DWORD src1_sel:WORD_1
	v_lshlrev_b16_e32 v32, 8, v42
	v_and_b32_e32 v29, 0xffffff00, v29
	v_sub_i16 v11, v11, v32 clamp
	v_or_b32_sdwa v11, v11, v29 dst_sel:WORD_1 dst_unused:UNUSED_PAD src0_sel:BYTE_1 src1_sel:DWORD
	v_dot4c_i32_i8_e32 v9, v10, v3
	v_or_b32_sdwa v11, v28, v11 dst_sel:DWORD dst_unused:UNUSED_PAD src0_sel:WORD_0 src1_sel:DWORD
	v_dot4c_i32_i8_e32 v9, v11, v8
	v_add_u32_e32 v11, s8, v50
	v_mad_i64_i32 v[32:33], s[34:35], v11, s22, v[22:23]
	v_lshl_add_u64 v[42:43], v[32:33], 0, v[24:25]
	v_lshl_add_u64 v[44:45], v[32:33], 0, v[14:15]
	global_load_ushort v10, v[30:31], off
	global_load_ushort v11, v[42:43], off offset:2
	global_load_dword v61, v[42:43], off offset:2
	global_load_dword v60, v[42:43], off offset:4
	;; [unrolled: 1-line block ×3, first 2 shown]
	global_load_ubyte v49, v[44:45], off offset:66
	v_lshl_add_u64 v[46:47], v[32:33], 0, v[26:27]
	global_load_ushort v67, v[46:47], off offset:74
	global_load_dword v59, v[46:47], off offset:74
	v_lshl_add_u64 v[28:29], v[30:31], 0, v[16:17]
	v_add_u32_e32 v50, 8, v50
	s_waitcnt vmcnt(6)
	v_and_b32_sdwa v63, s28, v11 dst_sel:DWORD dst_unused:UNUSED_PAD src0_sel:DWORD src1_sel:BYTE_0
	v_lshrrev_b16_e32 v11, 8, v11
	s_waitcnt vmcnt(5)
	v_lshrrev_b32_e32 v34, 16, v61
	s_waitcnt vmcnt(4)
	v_lshrrev_b32_e32 v35, 16, v60
	s_waitcnt vmcnt(2)
	v_lshlrev_b32_e32 v64, 8, v49
	v_and_or_b32 v63, v64, s29, v63
	v_lshlrev_b32_e32 v63, 2, v63
	global_load_dword v63, v63, s[20:21]
	v_lshlrev_b32_e32 v64, 7, v49
	v_and_or_b32 v11, v64, s29, v11
	v_lshlrev_b32_e32 v11, 2, v11
	global_load_dword v11, v11, s[20:21]
	s_waitcnt vmcnt(3)
	v_and_b32_sdwa v64, s28, v67 dst_sel:DWORD dst_unused:UNUSED_PAD src0_sel:DWORD src1_sel:BYTE_0
	v_bfe_u32 v69, v64, 3, 1
	v_lshlrev_b32_e32 v65, 5, v64
	v_lshrrev_b32_e32 v68, 1, v64
	v_cmp_ne_u16_e32 vcc, 0, v69
	v_and_b32_e32 v66, 1, v67
	v_bfe_i32 v68, v68, 0, 1
	v_lshrrev_b16_e32 v65, 7, v65
	v_cndmask_b32_e64 v69, 0, -1, vcc
	v_sub_u16_e32 v66, 0, v66
	v_bfe_i32 v65, v65, 0, 1
	v_lshlrev_b16_e32 v68, 8, v68
	v_lshlrev_b16_e32 v69, 8, v69
	v_or_b32_sdwa v70, v66, v68 dst_sel:DWORD dst_unused:UNUSED_PAD src0_sel:BYTE_0 src1_sel:DWORD
	v_or_b32_sdwa v71, v65, v69 dst_sel:WORD_1 dst_unused:UNUSED_PAD src0_sel:BYTE_0 src1_sel:DWORD
	v_bfe_i32 v72, v64, 4, 1
	v_or_b32_sdwa v70, v70, v71 dst_sel:DWORD dst_unused:UNUSED_PAD src0_sel:WORD_0 src1_sel:DWORD
	v_lshlrev_b32_e32 v71, 1, v64
	v_lshrrev_b32_e32 v73, 5, v64
	v_lshrrev_b32_e32 v64, 7, v64
	v_cmp_ne_u16_e32 vcc, 0, v64
	v_bfe_i32 v73, v73, 0, 1
	v_lshrrev_b16_e32 v71, 7, v71
	v_cndmask_b32_e64 v64, 0, -1, vcc
	v_lshlrev_b16_e32 v66, 8, v66
	v_bfe_i32 v71, v71, 0, 1
	v_lshlrev_b16_e32 v73, 8, v73
	v_lshlrev_b16_e32 v64, 8, v64
	v_or_b32_sdwa v74, v72, v73 dst_sel:DWORD dst_unused:UNUSED_PAD src0_sel:BYTE_0 src1_sel:DWORD
	v_or_b32_sdwa v75, v71, v64 dst_sel:WORD_1 dst_unused:UNUSED_PAD src0_sel:BYTE_0 src1_sel:DWORD
	v_lshlrev_b16_e32 v65, 8, v65
	v_or_b32_sdwa v74, v74, v75 dst_sel:DWORD dst_unused:UNUSED_PAD src0_sel:WORD_0 src1_sel:DWORD
	s_waitcnt vmcnt(2)
	v_lshrrev_b32_e32 v81, 16, v59
	v_bfe_u32 v103, v81, 7, 1
	v_bfe_u32 v84, v81, 5, 3
	v_lshrrev_b32_e32 v48, 16, v58
	v_bfe_i32 v84, v84, 0, 1
	v_bfe_i32 v83, v59, 20, 1
	v_lshlrev_b16_e32 v84, 8, v84
	v_or_b32_sdwa v104, v83, v84 dst_sel:DWORD dst_unused:UNUSED_PAD src0_sel:BYTE_0 src1_sel:DWORD
	v_lshrrev_b32_e32 v82, 24, v59
	s_waitcnt vmcnt(1)
	v_xor_b32_e32 v63, v63, v70
	v_and_b32_e32 v70, 0xffffff00, v63
	v_sub_i16 v68, v70, v68 clamp
	v_lshlrev_b16_e32 v70, 8, v63
	v_and_b32_e32 v68, 0xffffff00, v68
	v_sub_i16 v66, v70, v66 clamp
	v_or_b32_sdwa v66, v66, v68 dst_sel:DWORD dst_unused:UNUSED_PAD src0_sel:BYTE_1 src1_sel:DWORD
	v_and_b32_sdwa v68, v63, s30 dst_sel:DWORD dst_unused:UNUSED_PAD src0_sel:WORD_1 src1_sel:DWORD
	v_sub_i16 v68, v68, v69 clamp
	v_lshlrev_b16_sdwa v63, v52, v63 dst_sel:DWORD dst_unused:UNUSED_PAD src0_sel:DWORD src1_sel:WORD_1
	v_and_b32_e32 v68, 0xffffff00, v68
	v_sub_i16 v63, v63, v65 clamp
	s_waitcnt vmcnt(0)
	v_xor_b32_e32 v11, v11, v74
	v_or_b32_sdwa v63, v63, v68 dst_sel:WORD_1 dst_unused:UNUSED_PAD src0_sel:BYTE_1 src1_sel:DWORD
	v_and_b32_e32 v65, 0xffffff00, v11
	v_or_b32_sdwa v63, v66, v63 dst_sel:DWORD dst_unused:UNUSED_PAD src0_sel:WORD_0 src1_sel:DWORD
	v_sub_i16 v65, v65, v73 clamp
	v_lshlrev_b16_e32 v66, 8, v11
	v_lshlrev_b16_e32 v68, 8, v72
	v_and_b32_e32 v65, 0xffffff00, v65
	v_sub_i16 v66, v66, v68 clamp
	v_or_b32_sdwa v65, v66, v65 dst_sel:DWORD dst_unused:UNUSED_PAD src0_sel:BYTE_1 src1_sel:DWORD
	v_and_b32_sdwa v66, v11, s30 dst_sel:DWORD dst_unused:UNUSED_PAD src0_sel:WORD_1 src1_sel:DWORD
	v_sub_i16 v64, v66, v64 clamp
	v_lshlrev_b16_sdwa v11, v52, v11 dst_sel:DWORD dst_unused:UNUSED_PAD src0_sel:DWORD src1_sel:WORD_1
	v_lshlrev_b16_e32 v66, 8, v71
	v_and_b32_e32 v64, 0xffffff00, v64
	v_sub_i16 v11, v11, v66 clamp
	v_or_b32_sdwa v11, v11, v64 dst_sel:WORD_1 dst_unused:UNUSED_PAD src0_sel:BYTE_1 src1_sel:DWORD
	s_nop 0
	v_or_b32_sdwa v64, v65, v11 dst_sel:DWORD dst_unused:UNUSED_PAD src0_sel:WORD_0 src1_sel:DWORD
	v_mov_b32_e32 v11, 0
	v_dot4c_i32_i8_e32 v11, v63, v5
	v_lshlrev_b32_e32 v5, 6, v49
	v_and_b32_e32 v65, 0x100, v5
	v_and_or_b32 v5, v34, s23, v65
	v_lshlrev_b32_e32 v5, 2, v5
	global_load_dword v5, v5, s[20:21]
	v_dot4c_i32_i8_e32 v11, v64, v6
	v_lshlrev_b32_e32 v6, 5, v49
	v_and_b32_e32 v66, 0x100, v6
	v_or_b32_sdwa v6, v66, v61 dst_sel:DWORD dst_unused:UNUSED_PAD src0_sel:DWORD src1_sel:BYTE_3
	v_lshlrev_b32_e32 v6, 2, v6
	global_load_dword v6, v6, s[20:21]
	v_lshrrev_b16_e32 v34, 8, v67
	v_lshlrev_b32_e32 v68, 5, v34
	v_lshrrev_b16_e32 v68, 7, v68
	v_lshlrev_b16_e32 v67, 7, v67
	v_bfe_i32 v74, v68, 0, 1
	v_bfe_u32 v68, v34, 3, 1
	v_ashrrev_i16_e32 v73, 15, v67
	v_lshrrev_b32_e32 v67, 1, v34
	v_cmp_ne_u16_e32 vcc, 0, v68
	v_bfe_i32 v67, v67, 0, 1
	v_lshlrev_b16_e32 v69, 8, v67
	v_cndmask_b32_e64 v68, 0, -1, vcc
	v_lshlrev_b16_e32 v67, 8, v68
	v_or_b32_sdwa v70, v73, v69 dst_sel:DWORD dst_unused:UNUSED_PAD src0_sel:BYTE_0 src1_sel:DWORD
	v_or_b32_sdwa v68, v74, v67 dst_sel:WORD_1 dst_unused:UNUSED_PAD src0_sel:BYTE_0 src1_sel:DWORD
	v_bfe_i32 v75, v34, 4, 1
	v_or_b32_sdwa v71, v70, v68 dst_sel:DWORD dst_unused:UNUSED_PAD src0_sel:WORD_0 src1_sel:DWORD
	v_lshlrev_b32_e32 v68, 1, v34
	v_lshrrev_b32_e32 v70, 5, v34
	v_lshrrev_b32_e32 v34, 7, v34
	v_cmp_ne_u16_e32 vcc, 0, v34
	v_bfe_i32 v70, v70, 0, 1
	v_lshrrev_b16_e32 v68, 7, v68
	v_cndmask_b32_e64 v34, 0, -1, vcc
	v_bfe_i32 v76, v68, 0, 1
	v_lshlrev_b16_e32 v70, 8, v70
	v_lshlrev_b16_e32 v68, 8, v34
	v_or_b32_sdwa v72, v75, v70 dst_sel:DWORD dst_unused:UNUSED_PAD src0_sel:BYTE_0 src1_sel:DWORD
	v_or_b32_sdwa v34, v76, v68 dst_sel:WORD_1 dst_unused:UNUSED_PAD src0_sel:BYTE_0 src1_sel:DWORD
	v_lshlrev_b16_e32 v73, 8, v73
	v_or_b32_sdwa v72, v72, v34 dst_sel:DWORD dst_unused:UNUSED_PAD src0_sel:WORD_0 src1_sel:DWORD
	v_lshlrev_b16_e32 v74, 8, v74
	v_lshlrev_b16_e32 v75, 8, v75
	;; [unrolled: 1-line block ×3, first 2 shown]
	s_waitcnt vmcnt(1)
	v_xor_b32_e32 v5, v5, v71
	v_and_b32_e32 v34, 0xffffff00, v5
	v_sub_i16 v34, v34, v69 clamp
	v_lshlrev_b16_e32 v77, 8, v5
	v_and_b32_e32 v34, 0xffffff00, v34
	v_sub_i16 v77, v77, v73 clamp
	v_or_b32_sdwa v34, v77, v34 dst_sel:DWORD dst_unused:UNUSED_PAD src0_sel:BYTE_1 src1_sel:DWORD
	v_and_b32_sdwa v77, v5, s30 dst_sel:DWORD dst_unused:UNUSED_PAD src0_sel:WORD_1 src1_sel:DWORD
	v_sub_i16 v77, v77, v67 clamp
	v_lshlrev_b16_sdwa v5, v52, v5 dst_sel:DWORD dst_unused:UNUSED_PAD src0_sel:DWORD src1_sel:WORD_1
	v_and_b32_e32 v77, 0xffffff00, v77
	v_sub_i16 v5, v5, v74 clamp
	v_or_b32_sdwa v5, v5, v77 dst_sel:WORD_1 dst_unused:UNUSED_PAD src0_sel:BYTE_1 src1_sel:DWORD
	s_waitcnt vmcnt(0)
	v_xor_b32_e32 v6, v6, v72
	v_or_b32_sdwa v5, v34, v5 dst_sel:DWORD dst_unused:UNUSED_PAD src0_sel:WORD_0 src1_sel:DWORD
	v_and_b32_e32 v34, 0xffffff00, v6
	v_sub_i16 v34, v34, v70 clamp
	v_lshlrev_b16_e32 v77, 8, v6
	v_and_b32_e32 v34, 0xffffff00, v34
	v_sub_i16 v77, v77, v75 clamp
	v_or_b32_sdwa v34, v77, v34 dst_sel:DWORD dst_unused:UNUSED_PAD src0_sel:BYTE_1 src1_sel:DWORD
	v_and_b32_sdwa v77, v6, s30 dst_sel:DWORD dst_unused:UNUSED_PAD src0_sel:WORD_1 src1_sel:DWORD
	v_sub_i16 v77, v77, v68 clamp
	v_lshlrev_b16_sdwa v6, v52, v6 dst_sel:DWORD dst_unused:UNUSED_PAD src0_sel:DWORD src1_sel:WORD_1
	v_and_b32_e32 v77, 0xffffff00, v77
	v_sub_i16 v6, v6, v76 clamp
	v_or_b32_sdwa v6, v6, v77 dst_sel:WORD_1 dst_unused:UNUSED_PAD src0_sel:BYTE_1 src1_sel:DWORD
	v_dot4c_i32_i8_e32 v11, v5, v7
	v_or_b32_sdwa v6, v34, v6 dst_sel:DWORD dst_unused:UNUSED_PAD src0_sel:WORD_0 src1_sel:DWORD
	v_dot4c_i32_i8_e32 v11, v6, v0
	v_lshlrev_b32_e32 v0, 4, v49
	v_and_b32_e32 v77, 0x100, v0
	v_and_or_b32 v0, v35, s23, v77
	v_lshlrev_b32_e32 v0, 2, v0
	global_load_dword v0, v0, s[20:21]
	v_lshlrev_b32_e32 v5, 3, v49
	v_and_b32_e32 v78, 0x100, v5
	v_or_b32_sdwa v5, v78, v60 dst_sel:DWORD dst_unused:UNUSED_PAD src0_sel:DWORD src1_sel:BYTE_3
	v_lshlrev_b32_e32 v5, 2, v5
	global_load_dword v5, v5, s[20:21]
	v_bfe_u32 v35, v59, 19, 1
	v_lshlrev_b32_sdwa v6, v53, v59 dst_sel:DWORD dst_unused:UNUSED_PAD src0_sel:DWORD src1_sel:BYTE_2
	v_bfe_u32 v34, v81, 1, 7
	v_cmp_ne_u16_e32 vcc, 0, v35
	v_and_b32_e32 v7, 1, v81
	v_bfe_i32 v34, v34, 0, 1
	v_lshrrev_b16_e32 v6, 7, v6
	v_cndmask_b32_e64 v35, 0, -1, vcc
	v_sub_u16_e32 v7, 0, v7
	v_bfe_i32 v6, v6, 0, 1
	v_lshlrev_b16_e32 v34, 8, v34
	v_lshlrev_b16_e32 v35, 8, v35
	v_or_b32_sdwa v79, v7, v34 dst_sel:DWORD dst_unused:UNUSED_PAD src0_sel:BYTE_0 src1_sel:DWORD
	v_or_b32_sdwa v80, v6, v35 dst_sel:WORD_1 dst_unused:UNUSED_PAD src0_sel:BYTE_0 src1_sel:DWORD
	v_lshlrev_b16_e32 v7, 8, v7
	v_or_b32_sdwa v79, v79, v80 dst_sel:DWORD dst_unused:UNUSED_PAD src0_sel:WORD_0 src1_sel:DWORD
	v_lshlrev_b16_e32 v6, 8, v6
	v_lshlrev_b32_sdwa v80, v54, v59 dst_sel:DWORD dst_unused:UNUSED_PAD src0_sel:DWORD src1_sel:BYTE_2
	v_cmp_ne_u16_e32 vcc, 0, v103
	v_lshrrev_b16_e32 v80, 7, v80
	v_bfe_i32 v80, v80, 0, 1
	v_cndmask_b32_e64 v103, 0, -1, vcc
	v_lshlrev_b16_e32 v103, 8, v103
	v_or_b32_sdwa v105, v80, v103 dst_sel:WORD_1 dst_unused:UNUSED_PAD src0_sel:BYTE_0 src1_sel:DWORD
	s_waitcnt vmcnt(1)
	v_xor_b32_e32 v0, v0, v79
	v_and_b32_e32 v79, 0xffffff00, v0
	v_sub_i16 v34, v79, v34 clamp
	v_lshlrev_b16_e32 v79, 8, v0
	v_and_b32_e32 v34, 0xffffff00, v34
	v_sub_i16 v7, v79, v7 clamp
	v_or_b32_sdwa v7, v7, v34 dst_sel:DWORD dst_unused:UNUSED_PAD src0_sel:BYTE_1 src1_sel:DWORD
	v_and_b32_sdwa v34, v0, s30 dst_sel:DWORD dst_unused:UNUSED_PAD src0_sel:WORD_1 src1_sel:DWORD
	v_sub_i16 v34, v34, v35 clamp
	v_lshlrev_b16_sdwa v0, v52, v0 dst_sel:DWORD dst_unused:UNUSED_PAD src0_sel:DWORD src1_sel:WORD_1
	v_and_b32_e32 v34, 0xffffff00, v34
	v_sub_i16 v0, v0, v6 clamp
	v_or_b32_sdwa v0, v0, v34 dst_sel:WORD_1 dst_unused:UNUSED_PAD src0_sel:BYTE_1 src1_sel:DWORD
	v_or_b32_sdwa v104, v104, v105 dst_sel:DWORD dst_unused:UNUSED_PAD src0_sel:WORD_0 src1_sel:DWORD
	v_or_b32_sdwa v0, v7, v0 dst_sel:DWORD dst_unused:UNUSED_PAD src0_sel:WORD_0 src1_sel:DWORD
	v_dot4c_i32_i8_e32 v11, v0, v1
	v_lshlrev_b32_e32 v0, 2, v49
	v_and_b32_e32 v79, 0x100, v0
	v_and_or_b32 v0, v48, s23, v79
	v_lshlrev_b32_e32 v0, 2, v0
	global_load_dword v0, v0, s[20:21]
	s_waitcnt vmcnt(1)
	v_xor_b32_e32 v5, v5, v104
	v_lshlrev_b16_e32 v7, 8, v5
	v_lshlrev_b16_e32 v34, 8, v83
	v_lshlrev_b32_e32 v1, 1, v49
	v_sub_i16 v7, v7, v34 clamp
	v_lshlrev_b16_e32 v34, 8, v80
	v_and_b32_e32 v80, 0x100, v1
	v_or_b32_sdwa v1, v80, v58 dst_sel:DWORD dst_unused:UNUSED_PAD src0_sel:DWORD src1_sel:BYTE_3
	v_lshlrev_b32_e32 v1, 2, v1
	global_load_dword v1, v1, s[20:21]
	v_and_b32_e32 v6, 0xffffff00, v5
	v_sub_i16 v6, v6, v84 clamp
	v_and_b32_e32 v6, 0xffffff00, v6
	v_or_b32_sdwa v6, v7, v6 dst_sel:DWORD dst_unused:UNUSED_PAD src0_sel:BYTE_1 src1_sel:DWORD
	v_and_b32_sdwa v7, v5, s30 dst_sel:DWORD dst_unused:UNUSED_PAD src0_sel:WORD_1 src1_sel:DWORD
	v_sub_i16 v7, v7, v103 clamp
	v_lshlrev_b16_sdwa v5, v52, v5 dst_sel:DWORD dst_unused:UNUSED_PAD src0_sel:DWORD src1_sel:WORD_1
	v_and_b32_e32 v7, 0xffffff00, v7
	v_sub_i16 v5, v5, v34 clamp
	v_or_b32_sdwa v5, v5, v7 dst_sel:WORD_1 dst_unused:UNUSED_PAD src0_sel:BYTE_1 src1_sel:DWORD
	v_bfe_u32 v7, v59, 27, 1
	v_or_b32_sdwa v5, v6, v5 dst_sel:DWORD dst_unused:UNUSED_PAD src0_sel:WORD_0 src1_sel:DWORD
	v_dot4c_i32_i8_e32 v11, v5, v2
	v_lshlrev_b32_e32 v2, 5, v82
	v_lshrrev_b32_e32 v6, 25, v59
	v_cmp_ne_u16_e32 vcc, 0, v7
	v_lshlrev_b16_e32 v5, 7, v81
	v_bfe_i32 v6, v6, 0, 1
	v_lshrrev_b16_e32 v2, 7, v2
	v_cndmask_b32_e64 v7, 0, -1, vcc
	v_ashrrev_i16_e32 v5, 15, v5
	v_bfe_i32 v2, v2, 0, 1
	v_lshlrev_b16_e32 v6, 8, v6
	v_lshlrev_b16_e32 v7, 8, v7
	v_or_b32_sdwa v34, v5, v6 dst_sel:DWORD dst_unused:UNUSED_PAD src0_sel:BYTE_0 src1_sel:DWORD
	v_or_b32_sdwa v35, v2, v7 dst_sel:WORD_1 dst_unused:UNUSED_PAD src0_sel:BYTE_0 src1_sel:DWORD
	v_lshrrev_b32_e32 v81, 31, v59
	v_or_b32_sdwa v34, v34, v35 dst_sel:DWORD dst_unused:UNUSED_PAD src0_sel:WORD_0 src1_sel:DWORD
	v_lshlrev_b32_e32 v35, 1, v82
	v_lshrrev_b32_e32 v49, 29, v59
	v_cmp_ne_u16_e32 vcc, 0, v81
	v_bfe_i32 v49, v49, 0, 1
	v_lshrrev_b16_e32 v35, 7, v35
	v_cndmask_b32_e64 v81, 0, -1, vcc
	v_lshlrev_b16_e32 v5, 8, v5
	v_bfe_i32 v48, v82, 4, 1
	v_bfe_i32 v35, v35, 0, 1
	v_lshlrev_b16_e32 v49, 8, v49
	v_lshlrev_b16_e32 v81, 8, v81
	v_or_b32_sdwa v82, v48, v49 dst_sel:DWORD dst_unused:UNUSED_PAD src0_sel:BYTE_0 src1_sel:DWORD
	v_or_b32_sdwa v83, v35, v81 dst_sel:WORD_1 dst_unused:UNUSED_PAD src0_sel:BYTE_0 src1_sel:DWORD
	v_lshlrev_b16_e32 v2, 8, v2
	v_or_b32_sdwa v82, v82, v83 dst_sel:DWORD dst_unused:UNUSED_PAD src0_sel:WORD_0 src1_sel:DWORD
	v_mov_b32_e32 v84, 0
	s_waitcnt vmcnt(1)
	v_xor_b32_e32 v0, v0, v34
	v_and_b32_e32 v34, 0xffffff00, v0
	v_sub_i16 v6, v34, v6 clamp
	v_lshlrev_b16_e32 v34, 8, v0
	v_and_b32_e32 v6, 0xffffff00, v6
	v_sub_i16 v5, v34, v5 clamp
	v_or_b32_sdwa v5, v5, v6 dst_sel:DWORD dst_unused:UNUSED_PAD src0_sel:BYTE_1 src1_sel:DWORD
	v_and_b32_sdwa v6, v0, s30 dst_sel:DWORD dst_unused:UNUSED_PAD src0_sel:WORD_1 src1_sel:DWORD
	v_sub_i16 v6, v6, v7 clamp
	v_lshlrev_b16_sdwa v0, v52, v0 dst_sel:DWORD dst_unused:UNUSED_PAD src0_sel:DWORD src1_sel:WORD_1
	v_and_b32_e32 v6, 0xffffff00, v6
	v_sub_i16 v0, v0, v2 clamp
	s_waitcnt vmcnt(0)
	v_xor_b32_e32 v1, v1, v82
	v_or_b32_sdwa v0, v0, v6 dst_sel:WORD_1 dst_unused:UNUSED_PAD src0_sel:BYTE_1 src1_sel:DWORD
	v_and_b32_e32 v2, 0xffffff00, v1
	v_or_b32_sdwa v0, v5, v0 dst_sel:DWORD dst_unused:UNUSED_PAD src0_sel:WORD_0 src1_sel:DWORD
	v_sub_i16 v2, v2, v49 clamp
	v_lshlrev_b16_e32 v5, 8, v1
	v_lshlrev_b16_e32 v6, 8, v48
	v_and_b32_e32 v2, 0xffffff00, v2
	v_sub_i16 v5, v5, v6 clamp
	v_or_b32_sdwa v2, v5, v2 dst_sel:DWORD dst_unused:UNUSED_PAD src0_sel:BYTE_1 src1_sel:DWORD
	v_and_b32_sdwa v5, v1, s30 dst_sel:DWORD dst_unused:UNUSED_PAD src0_sel:WORD_1 src1_sel:DWORD
	v_sub_i16 v5, v5, v81 clamp
	v_lshlrev_b16_sdwa v1, v52, v1 dst_sel:DWORD dst_unused:UNUSED_PAD src0_sel:DWORD src1_sel:WORD_1
	v_lshlrev_b16_e32 v6, 8, v35
	v_and_b32_e32 v5, 0xffffff00, v5
	v_sub_i16 v1, v1, v6 clamp
	v_or_b32_sdwa v1, v1, v5 dst_sel:WORD_1 dst_unused:UNUSED_PAD src0_sel:BYTE_1 src1_sel:DWORD
	v_dot4c_i32_i8_e32 v11, v0, v3
	v_or_b32_sdwa v1, v2, v1 dst_sel:DWORD dst_unused:UNUSED_PAD src0_sel:WORD_0 src1_sel:DWORD
	v_dot4c_i32_i8_e32 v11, v1, v8
	v_lshl_add_u64 v[34:35], v[32:33], 0, v[16:17]
	global_load_ushort v0, v[32:33], off
	global_load_ubyte v1, v[28:29], off offset:106
	global_load_ubyte v2, v[34:35], off offset:106
	v_cvt_f32_f16_e32 v48, v10
	s_waitcnt vmcnt(2)
	v_cvt_f32_f16_e32 v49, v0
	s_waitcnt vmcnt(1)
	v_lshrrev_b32_e32 v1, v18, v1
	s_waitcnt vmcnt(0)
	v_lshrrev_b32_e32 v2, v13, v2
	v_lshlrev_b32_e32 v1, 1, v1
	v_lshlrev_b32_e32 v2, 1, v2
	v_and_or_b32 v81, v2, 30, 1
	v_and_or_b32 v82, v1, 30, 1
	v_mul_lo_u32 v1, v9, v82
	v_mul_lo_u32 v2, v11, v81
	v_cvt_f32_i32_e32 v7, v2
	v_cvt_f32_i32_e32 v6, v1
	scratch_load_dwordx4 v[0:3], off, off
	v_pk_mul_f32 v[4:5], v[4:5], v[48:49] op_sel_hi:[0,1]
	s_waitcnt vmcnt(0)
	v_pk_fma_f32 v[0:1], v[4:5], v[6:7], v[0:1]
	v_add_u32_e32 v4, s9, v51
	v_mad_u64_u32 v[4:5], s[34:35], v4, 36, s[24:25]
	v_mad_u64_u32 v[104:105], s[34:35], v14, 36, v[4:5]
	global_load_dword v83, v[104:105], off offset:32
	global_load_dwordx4 v[4:7], v[104:105], off offset:16
	global_load_dwordx4 v[8:11], v[104:105], off
	global_load_ushort v103, v[36:37], off offset:4
	s_nop 0
	global_load_ushort v104, v[36:37], off offset:6
	global_load_ushort v105, v[36:37], off offset:8
	global_load_ushort v106, v[40:41], off offset:76
	s_waitcnt vmcnt(4)
	v_dot4c_i32_i8_e32 v84, v85, v9
	s_waitcnt vmcnt(3)
	v_and_b32_sdwa v85, s28, v103 dst_sel:DWORD dst_unused:UNUSED_PAD src0_sel:DWORD src1_sel:BYTE_0
	v_or_b32_e32 v85, v87, v85
	v_lshlrev_b32_e32 v85, 2, v85
	global_load_dword v85, v85, s[20:21]
	v_dot4c_i32_i8_e32 v84, v86, v10
	v_or_b32_sdwa v86, v88, v103 dst_sel:DWORD dst_unused:UNUSED_PAD src0_sel:DWORD src1_sel:BYTE_1
	v_lshlrev_b32_e32 v86, 2, v86
	global_load_dword v86, v86, s[20:21]
	v_cvt_f32_f16_e32 v8, v8
	s_waitcnt vmcnt(1)
	v_xor_b32_e32 v85, v85, v93
	v_and_b32_e32 v87, 0xffffff00, v85
	v_sub_i16 v87, v87, v91 clamp
	v_lshlrev_b16_e32 v88, 8, v85
	v_and_b32_e32 v87, 0xffffff00, v87
	v_sub_i16 v88, v88, v95 clamp
	v_or_b32_sdwa v87, v88, v87 dst_sel:DWORD dst_unused:UNUSED_PAD src0_sel:BYTE_1 src1_sel:DWORD
	v_and_b32_sdwa v88, v85, s30 dst_sel:DWORD dst_unused:UNUSED_PAD src0_sel:WORD_1 src1_sel:DWORD
	v_sub_i16 v88, v88, v89 clamp
	v_lshlrev_b16_sdwa v85, v52, v85 dst_sel:DWORD dst_unused:UNUSED_PAD src0_sel:DWORD src1_sel:WORD_1
	v_and_b32_e32 v88, 0xffffff00, v88
	v_sub_i16 v85, v85, v96 clamp
	v_or_b32_sdwa v85, v85, v88 dst_sel:WORD_1 dst_unused:UNUSED_PAD src0_sel:BYTE_1 src1_sel:DWORD
	s_waitcnt vmcnt(0)
	v_xor_b32_e32 v86, v86, v94
	v_or_b32_sdwa v85, v87, v85 dst_sel:DWORD dst_unused:UNUSED_PAD src0_sel:WORD_0 src1_sel:DWORD
	v_and_b32_e32 v87, 0xffffff00, v86
	v_dot4c_i32_i8_e32 v84, v85, v11
	v_and_b32_sdwa v85, s28, v104 dst_sel:DWORD dst_unused:UNUSED_PAD src0_sel:DWORD src1_sel:BYTE_0
	v_sub_i16 v87, v87, v92 clamp
	v_lshlrev_b16_e32 v88, 8, v86
	v_or_b32_e32 v85, v99, v85
	v_and_b32_e32 v87, 0xffffff00, v87
	v_sub_i16 v88, v88, v97 clamp
	v_lshlrev_b32_e32 v85, 2, v85
	v_or_b32_sdwa v87, v88, v87 dst_sel:DWORD dst_unused:UNUSED_PAD src0_sel:BYTE_1 src1_sel:DWORD
	v_and_b32_sdwa v88, v86, s30 dst_sel:DWORD dst_unused:UNUSED_PAD src0_sel:WORD_1 src1_sel:DWORD
	global_load_dword v85, v85, s[20:21]
	v_sub_i16 v88, v88, v90 clamp
	v_lshlrev_b16_sdwa v86, v52, v86 dst_sel:DWORD dst_unused:UNUSED_PAD src0_sel:DWORD src1_sel:WORD_1
	v_and_b32_e32 v88, 0xffffff00, v88
	v_sub_i16 v86, v86, v98 clamp
	v_or_b32_sdwa v86, v86, v88 dst_sel:WORD_1 dst_unused:UNUSED_PAD src0_sel:BYTE_1 src1_sel:DWORD
	v_and_b32_e32 v89, 1, v106
	v_or_b32_sdwa v86, v87, v86 dst_sel:DWORD dst_unused:UNUSED_PAD src0_sel:WORD_0 src1_sel:DWORD
	v_dot4c_i32_i8_e32 v84, v86, v4
	v_or_b32_sdwa v86, v100, v104 dst_sel:DWORD dst_unused:UNUSED_PAD src0_sel:DWORD src1_sel:BYTE_1
	v_lshlrev_b32_e32 v86, 2, v86
	global_load_dword v86, v86, s[20:21]
	v_and_b32_sdwa v87, s28, v106 dst_sel:DWORD dst_unused:UNUSED_PAD src0_sel:DWORD src1_sel:BYTE_0
	v_bfe_u32 v91, v87, 3, 1
	v_lshlrev_b32_e32 v88, 5, v87
	v_lshrrev_b32_e32 v90, 1, v87
	v_cmp_ne_u16_e32 vcc, 0, v91
	v_bfe_i32 v90, v90, 0, 1
	v_lshrrev_b16_e32 v88, 7, v88
	v_cndmask_b32_e64 v91, 0, -1, vcc
	v_sub_u16_e32 v89, 0, v89
	v_bfe_i32 v88, v88, 0, 1
	v_lshlrev_b16_e32 v90, 8, v90
	v_lshlrev_b16_e32 v91, 8, v91
	v_or_b32_sdwa v92, v89, v90 dst_sel:DWORD dst_unused:UNUSED_PAD src0_sel:BYTE_0 src1_sel:DWORD
	v_or_b32_sdwa v93, v88, v91 dst_sel:WORD_1 dst_unused:UNUSED_PAD src0_sel:BYTE_0 src1_sel:DWORD
	v_bfe_i32 v94, v87, 4, 1
	v_or_b32_sdwa v92, v92, v93 dst_sel:DWORD dst_unused:UNUSED_PAD src0_sel:WORD_0 src1_sel:DWORD
	v_lshlrev_b32_e32 v93, 1, v87
	v_lshrrev_b32_e32 v95, 5, v87
	v_lshrrev_b32_e32 v87, 7, v87
	v_cmp_ne_u16_e32 vcc, 0, v87
	v_lshlrev_b16_e32 v89, 8, v89
	v_bfe_i32 v95, v95, 0, 1
	v_lshrrev_b16_e32 v93, 7, v93
	v_cndmask_b32_e64 v87, 0, -1, vcc
	v_bfe_i32 v93, v93, 0, 1
	v_lshlrev_b16_e32 v95, 8, v95
	v_lshlrev_b16_e32 v87, 8, v87
	v_or_b32_sdwa v96, v94, v95 dst_sel:DWORD dst_unused:UNUSED_PAD src0_sel:BYTE_0 src1_sel:DWORD
	v_or_b32_sdwa v97, v93, v87 dst_sel:WORD_1 dst_unused:UNUSED_PAD src0_sel:BYTE_0 src1_sel:DWORD
	v_lshlrev_b16_e32 v88, 8, v88
	v_or_b32_sdwa v96, v96, v97 dst_sel:DWORD dst_unused:UNUSED_PAD src0_sel:WORD_0 src1_sel:DWORD
	s_waitcnt vmcnt(1)
	v_xor_b32_e32 v85, v85, v92
	v_and_b32_e32 v92, 0xffffff00, v85
	v_sub_i16 v90, v92, v90 clamp
	v_lshlrev_b16_e32 v92, 8, v85
	v_and_b32_e32 v90, 0xffffff00, v90
	v_sub_i16 v89, v92, v89 clamp
	v_or_b32_sdwa v89, v89, v90 dst_sel:DWORD dst_unused:UNUSED_PAD src0_sel:BYTE_1 src1_sel:DWORD
	v_and_b32_sdwa v90, v85, s30 dst_sel:DWORD dst_unused:UNUSED_PAD src0_sel:WORD_1 src1_sel:DWORD
	v_sub_i16 v90, v90, v91 clamp
	v_lshlrev_b16_sdwa v85, v52, v85 dst_sel:DWORD dst_unused:UNUSED_PAD src0_sel:DWORD src1_sel:WORD_1
	v_and_b32_e32 v90, 0xffffff00, v90
	v_sub_i16 v85, v85, v88 clamp
	v_or_b32_sdwa v85, v85, v90 dst_sel:WORD_1 dst_unused:UNUSED_PAD src0_sel:BYTE_1 src1_sel:DWORD
	s_waitcnt vmcnt(0)
	v_xor_b32_e32 v86, v86, v96
	v_or_b32_sdwa v85, v89, v85 dst_sel:DWORD dst_unused:UNUSED_PAD src0_sel:WORD_0 src1_sel:DWORD
	v_and_b32_e32 v88, 0xffffff00, v86
	v_sub_i16 v88, v88, v95 clamp
	v_lshlrev_b16_e32 v89, 8, v86
	v_lshlrev_b16_e32 v90, 8, v94
	v_dot4c_i32_i8_e32 v84, v85, v5
	v_and_b32_sdwa v85, s28, v105 dst_sel:DWORD dst_unused:UNUSED_PAD src0_sel:DWORD src1_sel:BYTE_0
	v_and_b32_e32 v88, 0xffffff00, v88
	v_sub_i16 v89, v89, v90 clamp
	v_or_b32_e32 v85, v101, v85
	v_or_b32_sdwa v88, v89, v88 dst_sel:DWORD dst_unused:UNUSED_PAD src0_sel:BYTE_1 src1_sel:DWORD
	v_and_b32_sdwa v89, v86, s30 dst_sel:DWORD dst_unused:UNUSED_PAD src0_sel:WORD_1 src1_sel:DWORD
	v_lshlrev_b32_e32 v85, 2, v85
	v_sub_i16 v87, v89, v87 clamp
	v_lshlrev_b16_sdwa v86, v52, v86 dst_sel:DWORD dst_unused:UNUSED_PAD src0_sel:DWORD src1_sel:WORD_1
	v_lshlrev_b16_e32 v89, 8, v93
	global_load_dword v85, v85, s[20:21]
	v_and_b32_e32 v87, 0xffffff00, v87
	v_sub_i16 v86, v86, v89 clamp
	v_or_b32_sdwa v86, v86, v87 dst_sel:WORD_1 dst_unused:UNUSED_PAD src0_sel:BYTE_1 src1_sel:DWORD
	v_lshrrev_b16_e32 v87, 8, v106
	v_or_b32_sdwa v86, v88, v86 dst_sel:DWORD dst_unused:UNUSED_PAD src0_sel:WORD_0 src1_sel:DWORD
	v_dot4c_i32_i8_e32 v84, v86, v6
	v_or_b32_sdwa v86, v102, v105 dst_sel:DWORD dst_unused:UNUSED_PAD src0_sel:DWORD src1_sel:BYTE_1
	v_lshlrev_b32_e32 v86, 2, v86
	global_load_dword v86, v86, s[20:21]
	v_bfe_u32 v91, v87, 3, 1
	v_lshlrev_b32_e32 v88, 5, v87
	v_lshrrev_b32_e32 v90, 1, v87
	v_cmp_ne_u16_e32 vcc, 0, v91
	v_lshlrev_b16_e32 v89, 7, v106
	v_bfe_i32 v90, v90, 0, 1
	v_lshrrev_b16_e32 v88, 7, v88
	v_cndmask_b32_e64 v91, 0, -1, vcc
	v_ashrrev_i16_e32 v89, 15, v89
	v_bfe_i32 v88, v88, 0, 1
	v_lshlrev_b16_e32 v90, 8, v90
	v_lshlrev_b16_e32 v91, 8, v91
	v_or_b32_sdwa v92, v89, v90 dst_sel:DWORD dst_unused:UNUSED_PAD src0_sel:BYTE_0 src1_sel:DWORD
	v_or_b32_sdwa v93, v88, v91 dst_sel:WORD_1 dst_unused:UNUSED_PAD src0_sel:BYTE_0 src1_sel:DWORD
	v_bfe_i32 v94, v87, 4, 1
	v_or_b32_sdwa v92, v92, v93 dst_sel:DWORD dst_unused:UNUSED_PAD src0_sel:WORD_0 src1_sel:DWORD
	v_lshlrev_b32_e32 v93, 1, v87
	v_lshrrev_b32_e32 v95, 5, v87
	v_lshrrev_b32_e32 v87, 7, v87
	v_cmp_ne_u16_e32 vcc, 0, v87
	v_bfe_i32 v95, v95, 0, 1
	v_lshrrev_b16_e32 v93, 7, v93
	v_cndmask_b32_e64 v87, 0, -1, vcc
	v_lshlrev_b16_e32 v89, 8, v89
	v_bfe_i32 v93, v93, 0, 1
	v_lshlrev_b16_e32 v95, 8, v95
	v_lshlrev_b16_e32 v87, 8, v87
	v_or_b32_sdwa v96, v94, v95 dst_sel:DWORD dst_unused:UNUSED_PAD src0_sel:BYTE_0 src1_sel:DWORD
	v_or_b32_sdwa v97, v93, v87 dst_sel:WORD_1 dst_unused:UNUSED_PAD src0_sel:BYTE_0 src1_sel:DWORD
	v_lshlrev_b16_e32 v88, 8, v88
	v_or_b32_sdwa v96, v96, v97 dst_sel:DWORD dst_unused:UNUSED_PAD src0_sel:WORD_0 src1_sel:DWORD
	s_waitcnt vmcnt(1)
	v_xor_b32_e32 v85, v85, v92
	v_and_b32_e32 v92, 0xffffff00, v85
	v_sub_i16 v90, v92, v90 clamp
	v_lshlrev_b16_e32 v92, 8, v85
	v_and_b32_e32 v90, 0xffffff00, v90
	v_sub_i16 v89, v92, v89 clamp
	v_or_b32_sdwa v89, v89, v90 dst_sel:DWORD dst_unused:UNUSED_PAD src0_sel:BYTE_1 src1_sel:DWORD
	v_and_b32_sdwa v90, v85, s30 dst_sel:DWORD dst_unused:UNUSED_PAD src0_sel:WORD_1 src1_sel:DWORD
	v_sub_i16 v90, v90, v91 clamp
	v_lshlrev_b16_sdwa v85, v52, v85 dst_sel:DWORD dst_unused:UNUSED_PAD src0_sel:DWORD src1_sel:WORD_1
	v_and_b32_e32 v90, 0xffffff00, v90
	v_sub_i16 v85, v85, v88 clamp
	s_waitcnt vmcnt(0)
	v_xor_b32_e32 v86, v86, v96
	v_or_b32_sdwa v85, v85, v90 dst_sel:WORD_1 dst_unused:UNUSED_PAD src0_sel:BYTE_1 src1_sel:DWORD
	v_and_b32_e32 v88, 0xffffff00, v86
	v_or_b32_sdwa v85, v89, v85 dst_sel:DWORD dst_unused:UNUSED_PAD src0_sel:WORD_0 src1_sel:DWORD
	v_sub_i16 v88, v88, v95 clamp
	v_lshlrev_b16_e32 v89, 8, v86
	v_lshlrev_b16_e32 v90, 8, v94
	v_and_b32_e32 v88, 0xffffff00, v88
	v_sub_i16 v89, v89, v90 clamp
	v_or_b32_sdwa v88, v89, v88 dst_sel:DWORD dst_unused:UNUSED_PAD src0_sel:BYTE_1 src1_sel:DWORD
	v_and_b32_sdwa v89, v86, s30 dst_sel:DWORD dst_unused:UNUSED_PAD src0_sel:WORD_1 src1_sel:DWORD
	v_sub_i16 v87, v89, v87 clamp
	v_lshlrev_b16_sdwa v86, v52, v86 dst_sel:DWORD dst_unused:UNUSED_PAD src0_sel:DWORD src1_sel:WORD_1
	v_lshlrev_b16_e32 v89, 8, v93
	v_and_b32_e32 v87, 0xffffff00, v87
	v_sub_i16 v86, v86, v89 clamp
	v_or_b32_sdwa v86, v86, v87 dst_sel:WORD_1 dst_unused:UNUSED_PAD src0_sel:BYTE_1 src1_sel:DWORD
	v_dot4c_i32_i8_e32 v84, v85, v7
	v_or_b32_sdwa v86, v88, v86 dst_sel:DWORD dst_unused:UNUSED_PAD src0_sel:WORD_0 src1_sel:DWORD
	v_dot4c_i32_i8_e32 v84, v86, v83
	global_load_ushort v85, v[42:43], off offset:4
	global_load_ushort v86, v[42:43], off offset:6
	;; [unrolled: 1-line block ×4, first 2 shown]
	v_mov_b32_e32 v89, 0
	v_dot4c_i32_i8_e32 v89, v63, v9
	v_dot4c_i32_i8_e32 v89, v64, v10
	s_waitcnt vmcnt(3)
	v_and_b32_sdwa v9, s28, v85 dst_sel:DWORD dst_unused:UNUSED_PAD src0_sel:DWORD src1_sel:BYTE_0
	v_or_b32_e32 v9, v65, v9
	v_lshlrev_b32_e32 v9, 2, v9
	global_load_dword v9, v9, s[20:21]
	v_or_b32_sdwa v10, v66, v85 dst_sel:DWORD dst_unused:UNUSED_PAD src0_sel:DWORD src1_sel:BYTE_1
	v_lshlrev_b32_e32 v10, 2, v10
	global_load_dword v10, v10, s[20:21]
	s_waitcnt vmcnt(1)
	v_xor_b32_e32 v9, v9, v71
	v_and_b32_e32 v63, 0xffffff00, v9
	v_sub_i16 v63, v63, v69 clamp
	v_lshlrev_b16_e32 v64, 8, v9
	v_and_b32_e32 v63, 0xffffff00, v63
	v_sub_i16 v64, v64, v73 clamp
	v_or_b32_sdwa v63, v64, v63 dst_sel:DWORD dst_unused:UNUSED_PAD src0_sel:BYTE_1 src1_sel:DWORD
	v_and_b32_sdwa v64, v9, s30 dst_sel:DWORD dst_unused:UNUSED_PAD src0_sel:WORD_1 src1_sel:DWORD
	v_sub_i16 v64, v64, v67 clamp
	v_lshlrev_b16_sdwa v9, v52, v9 dst_sel:DWORD dst_unused:UNUSED_PAD src0_sel:DWORD src1_sel:WORD_1
	v_and_b32_e32 v64, 0xffffff00, v64
	v_sub_i16 v9, v9, v74 clamp
	v_or_b32_sdwa v9, v9, v64 dst_sel:WORD_1 dst_unused:UNUSED_PAD src0_sel:BYTE_1 src1_sel:DWORD
	s_waitcnt vmcnt(0)
	v_xor_b32_e32 v10, v10, v72
	v_or_b32_sdwa v9, v63, v9 dst_sel:DWORD dst_unused:UNUSED_PAD src0_sel:WORD_0 src1_sel:DWORD
	v_and_b32_e32 v63, 0xffffff00, v10
	v_sub_i16 v63, v63, v70 clamp
	v_lshlrev_b16_e32 v64, 8, v10
	v_and_b32_e32 v63, 0xffffff00, v63
	v_sub_i16 v64, v64, v75 clamp
	v_or_b32_sdwa v63, v64, v63 dst_sel:DWORD dst_unused:UNUSED_PAD src0_sel:BYTE_1 src1_sel:DWORD
	v_and_b32_sdwa v64, v10, s30 dst_sel:DWORD dst_unused:UNUSED_PAD src0_sel:WORD_1 src1_sel:DWORD
	v_sub_i16 v64, v64, v68 clamp
	v_lshlrev_b16_sdwa v10, v52, v10 dst_sel:DWORD dst_unused:UNUSED_PAD src0_sel:DWORD src1_sel:WORD_1
	v_and_b32_e32 v64, 0xffffff00, v64
	v_sub_i16 v10, v10, v76 clamp
	v_or_b32_sdwa v10, v10, v64 dst_sel:WORD_1 dst_unused:UNUSED_PAD src0_sel:BYTE_1 src1_sel:DWORD
	v_dot4c_i32_i8_e32 v89, v9, v11
	v_or_b32_sdwa v10, v63, v10 dst_sel:DWORD dst_unused:UNUSED_PAD src0_sel:WORD_0 src1_sel:DWORD
	v_dot4c_i32_i8_e32 v89, v10, v4
	v_and_b32_sdwa v4, s28, v86 dst_sel:DWORD dst_unused:UNUSED_PAD src0_sel:DWORD src1_sel:BYTE_0
	v_or_b32_e32 v4, v77, v4
	v_lshlrev_b32_e32 v4, 2, v4
	global_load_dword v4, v4, s[20:21]
	v_and_b32_sdwa v10, s28, v88 dst_sel:DWORD dst_unused:UNUSED_PAD src0_sel:DWORD src1_sel:BYTE_0
	v_or_b32_sdwa v9, v78, v86 dst_sel:DWORD dst_unused:UNUSED_PAD src0_sel:DWORD src1_sel:BYTE_1
	v_bfe_u32 v65, v10, 3, 1
	v_lshlrev_b32_e32 v9, 2, v9
	global_load_dword v9, v9, s[20:21]
	v_lshlrev_b32_e32 v11, 5, v10
	v_lshrrev_b32_e32 v64, 1, v10
	v_cmp_ne_u16_e32 vcc, 0, v65
	v_and_b32_e32 v63, 1, v88
	v_bfe_i32 v64, v64, 0, 1
	v_lshrrev_b16_e32 v11, 7, v11
	v_cndmask_b32_e64 v65, 0, -1, vcc
	v_sub_u16_e32 v63, 0, v63
	v_bfe_i32 v11, v11, 0, 1
	v_lshlrev_b16_e32 v64, 8, v64
	v_lshlrev_b16_e32 v65, 8, v65
	v_or_b32_sdwa v66, v63, v64 dst_sel:DWORD dst_unused:UNUSED_PAD src0_sel:BYTE_0 src1_sel:DWORD
	v_or_b32_sdwa v67, v11, v65 dst_sel:WORD_1 dst_unused:UNUSED_PAD src0_sel:BYTE_0 src1_sel:DWORD
	v_lshlrev_b16_e32 v63, 8, v63
	v_or_b32_sdwa v66, v66, v67 dst_sel:DWORD dst_unused:UNUSED_PAD src0_sel:WORD_0 src1_sel:DWORD
	v_lshlrev_b16_e32 v11, 8, v11
	v_lshlrev_b32_e32 v67, 1, v10
	v_bfe_i32 v68, v10, 4, 1
	v_lshrrev_b32_e32 v69, 5, v10
	v_lshrrev_b32_e32 v10, 7, v10
	v_cmp_ne_u16_e32 vcc, 0, v10
	v_bfe_i32 v69, v69, 0, 1
	v_lshrrev_b16_e32 v67, 7, v67
	v_cndmask_b32_e64 v10, 0, -1, vcc
	v_bfe_i32 v67, v67, 0, 1
	v_lshlrev_b16_e32 v69, 8, v69
	v_lshlrev_b16_e32 v10, 8, v10
	v_or_b32_sdwa v70, v68, v69 dst_sel:DWORD dst_unused:UNUSED_PAD src0_sel:BYTE_0 src1_sel:DWORD
	v_or_b32_sdwa v71, v67, v10 dst_sel:WORD_1 dst_unused:UNUSED_PAD src0_sel:BYTE_0 src1_sel:DWORD
	s_waitcnt vmcnt(1)
	v_xor_b32_e32 v4, v4, v66
	v_and_b32_e32 v66, 0xffffff00, v4
	v_sub_i16 v64, v66, v64 clamp
	v_lshlrev_b16_e32 v66, 8, v4
	v_and_b32_e32 v64, 0xffffff00, v64
	v_sub_i16 v63, v66, v63 clamp
	v_or_b32_sdwa v63, v63, v64 dst_sel:DWORD dst_unused:UNUSED_PAD src0_sel:BYTE_1 src1_sel:DWORD
	v_and_b32_sdwa v64, v4, s30 dst_sel:DWORD dst_unused:UNUSED_PAD src0_sel:WORD_1 src1_sel:DWORD
	v_sub_i16 v64, v64, v65 clamp
	v_lshlrev_b16_sdwa v4, v52, v4 dst_sel:DWORD dst_unused:UNUSED_PAD src0_sel:DWORD src1_sel:WORD_1
	v_and_b32_e32 v64, 0xffffff00, v64
	v_sub_i16 v4, v4, v11 clamp
	v_or_b32_sdwa v4, v4, v64 dst_sel:WORD_1 dst_unused:UNUSED_PAD src0_sel:BYTE_1 src1_sel:DWORD
	v_or_b32_sdwa v70, v70, v71 dst_sel:DWORD dst_unused:UNUSED_PAD src0_sel:WORD_0 src1_sel:DWORD
	v_or_b32_sdwa v4, v63, v4 dst_sel:DWORD dst_unused:UNUSED_PAD src0_sel:WORD_0 src1_sel:DWORD
	v_dot4c_i32_i8_e32 v89, v4, v5
	v_and_b32_sdwa v4, s28, v87 dst_sel:DWORD dst_unused:UNUSED_PAD src0_sel:DWORD src1_sel:BYTE_0
	v_or_b32_e32 v4, v79, v4
	v_lshlrev_b32_e32 v4, 2, v4
	global_load_dword v4, v4, s[20:21]
	v_or_b32_sdwa v5, v80, v87 dst_sel:DWORD dst_unused:UNUSED_PAD src0_sel:DWORD src1_sel:BYTE_1
	v_lshlrev_b32_e32 v5, 2, v5
	global_load_dword v5, v5, s[20:21]
	s_waitcnt vmcnt(2)
	v_xor_b32_e32 v9, v9, v70
	v_and_b32_e32 v11, 0xffffff00, v9
	v_sub_i16 v11, v11, v69 clamp
	v_lshlrev_b16_e32 v63, 8, v9
	v_lshlrev_b16_e32 v64, 8, v68
	v_and_b32_e32 v11, 0xffffff00, v11
	v_sub_i16 v63, v63, v64 clamp
	v_or_b32_sdwa v11, v63, v11 dst_sel:DWORD dst_unused:UNUSED_PAD src0_sel:BYTE_1 src1_sel:DWORD
	v_and_b32_sdwa v63, v9, s30 dst_sel:DWORD dst_unused:UNUSED_PAD src0_sel:WORD_1 src1_sel:DWORD
	v_sub_i16 v10, v63, v10 clamp
	v_lshlrev_b16_sdwa v9, v52, v9 dst_sel:DWORD dst_unused:UNUSED_PAD src0_sel:DWORD src1_sel:WORD_1
	v_lshlrev_b16_e32 v63, 8, v67
	v_and_b32_e32 v10, 0xffffff00, v10
	v_sub_i16 v9, v9, v63 clamp
	v_or_b32_sdwa v9, v9, v10 dst_sel:WORD_1 dst_unused:UNUSED_PAD src0_sel:BYTE_1 src1_sel:DWORD
	v_lshlrev_b16_e32 v10, 7, v88
	v_or_b32_sdwa v9, v11, v9 dst_sel:DWORD dst_unused:UNUSED_PAD src0_sel:WORD_0 src1_sel:DWORD
	v_dot4c_i32_i8_e32 v89, v9, v6
	v_lshrrev_b16_e32 v6, 8, v88
	v_bfe_u32 v63, v6, 3, 1
	v_lshlrev_b32_e32 v9, 5, v6
	v_lshrrev_b32_e32 v11, 1, v6
	v_cmp_ne_u16_e32 vcc, 0, v63
	v_bfe_i32 v11, v11, 0, 1
	v_lshrrev_b16_e32 v9, 7, v9
	v_cndmask_b32_e64 v63, 0, -1, vcc
	v_ashrrev_i16_e32 v10, 15, v10
	v_bfe_i32 v9, v9, 0, 1
	v_lshlrev_b16_e32 v11, 8, v11
	v_lshlrev_b16_e32 v63, 8, v63
	v_or_b32_sdwa v64, v10, v11 dst_sel:DWORD dst_unused:UNUSED_PAD src0_sel:BYTE_0 src1_sel:DWORD
	v_or_b32_sdwa v65, v9, v63 dst_sel:WORD_1 dst_unused:UNUSED_PAD src0_sel:BYTE_0 src1_sel:DWORD
	v_bfe_i32 v66, v6, 4, 1
	v_or_b32_sdwa v64, v64, v65 dst_sel:DWORD dst_unused:UNUSED_PAD src0_sel:WORD_0 src1_sel:DWORD
	v_lshlrev_b32_e32 v65, 1, v6
	v_lshrrev_b32_e32 v67, 5, v6
	v_lshrrev_b32_e32 v6, 7, v6
	v_cmp_ne_u16_e32 vcc, 0, v6
	v_bfe_i32 v67, v67, 0, 1
	v_lshrrev_b16_e32 v65, 7, v65
	v_cndmask_b32_e64 v6, 0, -1, vcc
	v_lshlrev_b16_e32 v10, 8, v10
	v_bfe_i32 v65, v65, 0, 1
	v_lshlrev_b16_e32 v67, 8, v67
	v_lshlrev_b16_e32 v6, 8, v6
	v_or_b32_sdwa v68, v66, v67 dst_sel:DWORD dst_unused:UNUSED_PAD src0_sel:BYTE_0 src1_sel:DWORD
	v_or_b32_sdwa v69, v65, v6 dst_sel:WORD_1 dst_unused:UNUSED_PAD src0_sel:BYTE_0 src1_sel:DWORD
	v_lshlrev_b16_e32 v9, 8, v9
	v_or_b32_sdwa v68, v68, v69 dst_sel:DWORD dst_unused:UNUSED_PAD src0_sel:WORD_0 src1_sel:DWORD
	v_bfe_u32 v88, v57, 5, 3
	v_bfe_i32 v88, v88, 0, 1
	v_lshlrev_b16_e32 v88, 8, v88
	s_waitcnt vmcnt(1)
	v_xor_b32_e32 v4, v4, v64
	v_and_b32_e32 v64, 0xffffff00, v4
	v_sub_i16 v11, v64, v11 clamp
	v_lshlrev_b16_e32 v64, 8, v4
	v_and_b32_e32 v11, 0xffffff00, v11
	v_sub_i16 v10, v64, v10 clamp
	v_or_b32_sdwa v10, v10, v11 dst_sel:DWORD dst_unused:UNUSED_PAD src0_sel:BYTE_1 src1_sel:DWORD
	v_and_b32_sdwa v11, v4, s30 dst_sel:DWORD dst_unused:UNUSED_PAD src0_sel:WORD_1 src1_sel:DWORD
	v_sub_i16 v11, v11, v63 clamp
	v_lshlrev_b16_sdwa v4, v52, v4 dst_sel:DWORD dst_unused:UNUSED_PAD src0_sel:DWORD src1_sel:WORD_1
	v_and_b32_e32 v11, 0xffffff00, v11
	v_sub_i16 v4, v4, v9 clamp
	s_waitcnt vmcnt(0)
	v_xor_b32_e32 v5, v5, v68
	v_or_b32_sdwa v4, v4, v11 dst_sel:WORD_1 dst_unused:UNUSED_PAD src0_sel:BYTE_1 src1_sel:DWORD
	v_and_b32_e32 v9, 0xffffff00, v5
	v_or_b32_sdwa v4, v10, v4 dst_sel:DWORD dst_unused:UNUSED_PAD src0_sel:WORD_0 src1_sel:DWORD
	v_sub_i16 v9, v9, v67 clamp
	v_lshlrev_b16_e32 v10, 8, v5
	v_lshlrev_b16_e32 v11, 8, v66
	v_and_b32_e32 v9, 0xffffff00, v9
	v_sub_i16 v10, v10, v11 clamp
	v_or_b32_sdwa v9, v10, v9 dst_sel:DWORD dst_unused:UNUSED_PAD src0_sel:BYTE_1 src1_sel:DWORD
	v_and_b32_sdwa v10, v5, s30 dst_sel:DWORD dst_unused:UNUSED_PAD src0_sel:WORD_1 src1_sel:DWORD
	v_sub_i16 v6, v10, v6 clamp
	v_lshlrev_b16_sdwa v5, v52, v5 dst_sel:DWORD dst_unused:UNUSED_PAD src0_sel:DWORD src1_sel:WORD_1
	v_lshlrev_b16_e32 v10, 8, v65
	v_and_b32_e32 v6, 0xffffff00, v6
	v_sub_i16 v5, v5, v10 clamp
	v_or_b32_sdwa v5, v5, v6 dst_sel:WORD_1 dst_unused:UNUSED_PAD src0_sel:BYTE_1 src1_sel:DWORD
	v_dot4c_i32_i8_e32 v89, v4, v7
	v_or_b32_sdwa v5, v9, v5 dst_sel:DWORD dst_unused:UNUSED_PAD src0_sel:WORD_0 src1_sel:DWORD
	v_dot4c_i32_i8_e32 v89, v5, v83
	v_mul_lo_u32 v6, v84, v82
	v_cvt_f32_i32_e32 v6, v6
	v_pk_mul_f32 v[4:5], v[8:9], v[48:49] op_sel_hi:[0,1]
	v_mul_lo_u32 v7, v89, v81
	v_cvt_f32_i32_e32 v7, v7
	v_bfe_u32 v89, v57, 7, 1
	v_pk_fma_f32 v[2:3], v[4:5], v[6:7], v[2:3]
	scratch_store_dwordx4 off, v[0:3], off
	s_nop 1
	v_add_u32_e32 v0, s27, v51
	v_mad_u64_u32 v[0:1], s[34:35], v0, 36, s[24:25]
	v_mad_u64_u32 v[10:11], s[34:35], v14, 36, v[0:1]
	global_load_dword v8, v[10:11], off offset:32
	global_load_dwordx4 v[0:3], v[10:11], off offset:16
	global_load_dwordx4 v[4:7], v[10:11], off
	global_load_ushort v9, v[36:37], off offset:2
	global_load_ushort v48, v[36:37], off offset:4
	;; [unrolled: 1-line block ×4, first 2 shown]
	global_load_ubyte v66, v[38:39], off offset:66
	global_load_ushort v49, v[40:41], off offset:74
	global_load_ushort v67, v[40:41], off offset:76
	s_waitcnt vmcnt(6)
	v_and_b32_sdwa v10, s28, v9 dst_sel:DWORD dst_unused:UNUSED_PAD src0_sel:DWORD src1_sel:BYTE_0
	v_lshrrev_b16_e32 v9, 8, v9
	s_waitcnt vmcnt(2)
	v_lshlrev_b32_e32 v11, 8, v66
	v_and_or_b32 v10, v11, s29, v10
	v_lshlrev_b32_e32 v10, 2, v10
	global_load_dword v10, v10, s[20:21]
	v_lshlrev_b32_e32 v11, 7, v66
	v_and_or_b32 v9, v11, s29, v9
	v_lshlrev_b32_e32 v9, 2, v9
	global_load_dword v11, v9, s[20:21]
	s_waitcnt vmcnt(3)
	v_and_b32_sdwa v9, s28, v49 dst_sel:DWORD dst_unused:UNUSED_PAD src0_sel:DWORD src1_sel:BYTE_0
	v_bfe_u32 v70, v9, 3, 1
	v_lshlrev_b32_e32 v64, 5, v9
	v_lshrrev_b32_e32 v69, 1, v9
	v_cmp_ne_u16_e32 vcc, 0, v70
	v_and_b32_e32 v68, 1, v49
	v_bfe_i32 v69, v69, 0, 1
	v_lshrrev_b16_e32 v64, 7, v64
	v_cndmask_b32_e64 v70, 0, -1, vcc
	v_sub_u16_e32 v68, 0, v68
	v_bfe_i32 v64, v64, 0, 1
	v_lshlrev_b16_e32 v69, 8, v69
	v_lshlrev_b16_e32 v70, 8, v70
	v_or_b32_sdwa v71, v68, v69 dst_sel:DWORD dst_unused:UNUSED_PAD src0_sel:BYTE_0 src1_sel:DWORD
	v_or_b32_sdwa v72, v64, v70 dst_sel:WORD_1 dst_unused:UNUSED_PAD src0_sel:BYTE_0 src1_sel:DWORD
	v_bfe_i32 v73, v9, 4, 1
	v_or_b32_sdwa v71, v71, v72 dst_sel:DWORD dst_unused:UNUSED_PAD src0_sel:WORD_0 src1_sel:DWORD
	v_lshlrev_b32_e32 v72, 1, v9
	v_lshrrev_b32_e32 v74, 5, v9
	v_lshrrev_b32_e32 v9, 7, v9
	v_cmp_ne_u16_e32 vcc, 0, v9
	v_bfe_i32 v74, v74, 0, 1
	v_lshrrev_b16_e32 v72, 7, v72
	v_cndmask_b32_e64 v9, 0, -1, vcc
	v_bfe_i32 v72, v72, 0, 1
	v_lshlrev_b16_e32 v74, 8, v74
	v_lshlrev_b16_e32 v76, 8, v9
	v_or_b32_sdwa v75, v73, v74 dst_sel:DWORD dst_unused:UNUSED_PAD src0_sel:BYTE_0 src1_sel:DWORD
	v_or_b32_sdwa v9, v72, v76 dst_sel:WORD_1 dst_unused:UNUSED_PAD src0_sel:BYTE_0 src1_sel:DWORD
	v_lshlrev_b16_e32 v68, 8, v68
	v_or_b32_sdwa v75, v75, v9 dst_sel:DWORD dst_unused:UNUSED_PAD src0_sel:WORD_0 src1_sel:DWORD
	v_lshlrev_b16_e32 v64, 8, v64
	v_cvt_f32_f16_e32 v4, v4
	s_waitcnt vmcnt(1)
	v_xor_b32_e32 v9, v10, v71
	v_and_b32_e32 v10, 0xffffff00, v9
	v_sub_i16 v10, v10, v69 clamp
	v_lshlrev_b16_e32 v69, 8, v9
	v_and_b32_e32 v10, 0xffffff00, v10
	v_sub_i16 v68, v69, v68 clamp
	v_or_b32_sdwa v10, v68, v10 dst_sel:DWORD dst_unused:UNUSED_PAD src0_sel:BYTE_1 src1_sel:DWORD
	v_and_b32_sdwa v68, v9, s30 dst_sel:DWORD dst_unused:UNUSED_PAD src0_sel:WORD_1 src1_sel:DWORD
	v_sub_i16 v68, v68, v70 clamp
	v_lshlrev_b16_sdwa v9, v52, v9 dst_sel:DWORD dst_unused:UNUSED_PAD src0_sel:DWORD src1_sel:WORD_1
	v_and_b32_e32 v68, 0xffffff00, v68
	v_sub_i16 v9, v9, v64 clamp
	v_or_b32_sdwa v9, v9, v68 dst_sel:WORD_1 dst_unused:UNUSED_PAD src0_sel:BYTE_1 src1_sel:DWORD
	v_lshlrev_b16_e32 v68, 8, v73
	v_or_b32_sdwa v9, v10, v9 dst_sel:DWORD dst_unused:UNUSED_PAD src0_sel:WORD_0 src1_sel:DWORD
	s_waitcnt vmcnt(0)
	v_xor_b32_e32 v10, v11, v75
	v_and_b32_e32 v11, 0xffffff00, v10
	v_sub_i16 v11, v11, v74 clamp
	v_lshlrev_b16_e32 v64, 8, v10
	v_and_b32_e32 v11, 0xffffff00, v11
	v_sub_i16 v64, v64, v68 clamp
	v_or_b32_sdwa v11, v64, v11 dst_sel:DWORD dst_unused:UNUSED_PAD src0_sel:BYTE_1 src1_sel:DWORD
	v_and_b32_sdwa v64, v10, s30 dst_sel:DWORD dst_unused:UNUSED_PAD src0_sel:WORD_1 src1_sel:DWORD
	v_sub_i16 v64, v64, v76 clamp
	v_lshlrev_b16_sdwa v10, v52, v10 dst_sel:DWORD dst_unused:UNUSED_PAD src0_sel:DWORD src1_sel:WORD_1
	v_lshlrev_b16_e32 v68, 8, v72
	v_and_b32_e32 v64, 0xffffff00, v64
	v_sub_i16 v10, v10, v68 clamp
	v_or_b32_sdwa v10, v10, v64 dst_sel:WORD_1 dst_unused:UNUSED_PAD src0_sel:BYTE_1 src1_sel:DWORD
	v_and_b32_sdwa v64, s28, v48 dst_sel:DWORD dst_unused:UNUSED_PAD src0_sel:DWORD src1_sel:BYTE_0
	v_lshlrev_b32_e32 v68, 6, v66
	v_and_or_b32 v64, v68, s29, v64
	v_lshlrev_b32_e32 v64, 2, v64
	global_load_dword v64, v64, s[20:21]
	v_lshrrev_b16_e32 v48, 8, v48
	v_lshlrev_b32_e32 v68, 5, v66
	v_and_or_b32 v48, v68, s29, v48
	v_lshlrev_b32_e32 v48, 2, v48
	global_load_dword v68, v48, s[20:21]
	v_lshrrev_b16_e32 v48, 8, v49
	v_bfe_u32 v71, v48, 3, 1
	v_lshlrev_b32_e32 v69, 5, v48
	v_lshrrev_b32_e32 v70, 1, v48
	v_cmp_ne_u16_e32 vcc, 0, v71
	v_lshlrev_b16_e32 v49, 7, v49
	v_bfe_i32 v70, v70, 0, 1
	v_lshrrev_b16_e32 v69, 7, v69
	v_cndmask_b32_e64 v71, 0, -1, vcc
	v_ashrrev_i16_e32 v49, 15, v49
	v_bfe_i32 v69, v69, 0, 1
	v_lshlrev_b16_e32 v70, 8, v70
	v_lshlrev_b16_e32 v71, 8, v71
	v_or_b32_sdwa v72, v49, v70 dst_sel:DWORD dst_unused:UNUSED_PAD src0_sel:BYTE_0 src1_sel:DWORD
	v_or_b32_sdwa v73, v69, v71 dst_sel:WORD_1 dst_unused:UNUSED_PAD src0_sel:BYTE_0 src1_sel:DWORD
	v_bfe_i32 v74, v48, 4, 1
	v_or_b32_sdwa v72, v72, v73 dst_sel:DWORD dst_unused:UNUSED_PAD src0_sel:WORD_0 src1_sel:DWORD
	v_lshlrev_b32_e32 v73, 1, v48
	v_lshrrev_b32_e32 v75, 5, v48
	v_lshrrev_b32_e32 v48, 7, v48
	v_cmp_ne_u16_e32 vcc, 0, v48
	v_bfe_i32 v75, v75, 0, 1
	v_lshrrev_b16_e32 v73, 7, v73
	v_cndmask_b32_e64 v48, 0, -1, vcc
	v_bfe_i32 v73, v73, 0, 1
	v_lshlrev_b16_e32 v75, 8, v75
	v_lshlrev_b16_e32 v77, 8, v48
	v_or_b32_sdwa v76, v74, v75 dst_sel:DWORD dst_unused:UNUSED_PAD src0_sel:BYTE_0 src1_sel:DWORD
	v_or_b32_sdwa v48, v73, v77 dst_sel:WORD_1 dst_unused:UNUSED_PAD src0_sel:BYTE_0 src1_sel:DWORD
	v_lshlrev_b16_e32 v49, 8, v49
	v_or_b32_sdwa v76, v76, v48 dst_sel:DWORD dst_unused:UNUSED_PAD src0_sel:WORD_0 src1_sel:DWORD
	v_lshlrev_b16_e32 v69, 8, v69
	v_or_b32_sdwa v10, v11, v10 dst_sel:DWORD dst_unused:UNUSED_PAD src0_sel:WORD_0 src1_sel:DWORD
	v_mov_b32_e32 v11, 0
	v_dot4c_i32_i8_e32 v11, v9, v5
	v_dot4c_i32_i8_e32 v11, v10, v6
	s_waitcnt vmcnt(1)
	v_xor_b32_e32 v48, v64, v72
	v_and_b32_e32 v64, 0xffffff00, v48
	v_sub_i16 v64, v64, v70 clamp
	v_lshlrev_b16_e32 v70, 8, v48
	v_and_b32_e32 v64, 0xffffff00, v64
	v_sub_i16 v49, v70, v49 clamp
	v_or_b32_sdwa v49, v49, v64 dst_sel:DWORD dst_unused:UNUSED_PAD src0_sel:BYTE_1 src1_sel:DWORD
	v_and_b32_sdwa v64, v48, s30 dst_sel:DWORD dst_unused:UNUSED_PAD src0_sel:WORD_1 src1_sel:DWORD
	v_sub_i16 v64, v64, v71 clamp
	v_lshlrev_b16_sdwa v48, v52, v48 dst_sel:DWORD dst_unused:UNUSED_PAD src0_sel:DWORD src1_sel:WORD_1
	v_and_b32_e32 v64, 0xffffff00, v64
	v_sub_i16 v48, v48, v69 clamp
	v_or_b32_sdwa v48, v48, v64 dst_sel:WORD_1 dst_unused:UNUSED_PAD src0_sel:BYTE_1 src1_sel:DWORD
	v_lshlrev_b16_e32 v69, 8, v74
	v_or_b32_sdwa v48, v49, v48 dst_sel:DWORD dst_unused:UNUSED_PAD src0_sel:WORD_0 src1_sel:DWORD
	s_waitcnt vmcnt(0)
	v_xor_b32_e32 v49, v68, v76
	v_and_b32_e32 v64, 0xffffff00, v49
	v_sub_i16 v64, v64, v75 clamp
	v_lshlrev_b16_e32 v68, 8, v49
	v_and_b32_e32 v64, 0xffffff00, v64
	v_sub_i16 v68, v68, v69 clamp
	v_or_b32_sdwa v64, v68, v64 dst_sel:DWORD dst_unused:UNUSED_PAD src0_sel:BYTE_1 src1_sel:DWORD
	v_and_b32_sdwa v68, v49, s30 dst_sel:DWORD dst_unused:UNUSED_PAD src0_sel:WORD_1 src1_sel:DWORD
	v_sub_i16 v68, v68, v77 clamp
	v_lshlrev_b16_sdwa v49, v52, v49 dst_sel:DWORD dst_unused:UNUSED_PAD src0_sel:DWORD src1_sel:WORD_1
	v_lshlrev_b16_e32 v69, 8, v73
	v_and_b32_e32 v68, 0xffffff00, v68
	v_sub_i16 v49, v49, v69 clamp
	v_or_b32_sdwa v49, v49, v68 dst_sel:WORD_1 dst_unused:UNUSED_PAD src0_sel:BYTE_1 src1_sel:DWORD
	v_lshlrev_b32_e32 v68, 4, v66
	v_or_b32_sdwa v49, v64, v49 dst_sel:DWORD dst_unused:UNUSED_PAD src0_sel:WORD_0 src1_sel:DWORD
	v_and_b32_sdwa v64, s28, v63 dst_sel:DWORD dst_unused:UNUSED_PAD src0_sel:DWORD src1_sel:BYTE_0
	v_and_or_b32 v64, v68, s29, v64
	v_lshlrev_b32_e32 v64, 2, v64
	global_load_dword v64, v64, s[20:21]
	v_lshrrev_b16_e32 v63, 8, v63
	v_lshlrev_b32_e32 v68, 3, v66
	v_and_or_b32 v63, v68, s29, v63
	v_lshlrev_b32_e32 v63, 2, v63
	global_load_dword v68, v63, s[20:21]
	v_and_b32_sdwa v63, s28, v67 dst_sel:DWORD dst_unused:UNUSED_PAD src0_sel:DWORD src1_sel:BYTE_0
	v_bfe_u32 v72, v63, 3, 1
	v_lshlrev_b32_e32 v69, 5, v63
	v_lshrrev_b32_e32 v71, 1, v63
	v_cmp_ne_u16_e32 vcc, 0, v72
	v_and_b32_e32 v70, 1, v67
	v_bfe_i32 v71, v71, 0, 1
	v_lshrrev_b16_e32 v69, 7, v69
	v_cndmask_b32_e64 v72, 0, -1, vcc
	v_sub_u16_e32 v70, 0, v70
	v_bfe_i32 v69, v69, 0, 1
	v_lshlrev_b16_e32 v71, 8, v71
	v_lshlrev_b16_e32 v72, 8, v72
	v_or_b32_sdwa v73, v70, v71 dst_sel:DWORD dst_unused:UNUSED_PAD src0_sel:BYTE_0 src1_sel:DWORD
	v_or_b32_sdwa v74, v69, v72 dst_sel:WORD_1 dst_unused:UNUSED_PAD src0_sel:BYTE_0 src1_sel:DWORD
	v_bfe_i32 v75, v63, 4, 1
	v_or_b32_sdwa v73, v73, v74 dst_sel:DWORD dst_unused:UNUSED_PAD src0_sel:WORD_0 src1_sel:DWORD
	v_lshlrev_b32_e32 v74, 1, v63
	v_lshrrev_b32_e32 v76, 5, v63
	v_lshrrev_b32_e32 v63, 7, v63
	v_cmp_ne_u16_e32 vcc, 0, v63
	v_bfe_i32 v76, v76, 0, 1
	v_lshrrev_b16_e32 v74, 7, v74
	v_cndmask_b32_e64 v63, 0, -1, vcc
	v_bfe_i32 v74, v74, 0, 1
	v_lshlrev_b16_e32 v76, 8, v76
	v_lshlrev_b16_e32 v78, 8, v63
	v_or_b32_sdwa v77, v75, v76 dst_sel:DWORD dst_unused:UNUSED_PAD src0_sel:BYTE_0 src1_sel:DWORD
	v_or_b32_sdwa v63, v74, v78 dst_sel:WORD_1 dst_unused:UNUSED_PAD src0_sel:BYTE_0 src1_sel:DWORD
	v_lshlrev_b16_e32 v70, 8, v70
	v_or_b32_sdwa v77, v77, v63 dst_sel:DWORD dst_unused:UNUSED_PAD src0_sel:WORD_0 src1_sel:DWORD
	v_lshlrev_b16_e32 v69, 8, v69
	v_dot4c_i32_i8_e32 v11, v48, v7
	v_dot4c_i32_i8_e32 v11, v49, v0
	s_waitcnt vmcnt(1)
	v_xor_b32_e32 v63, v64, v73
	v_and_b32_e32 v64, 0xffffff00, v63
	v_sub_i16 v64, v64, v71 clamp
	v_lshlrev_b16_e32 v71, 8, v63
	v_and_b32_e32 v64, 0xffffff00, v64
	v_sub_i16 v70, v71, v70 clamp
	v_or_b32_sdwa v64, v70, v64 dst_sel:DWORD dst_unused:UNUSED_PAD src0_sel:BYTE_1 src1_sel:DWORD
	v_and_b32_sdwa v70, v63, s30 dst_sel:DWORD dst_unused:UNUSED_PAD src0_sel:WORD_1 src1_sel:DWORD
	v_sub_i16 v70, v70, v72 clamp
	v_lshlrev_b16_sdwa v63, v52, v63 dst_sel:DWORD dst_unused:UNUSED_PAD src0_sel:DWORD src1_sel:WORD_1
	v_and_b32_e32 v70, 0xffffff00, v70
	v_sub_i16 v63, v63, v69 clamp
	v_or_b32_sdwa v63, v63, v70 dst_sel:WORD_1 dst_unused:UNUSED_PAD src0_sel:BYTE_1 src1_sel:DWORD
	v_lshlrev_b16_e32 v70, 8, v75
	v_or_b32_sdwa v63, v64, v63 dst_sel:DWORD dst_unused:UNUSED_PAD src0_sel:WORD_0 src1_sel:DWORD
	s_waitcnt vmcnt(0)
	v_xor_b32_e32 v64, v68, v77
	v_and_b32_e32 v68, 0xffffff00, v64
	v_sub_i16 v68, v68, v76 clamp
	v_lshlrev_b16_e32 v69, 8, v64
	v_and_b32_e32 v68, 0xffffff00, v68
	v_sub_i16 v69, v69, v70 clamp
	v_or_b32_sdwa v68, v69, v68 dst_sel:DWORD dst_unused:UNUSED_PAD src0_sel:BYTE_1 src1_sel:DWORD
	v_and_b32_sdwa v69, v64, s30 dst_sel:DWORD dst_unused:UNUSED_PAD src0_sel:WORD_1 src1_sel:DWORD
	v_sub_i16 v69, v69, v78 clamp
	v_lshlrev_b16_sdwa v64, v52, v64 dst_sel:DWORD dst_unused:UNUSED_PAD src0_sel:DWORD src1_sel:WORD_1
	v_lshlrev_b16_e32 v70, 8, v74
	v_and_b32_e32 v69, 0xffffff00, v69
	v_sub_i16 v64, v64, v70 clamp
	v_or_b32_sdwa v64, v64, v69 dst_sel:WORD_1 dst_unused:UNUSED_PAD src0_sel:BYTE_1 src1_sel:DWORD
	v_lshlrev_b32_e32 v69, 2, v66
	v_or_b32_sdwa v64, v68, v64 dst_sel:DWORD dst_unused:UNUSED_PAD src0_sel:WORD_0 src1_sel:DWORD
	v_and_b32_sdwa v68, s28, v65 dst_sel:DWORD dst_unused:UNUSED_PAD src0_sel:DWORD src1_sel:BYTE_0
	v_and_or_b32 v68, v69, s29, v68
	v_lshlrev_b32_e32 v68, 2, v68
	global_load_dword v68, v68, s[20:21]
	v_lshrrev_b16_e32 v65, 8, v65
	v_lshlrev_b32_e32 v66, 1, v66
	v_and_or_b32 v65, v66, s29, v65
	v_lshlrev_b32_e32 v65, 2, v65
	global_load_dword v66, v65, s[20:21]
	v_lshrrev_b16_e32 v65, 8, v67
	v_bfe_u32 v71, v65, 3, 1
	v_lshlrev_b32_e32 v69, 5, v65
	v_lshrrev_b32_e32 v70, 1, v65
	v_cmp_ne_u16_e32 vcc, 0, v71
	v_lshlrev_b16_e32 v67, 7, v67
	v_bfe_i32 v70, v70, 0, 1
	v_lshrrev_b16_e32 v69, 7, v69
	v_cndmask_b32_e64 v71, 0, -1, vcc
	v_ashrrev_i16_e32 v67, 15, v67
	v_bfe_i32 v69, v69, 0, 1
	v_lshlrev_b16_e32 v70, 8, v70
	v_lshlrev_b16_e32 v71, 8, v71
	v_or_b32_sdwa v72, v67, v70 dst_sel:DWORD dst_unused:UNUSED_PAD src0_sel:BYTE_0 src1_sel:DWORD
	v_or_b32_sdwa v73, v69, v71 dst_sel:WORD_1 dst_unused:UNUSED_PAD src0_sel:BYTE_0 src1_sel:DWORD
	v_bfe_i32 v74, v65, 4, 1
	v_or_b32_sdwa v72, v72, v73 dst_sel:DWORD dst_unused:UNUSED_PAD src0_sel:WORD_0 src1_sel:DWORD
	v_lshlrev_b32_e32 v73, 1, v65
	v_lshrrev_b32_e32 v75, 5, v65
	v_lshrrev_b32_e32 v65, 7, v65
	v_cmp_ne_u16_e32 vcc, 0, v65
	v_bfe_i32 v75, v75, 0, 1
	v_lshrrev_b16_e32 v73, 7, v73
	v_cndmask_b32_e64 v65, 0, -1, vcc
	v_bfe_i32 v73, v73, 0, 1
	v_lshlrev_b16_e32 v75, 8, v75
	v_lshlrev_b16_e32 v77, 8, v65
	v_or_b32_sdwa v76, v74, v75 dst_sel:DWORD dst_unused:UNUSED_PAD src0_sel:BYTE_0 src1_sel:DWORD
	v_or_b32_sdwa v65, v73, v77 dst_sel:WORD_1 dst_unused:UNUSED_PAD src0_sel:BYTE_0 src1_sel:DWORD
	v_lshlrev_b16_e32 v67, 8, v67
	v_or_b32_sdwa v76, v76, v65 dst_sel:DWORD dst_unused:UNUSED_PAD src0_sel:WORD_0 src1_sel:DWORD
	v_lshlrev_b16_e32 v69, 8, v69
	v_dot4c_i32_i8_e32 v11, v63, v1
	v_dot4c_i32_i8_e32 v11, v64, v2
	s_waitcnt vmcnt(1)
	v_xor_b32_e32 v65, v68, v72
	v_and_b32_e32 v68, 0xffffff00, v65
	v_sub_i16 v68, v68, v70 clamp
	v_lshlrev_b16_e32 v70, 8, v65
	v_and_b32_e32 v68, 0xffffff00, v68
	v_sub_i16 v67, v70, v67 clamp
	v_or_b32_sdwa v67, v67, v68 dst_sel:DWORD dst_unused:UNUSED_PAD src0_sel:BYTE_1 src1_sel:DWORD
	v_and_b32_sdwa v68, v65, s30 dst_sel:DWORD dst_unused:UNUSED_PAD src0_sel:WORD_1 src1_sel:DWORD
	v_sub_i16 v68, v68, v71 clamp
	v_lshlrev_b16_sdwa v65, v52, v65 dst_sel:DWORD dst_unused:UNUSED_PAD src0_sel:DWORD src1_sel:WORD_1
	v_and_b32_e32 v68, 0xffffff00, v68
	v_sub_i16 v65, v65, v69 clamp
	v_or_b32_sdwa v65, v65, v68 dst_sel:WORD_1 dst_unused:UNUSED_PAD src0_sel:BYTE_1 src1_sel:DWORD
	s_waitcnt vmcnt(0)
	v_xor_b32_e32 v66, v66, v76
	v_or_b32_sdwa v65, v67, v65 dst_sel:DWORD dst_unused:UNUSED_PAD src0_sel:WORD_0 src1_sel:DWORD
	v_and_b32_e32 v67, 0xffffff00, v66
	v_sub_i16 v67, v67, v75 clamp
	v_lshlrev_b16_e32 v68, 8, v66
	v_lshlrev_b16_e32 v69, 8, v74
	v_and_b32_e32 v67, 0xffffff00, v67
	v_sub_i16 v68, v68, v69 clamp
	v_or_b32_sdwa v67, v68, v67 dst_sel:DWORD dst_unused:UNUSED_PAD src0_sel:BYTE_1 src1_sel:DWORD
	v_and_b32_sdwa v68, v66, s30 dst_sel:DWORD dst_unused:UNUSED_PAD src0_sel:WORD_1 src1_sel:DWORD
	v_sub_i16 v68, v68, v77 clamp
	v_lshlrev_b16_sdwa v66, v52, v66 dst_sel:DWORD dst_unused:UNUSED_PAD src0_sel:DWORD src1_sel:WORD_1
	v_lshlrev_b16_e32 v69, 8, v73
	v_and_b32_e32 v68, 0xffffff00, v68
	v_sub_i16 v66, v66, v69 clamp
	v_or_b32_sdwa v66, v66, v68 dst_sel:WORD_1 dst_unused:UNUSED_PAD src0_sel:BYTE_1 src1_sel:DWORD
	v_dot4c_i32_i8_e32 v11, v65, v3
	v_or_b32_sdwa v66, v67, v66 dst_sel:DWORD dst_unused:UNUSED_PAD src0_sel:WORD_0 src1_sel:DWORD
	global_load_ushort v67, v[30:31], off
	global_load_ushort v68, v[42:43], off offset:2
	global_load_ushort v69, v[42:43], off offset:4
	global_load_ushort v70, v[42:43], off offset:6
	global_load_ushort v71, v[42:43], off offset:8
	global_load_ubyte v72, v[44:45], off offset:66
	global_load_ushort v73, v[46:47], off offset:74
	global_load_ushort v74, v[46:47], off offset:76
	v_dot4c_i32_i8_e32 v11, v66, v8
	s_waitcnt vmcnt(6)
	v_and_b32_sdwa v75, s28, v68 dst_sel:DWORD dst_unused:UNUSED_PAD src0_sel:DWORD src1_sel:BYTE_0
	v_lshrrev_b16_e32 v68, 8, v68
	s_waitcnt vmcnt(2)
	v_lshlrev_b32_e32 v76, 8, v72
	v_and_or_b32 v75, v76, s29, v75
	v_lshlrev_b32_e32 v75, 2, v75
	global_load_dword v75, v75, s[20:21]
	v_lshlrev_b32_e32 v76, 7, v72
	v_and_or_b32 v68, v76, s29, v68
	v_lshlrev_b32_e32 v68, 2, v68
	global_load_dword v68, v68, s[20:21]
	s_waitcnt vmcnt(3)
	v_and_b32_sdwa v76, s28, v73 dst_sel:DWORD dst_unused:UNUSED_PAD src0_sel:DWORD src1_sel:BYTE_0
	v_bfe_u32 v80, v76, 3, 1
	v_lshlrev_b32_e32 v77, 5, v76
	v_lshrrev_b32_e32 v79, 1, v76
	v_cmp_ne_u16_e32 vcc, 0, v80
	v_and_b32_e32 v78, 1, v73
	v_bfe_i32 v79, v79, 0, 1
	v_lshrrev_b16_e32 v77, 7, v77
	v_cndmask_b32_e64 v80, 0, -1, vcc
	v_sub_u16_e32 v78, 0, v78
	v_bfe_i32 v77, v77, 0, 1
	v_lshlrev_b16_e32 v79, 8, v79
	v_lshlrev_b16_e32 v80, 8, v80
	v_or_b32_sdwa v81, v78, v79 dst_sel:DWORD dst_unused:UNUSED_PAD src0_sel:BYTE_0 src1_sel:DWORD
	v_or_b32_sdwa v82, v77, v80 dst_sel:WORD_1 dst_unused:UNUSED_PAD src0_sel:BYTE_0 src1_sel:DWORD
	v_bfe_i32 v83, v76, 4, 1
	v_or_b32_sdwa v81, v81, v82 dst_sel:DWORD dst_unused:UNUSED_PAD src0_sel:WORD_0 src1_sel:DWORD
	v_lshlrev_b32_e32 v82, 1, v76
	v_lshrrev_b32_e32 v84, 5, v76
	v_lshrrev_b32_e32 v76, 7, v76
	v_cmp_ne_u16_e32 vcc, 0, v76
	v_lshlrev_b16_e32 v78, 8, v78
	v_bfe_i32 v84, v84, 0, 1
	v_lshrrev_b16_e32 v82, 7, v82
	v_cndmask_b32_e64 v76, 0, -1, vcc
	v_bfe_i32 v82, v82, 0, 1
	v_lshlrev_b16_e32 v84, 8, v84
	v_lshlrev_b16_e32 v76, 8, v76
	v_or_b32_sdwa v85, v83, v84 dst_sel:DWORD dst_unused:UNUSED_PAD src0_sel:BYTE_0 src1_sel:DWORD
	v_or_b32_sdwa v86, v82, v76 dst_sel:WORD_1 dst_unused:UNUSED_PAD src0_sel:BYTE_0 src1_sel:DWORD
	v_lshlrev_b16_e32 v77, 8, v77
	v_or_b32_sdwa v85, v85, v86 dst_sel:DWORD dst_unused:UNUSED_PAD src0_sel:WORD_0 src1_sel:DWORD
	s_waitcnt vmcnt(1)
	v_xor_b32_e32 v75, v75, v81
	v_and_b32_e32 v81, 0xffffff00, v75
	v_sub_i16 v79, v81, v79 clamp
	v_lshlrev_b16_e32 v81, 8, v75
	v_and_b32_e32 v79, 0xffffff00, v79
	v_sub_i16 v78, v81, v78 clamp
	v_or_b32_sdwa v78, v78, v79 dst_sel:DWORD dst_unused:UNUSED_PAD src0_sel:BYTE_1 src1_sel:DWORD
	v_and_b32_sdwa v79, v75, s30 dst_sel:DWORD dst_unused:UNUSED_PAD src0_sel:WORD_1 src1_sel:DWORD
	v_sub_i16 v79, v79, v80 clamp
	v_lshlrev_b16_sdwa v75, v52, v75 dst_sel:DWORD dst_unused:UNUSED_PAD src0_sel:DWORD src1_sel:WORD_1
	v_and_b32_e32 v79, 0xffffff00, v79
	v_sub_i16 v75, v75, v77 clamp
	v_or_b32_sdwa v75, v75, v79 dst_sel:WORD_1 dst_unused:UNUSED_PAD src0_sel:BYTE_1 src1_sel:DWORD
	s_waitcnt vmcnt(0)
	v_xor_b32_e32 v68, v68, v85
	v_or_b32_sdwa v77, v78, v75 dst_sel:DWORD dst_unused:UNUSED_PAD src0_sel:WORD_0 src1_sel:DWORD
	v_and_b32_e32 v75, 0xffffff00, v68
	v_sub_i16 v75, v75, v84 clamp
	v_lshlrev_b16_e32 v78, 8, v68
	v_lshlrev_b16_e32 v79, 8, v83
	v_and_b32_e32 v75, 0xffffff00, v75
	v_sub_i16 v78, v78, v79 clamp
	v_or_b32_sdwa v75, v78, v75 dst_sel:DWORD dst_unused:UNUSED_PAD src0_sel:BYTE_1 src1_sel:DWORD
	v_and_b32_sdwa v78, v68, s30 dst_sel:DWORD dst_unused:UNUSED_PAD src0_sel:WORD_1 src1_sel:DWORD
	v_sub_i16 v76, v78, v76 clamp
	v_lshlrev_b16_sdwa v68, v52, v68 dst_sel:DWORD dst_unused:UNUSED_PAD src0_sel:DWORD src1_sel:WORD_1
	v_lshlrev_b16_e32 v78, 8, v82
	v_and_b32_e32 v76, 0xffffff00, v76
	v_sub_i16 v68, v68, v78 clamp
	v_or_b32_sdwa v68, v68, v76 dst_sel:WORD_1 dst_unused:UNUSED_PAD src0_sel:BYTE_1 src1_sel:DWORD
	s_nop 0
	v_or_b32_sdwa v76, v75, v68 dst_sel:DWORD dst_unused:UNUSED_PAD src0_sel:WORD_0 src1_sel:DWORD
	v_mov_b32_e32 v68, 0
	v_dot4c_i32_i8_e32 v68, v77, v5
	v_dot4c_i32_i8_e32 v68, v76, v6
	v_and_b32_sdwa v5, s28, v69 dst_sel:DWORD dst_unused:UNUSED_PAD src0_sel:DWORD src1_sel:BYTE_0
	v_lshlrev_b32_e32 v6, 6, v72
	v_and_or_b32 v5, v6, s29, v5
	v_lshlrev_b32_e32 v5, 2, v5
	global_load_dword v5, v5, s[20:21]
	v_lshrrev_b16_e32 v6, 8, v69
	v_lshlrev_b32_e32 v69, 5, v72
	v_and_or_b32 v6, v69, s29, v6
	v_lshlrev_b32_e32 v6, 2, v6
	global_load_dword v6, v6, s[20:21]
	v_lshrrev_b16_e32 v69, 8, v73
	v_bfe_u32 v79, v69, 3, 1
	v_lshlrev_b32_e32 v75, 5, v69
	v_lshrrev_b32_e32 v78, 1, v69
	v_cmp_ne_u16_e32 vcc, 0, v79
	v_lshlrev_b16_e32 v73, 7, v73
	v_bfe_i32 v78, v78, 0, 1
	v_lshrrev_b16_e32 v75, 7, v75
	v_cndmask_b32_e64 v79, 0, -1, vcc
	v_ashrrev_i16_e32 v73, 15, v73
	v_bfe_i32 v75, v75, 0, 1
	v_lshlrev_b16_e32 v78, 8, v78
	v_lshlrev_b16_e32 v79, 8, v79
	v_or_b32_sdwa v80, v73, v78 dst_sel:DWORD dst_unused:UNUSED_PAD src0_sel:BYTE_0 src1_sel:DWORD
	v_or_b32_sdwa v81, v75, v79 dst_sel:WORD_1 dst_unused:UNUSED_PAD src0_sel:BYTE_0 src1_sel:DWORD
	v_bfe_i32 v82, v69, 4, 1
	v_or_b32_sdwa v80, v80, v81 dst_sel:DWORD dst_unused:UNUSED_PAD src0_sel:WORD_0 src1_sel:DWORD
	v_lshlrev_b32_e32 v81, 1, v69
	v_lshrrev_b32_e32 v83, 5, v69
	v_lshrrev_b32_e32 v69, 7, v69
	v_lshlrev_b16_e32 v73, 8, v73
	v_cmp_ne_u16_e32 vcc, 0, v69
	v_bfe_i32 v83, v83, 0, 1
	v_lshrrev_b16_e32 v81, 7, v81
	v_cndmask_b32_e64 v69, 0, -1, vcc
	v_bfe_i32 v81, v81, 0, 1
	v_lshlrev_b16_e32 v83, 8, v83
	v_lshlrev_b16_e32 v69, 8, v69
	;; [unrolled: 1-line block ×3, first 2 shown]
	v_or_b32_sdwa v84, v82, v83 dst_sel:DWORD dst_unused:UNUSED_PAD src0_sel:BYTE_0 src1_sel:DWORD
	v_or_b32_sdwa v85, v81, v69 dst_sel:WORD_1 dst_unused:UNUSED_PAD src0_sel:BYTE_0 src1_sel:DWORD
	s_waitcnt vmcnt(1)
	v_xor_b32_e32 v5, v5, v80
	v_and_b32_e32 v80, 0xffffff00, v5
	v_sub_i16 v78, v80, v78 clamp
	v_lshlrev_b16_e32 v80, 8, v5
	v_and_b32_e32 v78, 0xffffff00, v78
	v_sub_i16 v73, v80, v73 clamp
	v_or_b32_sdwa v73, v73, v78 dst_sel:DWORD dst_unused:UNUSED_PAD src0_sel:BYTE_1 src1_sel:DWORD
	v_and_b32_sdwa v78, v5, s30 dst_sel:DWORD dst_unused:UNUSED_PAD src0_sel:WORD_1 src1_sel:DWORD
	v_sub_i16 v78, v78, v79 clamp
	v_lshlrev_b16_sdwa v5, v52, v5 dst_sel:DWORD dst_unused:UNUSED_PAD src0_sel:DWORD src1_sel:WORD_1
	v_and_b32_e32 v78, 0xffffff00, v78
	v_sub_i16 v5, v5, v75 clamp
	v_or_b32_sdwa v84, v84, v85 dst_sel:DWORD dst_unused:UNUSED_PAD src0_sel:WORD_0 src1_sel:DWORD
	v_or_b32_sdwa v5, v5, v78 dst_sel:WORD_1 dst_unused:UNUSED_PAD src0_sel:BYTE_1 src1_sel:DWORD
	v_lshlrev_b16_e32 v75, 8, v82
	v_or_b32_sdwa v78, v73, v5 dst_sel:DWORD dst_unused:UNUSED_PAD src0_sel:WORD_0 src1_sel:DWORD
	s_waitcnt vmcnt(0)
	v_xor_b32_e32 v5, v6, v84
	v_and_b32_e32 v6, 0xffffff00, v5
	v_sub_i16 v6, v6, v83 clamp
	v_lshlrev_b16_e32 v73, 8, v5
	v_and_b32_e32 v6, 0xffffff00, v6
	v_sub_i16 v73, v73, v75 clamp
	v_or_b32_sdwa v6, v73, v6 dst_sel:DWORD dst_unused:UNUSED_PAD src0_sel:BYTE_1 src1_sel:DWORD
	v_and_b32_sdwa v73, v5, s30 dst_sel:DWORD dst_unused:UNUSED_PAD src0_sel:WORD_1 src1_sel:DWORD
	v_sub_i16 v69, v73, v69 clamp
	v_lshlrev_b16_sdwa v5, v52, v5 dst_sel:DWORD dst_unused:UNUSED_PAD src0_sel:DWORD src1_sel:WORD_1
	v_lshlrev_b16_e32 v73, 8, v81
	v_and_b32_e32 v69, 0xffffff00, v69
	v_sub_i16 v5, v5, v73 clamp
	v_or_b32_sdwa v5, v5, v69 dst_sel:WORD_1 dst_unused:UNUSED_PAD src0_sel:BYTE_1 src1_sel:DWORD
	v_dot4c_i32_i8_e32 v68, v78, v7
	v_or_b32_sdwa v79, v6, v5 dst_sel:DWORD dst_unused:UNUSED_PAD src0_sel:WORD_0 src1_sel:DWORD
	v_dot4c_i32_i8_e32 v68, v79, v0
	v_and_b32_sdwa v0, s28, v70 dst_sel:DWORD dst_unused:UNUSED_PAD src0_sel:DWORD src1_sel:BYTE_0
	v_lshlrev_b32_e32 v5, 4, v72
	v_and_or_b32 v0, v5, s29, v0
	v_lshlrev_b32_e32 v0, 2, v0
	global_load_dword v0, v0, s[20:21]
	v_lshrrev_b16_e32 v5, 8, v70
	v_lshlrev_b32_e32 v6, 3, v72
	v_and_or_b32 v5, v6, s29, v5
	v_lshlrev_b32_e32 v5, 2, v5
	global_load_dword v5, v5, s[20:21]
	v_and_b32_sdwa v6, s28, v74 dst_sel:DWORD dst_unused:UNUSED_PAD src0_sel:DWORD src1_sel:BYTE_0
	v_bfe_u32 v73, v6, 3, 1
	v_lshlrev_b32_e32 v7, 5, v6
	v_lshrrev_b32_e32 v70, 1, v6
	v_cmp_ne_u16_e32 vcc, 0, v73
	v_and_b32_e32 v69, 1, v74
	v_bfe_i32 v70, v70, 0, 1
	v_lshrrev_b16_e32 v7, 7, v7
	v_cndmask_b32_e64 v73, 0, -1, vcc
	v_sub_u16_e32 v69, 0, v69
	v_bfe_i32 v7, v7, 0, 1
	v_lshlrev_b16_e32 v70, 8, v70
	v_lshlrev_b16_e32 v73, 8, v73
	v_or_b32_sdwa v75, v69, v70 dst_sel:DWORD dst_unused:UNUSED_PAD src0_sel:BYTE_0 src1_sel:DWORD
	v_or_b32_sdwa v80, v7, v73 dst_sel:WORD_1 dst_unused:UNUSED_PAD src0_sel:BYTE_0 src1_sel:DWORD
	v_bfe_i32 v81, v6, 4, 1
	v_or_b32_sdwa v75, v75, v80 dst_sel:DWORD dst_unused:UNUSED_PAD src0_sel:WORD_0 src1_sel:DWORD
	v_lshlrev_b32_e32 v80, 1, v6
	v_lshrrev_b32_e32 v82, 5, v6
	v_lshrrev_b32_e32 v6, 7, v6
	v_lshlrev_b16_e32 v69, 8, v69
	v_cmp_ne_u16_e32 vcc, 0, v6
	v_bfe_i32 v82, v82, 0, 1
	v_lshrrev_b16_e32 v80, 7, v80
	v_cndmask_b32_e64 v6, 0, -1, vcc
	v_bfe_i32 v80, v80, 0, 1
	v_lshlrev_b16_e32 v82, 8, v82
	v_lshlrev_b16_e32 v6, 8, v6
	;; [unrolled: 1-line block ×3, first 2 shown]
	v_or_b32_sdwa v83, v81, v82 dst_sel:DWORD dst_unused:UNUSED_PAD src0_sel:BYTE_0 src1_sel:DWORD
	v_or_b32_sdwa v84, v80, v6 dst_sel:WORD_1 dst_unused:UNUSED_PAD src0_sel:BYTE_0 src1_sel:DWORD
	s_waitcnt vmcnt(1)
	v_xor_b32_e32 v0, v0, v75
	v_and_b32_e32 v75, 0xffffff00, v0
	v_sub_i16 v70, v75, v70 clamp
	v_lshlrev_b16_e32 v75, 8, v0
	v_and_b32_e32 v70, 0xffffff00, v70
	v_sub_i16 v69, v75, v69 clamp
	v_or_b32_sdwa v69, v69, v70 dst_sel:DWORD dst_unused:UNUSED_PAD src0_sel:BYTE_1 src1_sel:DWORD
	v_and_b32_sdwa v70, v0, s30 dst_sel:DWORD dst_unused:UNUSED_PAD src0_sel:WORD_1 src1_sel:DWORD
	v_sub_i16 v70, v70, v73 clamp
	v_lshlrev_b16_sdwa v0, v52, v0 dst_sel:DWORD dst_unused:UNUSED_PAD src0_sel:DWORD src1_sel:WORD_1
	v_and_b32_e32 v70, 0xffffff00, v70
	v_sub_i16 v0, v0, v7 clamp
	v_or_b32_sdwa v83, v83, v84 dst_sel:DWORD dst_unused:UNUSED_PAD src0_sel:WORD_0 src1_sel:DWORD
	v_or_b32_sdwa v0, v0, v70 dst_sel:WORD_1 dst_unused:UNUSED_PAD src0_sel:BYTE_1 src1_sel:DWORD
	s_nop 0
	v_or_b32_sdwa v84, v69, v0 dst_sel:DWORD dst_unused:UNUSED_PAD src0_sel:WORD_0 src1_sel:DWORD
	s_waitcnt vmcnt(0)
	v_xor_b32_e32 v0, v5, v83
	v_and_b32_e32 v5, 0xffffff00, v0
	v_sub_i16 v5, v5, v82 clamp
	v_lshlrev_b16_e32 v7, 8, v0
	v_lshlrev_b16_e32 v69, 8, v81
	v_and_b32_e32 v5, 0xffffff00, v5
	v_sub_i16 v7, v7, v69 clamp
	v_or_b32_sdwa v5, v7, v5 dst_sel:DWORD dst_unused:UNUSED_PAD src0_sel:BYTE_1 src1_sel:DWORD
	v_and_b32_sdwa v7, v0, s30 dst_sel:DWORD dst_unused:UNUSED_PAD src0_sel:WORD_1 src1_sel:DWORD
	v_sub_i16 v6, v7, v6 clamp
	v_lshlrev_b16_sdwa v0, v52, v0 dst_sel:DWORD dst_unused:UNUSED_PAD src0_sel:DWORD src1_sel:WORD_1
	v_lshlrev_b16_e32 v7, 8, v80
	v_and_b32_e32 v6, 0xffffff00, v6
	v_sub_i16 v0, v0, v7 clamp
	v_or_b32_sdwa v0, v0, v6 dst_sel:WORD_1 dst_unused:UNUSED_PAD src0_sel:BYTE_1 src1_sel:DWORD
	v_dot4c_i32_i8_e32 v68, v84, v1
	v_or_b32_sdwa v80, v5, v0 dst_sel:DWORD dst_unused:UNUSED_PAD src0_sel:WORD_0 src1_sel:DWORD
	v_and_b32_sdwa v0, s28, v71 dst_sel:DWORD dst_unused:UNUSED_PAD src0_sel:DWORD src1_sel:BYTE_0
	v_lshlrev_b32_e32 v1, 2, v72
	v_and_or_b32 v0, v1, s29, v0
	v_lshlrev_b32_e32 v0, 2, v0
	global_load_dword v0, v0, s[20:21]
	v_dot4c_i32_i8_e32 v68, v80, v2
	v_lshrrev_b16_e32 v1, 8, v71
	v_lshlrev_b32_e32 v2, 1, v72
	v_and_or_b32 v1, v2, s29, v1
	v_lshlrev_b32_e32 v1, 2, v1
	global_load_dword v1, v1, s[20:21]
	v_lshrrev_b16_e32 v2, 8, v74
	v_bfe_u32 v69, v2, 3, 1
	v_lshlrev_b32_e32 v5, 5, v2
	v_lshrrev_b32_e32 v7, 1, v2
	v_cmp_ne_u16_e32 vcc, 0, v69
	v_lshlrev_b16_e32 v6, 7, v74
	v_bfe_i32 v7, v7, 0, 1
	v_lshrrev_b16_e32 v5, 7, v5
	v_cndmask_b32_e64 v69, 0, -1, vcc
	v_ashrrev_i16_e32 v6, 15, v6
	v_bfe_i32 v5, v5, 0, 1
	v_lshlrev_b16_e32 v7, 8, v7
	v_lshlrev_b16_e32 v69, 8, v69
	v_or_b32_sdwa v70, v6, v7 dst_sel:DWORD dst_unused:UNUSED_PAD src0_sel:BYTE_0 src1_sel:DWORD
	v_or_b32_sdwa v71, v5, v69 dst_sel:WORD_1 dst_unused:UNUSED_PAD src0_sel:BYTE_0 src1_sel:DWORD
	v_bfe_i32 v72, v2, 4, 1
	v_or_b32_sdwa v70, v70, v71 dst_sel:DWORD dst_unused:UNUSED_PAD src0_sel:WORD_0 src1_sel:DWORD
	v_lshlrev_b32_e32 v71, 1, v2
	v_lshrrev_b32_e32 v73, 5, v2
	v_lshrrev_b32_e32 v2, 7, v2
	v_lshlrev_b16_e32 v6, 8, v6
	v_cmp_ne_u16_e32 vcc, 0, v2
	v_bfe_i32 v73, v73, 0, 1
	v_lshrrev_b16_e32 v71, 7, v71
	v_cndmask_b32_e64 v2, 0, -1, vcc
	v_bfe_i32 v71, v71, 0, 1
	v_lshlrev_b16_e32 v73, 8, v73
	v_lshlrev_b16_e32 v2, 8, v2
	;; [unrolled: 1-line block ×3, first 2 shown]
	v_or_b32_sdwa v74, v72, v73 dst_sel:DWORD dst_unused:UNUSED_PAD src0_sel:BYTE_0 src1_sel:DWORD
	v_or_b32_sdwa v75, v71, v2 dst_sel:WORD_1 dst_unused:UNUSED_PAD src0_sel:BYTE_0 src1_sel:DWORD
	s_waitcnt vmcnt(1)
	v_xor_b32_e32 v0, v0, v70
	v_and_b32_e32 v70, 0xffffff00, v0
	v_sub_i16 v7, v70, v7 clamp
	v_lshlrev_b16_e32 v70, 8, v0
	v_and_b32_e32 v7, 0xffffff00, v7
	v_sub_i16 v6, v70, v6 clamp
	v_or_b32_sdwa v6, v6, v7 dst_sel:DWORD dst_unused:UNUSED_PAD src0_sel:BYTE_1 src1_sel:DWORD
	v_and_b32_sdwa v7, v0, s30 dst_sel:DWORD dst_unused:UNUSED_PAD src0_sel:WORD_1 src1_sel:DWORD
	v_sub_i16 v7, v7, v69 clamp
	v_lshlrev_b16_sdwa v0, v52, v0 dst_sel:DWORD dst_unused:UNUSED_PAD src0_sel:DWORD src1_sel:WORD_1
	v_and_b32_e32 v7, 0xffffff00, v7
	v_sub_i16 v0, v0, v5 clamp
	v_or_b32_sdwa v74, v74, v75 dst_sel:DWORD dst_unused:UNUSED_PAD src0_sel:WORD_0 src1_sel:DWORD
	v_or_b32_sdwa v0, v0, v7 dst_sel:WORD_1 dst_unused:UNUSED_PAD src0_sel:BYTE_1 src1_sel:DWORD
	s_nop 0
	v_or_b32_sdwa v81, v6, v0 dst_sel:DWORD dst_unused:UNUSED_PAD src0_sel:WORD_0 src1_sel:DWORD
	s_waitcnt vmcnt(0)
	v_xor_b32_e32 v0, v1, v74
	v_and_b32_e32 v1, 0xffffff00, v0
	v_sub_i16 v1, v1, v73 clamp
	v_lshlrev_b16_e32 v5, 8, v0
	v_lshlrev_b16_e32 v6, 8, v72
	v_and_b32_e32 v1, 0xffffff00, v1
	v_sub_i16 v5, v5, v6 clamp
	v_or_b32_sdwa v1, v5, v1 dst_sel:DWORD dst_unused:UNUSED_PAD src0_sel:BYTE_1 src1_sel:DWORD
	v_and_b32_sdwa v5, v0, s30 dst_sel:DWORD dst_unused:UNUSED_PAD src0_sel:WORD_1 src1_sel:DWORD
	v_sub_i16 v2, v5, v2 clamp
	v_lshlrev_b16_sdwa v0, v52, v0 dst_sel:DWORD dst_unused:UNUSED_PAD src0_sel:DWORD src1_sel:WORD_1
	v_lshlrev_b16_e32 v5, 8, v71
	v_and_b32_e32 v2, 0xffffff00, v2
	v_sub_i16 v0, v0, v5 clamp
	v_or_b32_sdwa v0, v0, v2 dst_sel:WORD_1 dst_unused:UNUSED_PAD src0_sel:BYTE_1 src1_sel:DWORD
	v_dot4c_i32_i8_e32 v68, v81, v3
	v_or_b32_sdwa v82, v1, v0 dst_sel:DWORD dst_unused:UNUSED_PAD src0_sel:WORD_0 src1_sel:DWORD
	global_load_ushort v0, v[32:33], off
	global_load_ubyte v1, v[28:29], off offset:106
	global_load_ubyte v2, v[34:35], off offset:106
	v_dot4c_i32_i8_e32 v68, v82, v8
	v_cvt_f32_f16_e32 v72, v67
	v_mov_b32_e32 v67, 0
	s_waitcnt vmcnt(2)
	v_cvt_f32_f16_e32 v73, v0
	s_waitcnt vmcnt(1)
	v_lshrrev_b32_e32 v1, v18, v1
	s_waitcnt vmcnt(0)
	v_lshrrev_b32_e32 v2, v13, v2
	v_lshlrev_b32_e32 v1, 1, v1
	v_lshlrev_b32_e32 v2, 1, v2
	v_and_or_b32 v83, v2, 30, 1
	v_and_or_b32 v85, v1, 30, 1
	v_mul_lo_u32 v1, v11, v85
	v_mul_lo_u32 v2, v68, v83
	v_cvt_f32_i32_e32 v7, v2
	v_cvt_f32_i32_e32 v6, v1
	scratch_load_dwordx4 v[0:3], off, off offset:16
	v_pk_mul_f32 v[4:5], v[4:5], v[72:73] op_sel_hi:[0,1]
	s_waitcnt vmcnt(0)
	v_pk_fma_f32 v[0:1], v[4:5], v[6:7], v[0:1]
	v_add_u32_e32 v4, s26, v51
	v_mad_u64_u32 v[4:5], s[34:35], v4, 36, s[24:25]
	v_mad_u64_u32 v[74:75], s[34:35], v14, 36, v[4:5]
	global_load_dword v11, v[74:75], off offset:32
	global_load_dwordx4 v[4:7], v[74:75], off offset:16
	global_load_dwordx4 v[68:71], v[74:75], off
	s_waitcnt vmcnt(0)
	v_dot4c_i32_i8_e32 v67, v9, v69
	v_mov_b32_e32 v9, 0
	v_dot4c_i32_i8_e32 v9, v77, v69
	v_dot4c_i32_i8_e32 v67, v10, v70
	;; [unrolled: 1-line block ×15, first 2 shown]
	v_cvt_f32_f16_e32 v8, v68
	s_nop 0
	v_mul_lo_u32 v6, v67, v85
	v_mul_lo_u32 v7, v9, v83
	v_cvt_f32_i32_e32 v7, v7
	v_cvt_f32_i32_e32 v6, v6
	v_pk_mul_f32 v[4:5], v[8:9], v[72:73] op_sel_hi:[0,1]
	v_pk_fma_f32 v[2:3], v[4:5], v[6:7], v[2:3]
	scratch_store_dwordx4 off, v[0:3], off offset:16
	s_nop 1
	v_add_u32_e32 v0, s19, v51
	v_mad_u64_u32 v[0:1], s[34:35], v0, 36, s[24:25]
	v_mad_u64_u32 v[10:11], s[34:35], v14, 36, v[0:1]
	global_load_dword v8, v[10:11], off offset:32
	global_load_dwordx4 v[0:3], v[10:11], off offset:16
	global_load_dwordx4 v[4:7], v[10:11], off
	global_load_ushort v9, v[36:37], off offset:2
	global_load_ushort v63, v[36:37], off offset:4
	s_nop 0
	global_load_ushort v11, v[36:37], off offset:6
	global_load_ushort v10, v[36:37], off offset:8
	global_load_ubyte v75, v[38:39], off offset:66
	global_load_ushort v64, v[40:41], off offset:74
	global_load_ushort v76, v[40:41], off offset:76
	s_waitcnt vmcnt(6)
	v_and_b32_sdwa v36, s28, v9 dst_sel:DWORD dst_unused:UNUSED_PAD src0_sel:DWORD src1_sel:BYTE_0
	s_waitcnt vmcnt(2)
	v_lshlrev_b32_e32 v37, 8, v75
	v_and_b32_e32 v81, 0x100, v37
	v_or_b32_e32 v36, v81, v36
	v_lshlrev_b32_e32 v36, 2, v36
	global_load_dword v36, v36, s[20:21]
	v_lshlrev_b32_e32 v37, 7, v75
	v_and_b32_e32 v82, 0x100, v37
	v_or_b32_sdwa v9, v82, v9 dst_sel:DWORD dst_unused:UNUSED_PAD src0_sel:DWORD src1_sel:BYTE_1
	v_lshlrev_b32_e32 v9, 2, v9
	global_load_dword v9, v9, s[20:21]
	s_waitcnt vmcnt(3)
	v_and_b32_sdwa v37, s28, v64 dst_sel:DWORD dst_unused:UNUSED_PAD src0_sel:DWORD src1_sel:BYTE_0
	v_bfe_u32 v41, v37, 3, 1
	v_lshlrev_b32_e32 v38, 5, v37
	v_lshrrev_b32_e32 v40, 1, v37
	v_cmp_ne_u16_e32 vcc, 0, v41
	v_and_b32_e32 v39, 1, v64
	v_bfe_i32 v40, v40, 0, 1
	v_lshrrev_b16_e32 v38, 7, v38
	v_cndmask_b32_e64 v41, 0, -1, vcc
	v_sub_u16_e32 v39, 0, v39
	v_bfe_i32 v38, v38, 0, 1
	v_lshlrev_b16_e32 v40, 8, v40
	v_lshlrev_b16_e32 v41, 8, v41
	v_or_b32_sdwa v48, v39, v40 dst_sel:DWORD dst_unused:UNUSED_PAD src0_sel:BYTE_0 src1_sel:DWORD
	v_or_b32_sdwa v49, v38, v41 dst_sel:WORD_1 dst_unused:UNUSED_PAD src0_sel:BYTE_0 src1_sel:DWORD
	v_bfe_i32 v65, v37, 4, 1
	v_or_b32_sdwa v48, v48, v49 dst_sel:DWORD dst_unused:UNUSED_PAD src0_sel:WORD_0 src1_sel:DWORD
	v_lshlrev_b32_e32 v49, 1, v37
	v_lshrrev_b32_e32 v66, 5, v37
	v_lshrrev_b32_e32 v37, 7, v37
	v_cmp_ne_u16_e32 vcc, 0, v37
	v_bfe_i32 v66, v66, 0, 1
	v_lshrrev_b16_e32 v49, 7, v49
	v_cndmask_b32_e64 v37, 0, -1, vcc
	v_lshlrev_b16_e32 v39, 8, v39
	v_bfe_i32 v49, v49, 0, 1
	v_lshlrev_b16_e32 v66, 8, v66
	v_lshlrev_b16_e32 v37, 8, v37
	v_or_b32_sdwa v67, v65, v66 dst_sel:DWORD dst_unused:UNUSED_PAD src0_sel:BYTE_0 src1_sel:DWORD
	v_or_b32_sdwa v68, v49, v37 dst_sel:WORD_1 dst_unused:UNUSED_PAD src0_sel:BYTE_0 src1_sel:DWORD
	v_lshlrev_b16_e32 v38, 8, v38
	v_or_b32_sdwa v67, v67, v68 dst_sel:DWORD dst_unused:UNUSED_PAD src0_sel:WORD_0 src1_sel:DWORD
	v_cvt_f32_f16_e32 v4, v4
	s_waitcnt vmcnt(1)
	v_xor_b32_e32 v36, v36, v48
	v_and_b32_e32 v48, 0xffffff00, v36
	v_sub_i16 v40, v48, v40 clamp
	v_lshlrev_b16_e32 v48, 8, v36
	v_and_b32_e32 v40, 0xffffff00, v40
	v_sub_i16 v39, v48, v39 clamp
	v_or_b32_sdwa v39, v39, v40 dst_sel:DWORD dst_unused:UNUSED_PAD src0_sel:BYTE_1 src1_sel:DWORD
	v_and_b32_sdwa v40, v36, s30 dst_sel:DWORD dst_unused:UNUSED_PAD src0_sel:WORD_1 src1_sel:DWORD
	v_sub_i16 v40, v40, v41 clamp
	v_lshlrev_b16_sdwa v36, v52, v36 dst_sel:DWORD dst_unused:UNUSED_PAD src0_sel:DWORD src1_sel:WORD_1
	v_and_b32_e32 v40, 0xffffff00, v40
	v_sub_i16 v36, v36, v38 clamp
	s_waitcnt vmcnt(0)
	v_xor_b32_e32 v9, v9, v67
	v_or_b32_sdwa v36, v36, v40 dst_sel:WORD_1 dst_unused:UNUSED_PAD src0_sel:BYTE_1 src1_sel:DWORD
	v_and_b32_e32 v38, 0xffffff00, v9
	v_or_b32_sdwa v36, v39, v36 dst_sel:DWORD dst_unused:UNUSED_PAD src0_sel:WORD_0 src1_sel:DWORD
	v_sub_i16 v38, v38, v66 clamp
	v_lshlrev_b16_e32 v39, 8, v9
	v_lshlrev_b16_e32 v40, 8, v65
	v_and_b32_e32 v38, 0xffffff00, v38
	v_sub_i16 v39, v39, v40 clamp
	v_or_b32_sdwa v38, v39, v38 dst_sel:DWORD dst_unused:UNUSED_PAD src0_sel:BYTE_1 src1_sel:DWORD
	v_and_b32_sdwa v39, v9, s30 dst_sel:DWORD dst_unused:UNUSED_PAD src0_sel:WORD_1 src1_sel:DWORD
	v_sub_i16 v37, v39, v37 clamp
	v_lshlrev_b16_sdwa v9, v52, v9 dst_sel:DWORD dst_unused:UNUSED_PAD src0_sel:DWORD src1_sel:WORD_1
	v_lshlrev_b16_e32 v39, 8, v49
	v_and_b32_e32 v37, 0xffffff00, v37
	v_sub_i16 v9, v9, v39 clamp
	v_or_b32_sdwa v9, v9, v37 dst_sel:WORD_1 dst_unused:UNUSED_PAD src0_sel:BYTE_1 src1_sel:DWORD
	v_lshlrev_b16_e32 v40, 7, v64
	v_or_b32_sdwa v37, v38, v9 dst_sel:DWORD dst_unused:UNUSED_PAD src0_sel:WORD_0 src1_sel:DWORD
	v_mov_b32_e32 v9, 0
	v_dot4c_i32_i8_e32 v9, v36, v5
	v_dot4c_i32_i8_e32 v9, v37, v6
	v_lshlrev_b32_e32 v37, 6, v75
	v_and_b32_sdwa v36, s28, v63 dst_sel:DWORD dst_unused:UNUSED_PAD src0_sel:DWORD src1_sel:BYTE_0
	v_and_b32_e32 v48, 0x100, v37
	v_or_b32_e32 v36, v48, v36
	v_lshlrev_b32_e32 v36, 2, v36
	global_load_dword v36, v36, s[20:21]
	v_lshlrev_b32_e32 v37, 5, v75
	v_and_b32_e32 v49, 0x100, v37
	v_or_b32_sdwa v37, v49, v63 dst_sel:DWORD dst_unused:UNUSED_PAD src0_sel:DWORD src1_sel:BYTE_1
	v_lshlrev_b32_e32 v37, 2, v37
	global_load_dword v37, v37, s[20:21]
	v_lshrrev_b16_e32 v38, 8, v64
	v_bfe_u32 v63, v38, 3, 1
	v_lshlrev_b32_e32 v39, 5, v38
	v_lshrrev_b32_e32 v41, 1, v38
	v_cmp_ne_u16_e32 vcc, 0, v63
	v_bfe_i32 v41, v41, 0, 1
	v_lshrrev_b16_e32 v39, 7, v39
	v_cndmask_b32_e64 v63, 0, -1, vcc
	v_ashrrev_i16_e32 v40, 15, v40
	v_bfe_i32 v39, v39, 0, 1
	v_lshlrev_b16_e32 v41, 8, v41
	v_lshlrev_b16_e32 v63, 8, v63
	v_or_b32_sdwa v64, v40, v41 dst_sel:DWORD dst_unused:UNUSED_PAD src0_sel:BYTE_0 src1_sel:DWORD
	v_or_b32_sdwa v65, v39, v63 dst_sel:WORD_1 dst_unused:UNUSED_PAD src0_sel:BYTE_0 src1_sel:DWORD
	v_bfe_i32 v66, v38, 4, 1
	v_or_b32_sdwa v64, v64, v65 dst_sel:DWORD dst_unused:UNUSED_PAD src0_sel:WORD_0 src1_sel:DWORD
	v_lshlrev_b32_e32 v65, 1, v38
	v_lshrrev_b32_e32 v67, 5, v38
	v_lshrrev_b32_e32 v38, 7, v38
	v_cmp_ne_u16_e32 vcc, 0, v38
	v_bfe_i32 v67, v67, 0, 1
	v_lshrrev_b16_e32 v65, 7, v65
	v_cndmask_b32_e64 v38, 0, -1, vcc
	v_lshlrev_b16_e32 v40, 8, v40
	v_bfe_i32 v65, v65, 0, 1
	v_lshlrev_b16_e32 v67, 8, v67
	v_lshlrev_b16_e32 v38, 8, v38
	v_or_b32_sdwa v68, v66, v67 dst_sel:DWORD dst_unused:UNUSED_PAD src0_sel:BYTE_0 src1_sel:DWORD
	v_or_b32_sdwa v69, v65, v38 dst_sel:WORD_1 dst_unused:UNUSED_PAD src0_sel:BYTE_0 src1_sel:DWORD
	v_lshlrev_b16_e32 v39, 8, v39
	v_or_b32_sdwa v68, v68, v69 dst_sel:DWORD dst_unused:UNUSED_PAD src0_sel:WORD_0 src1_sel:DWORD
	v_and_or_b32 v48, v56, s23, v48
	v_lshlrev_b32_e32 v48, 2, v48
	v_or_b32_sdwa v49, v49, v56 dst_sel:DWORD dst_unused:UNUSED_PAD src0_sel:DWORD src1_sel:BYTE_1
	v_lshlrev_b32_e32 v49, 2, v49
	v_lshrrev_b16_e32 v56, 8, v57
	s_waitcnt vmcnt(1)
	v_xor_b32_e32 v36, v36, v64
	v_and_b32_e32 v64, 0xffffff00, v36
	v_sub_i16 v41, v64, v41 clamp
	v_lshlrev_b16_e32 v64, 8, v36
	v_and_b32_e32 v41, 0xffffff00, v41
	v_sub_i16 v40, v64, v40 clamp
	v_or_b32_sdwa v40, v40, v41 dst_sel:DWORD dst_unused:UNUSED_PAD src0_sel:BYTE_1 src1_sel:DWORD
	v_and_b32_sdwa v41, v36, s30 dst_sel:DWORD dst_unused:UNUSED_PAD src0_sel:WORD_1 src1_sel:DWORD
	v_sub_i16 v41, v41, v63 clamp
	v_lshlrev_b16_sdwa v36, v52, v36 dst_sel:DWORD dst_unused:UNUSED_PAD src0_sel:DWORD src1_sel:WORD_1
	v_and_b32_e32 v41, 0xffffff00, v41
	v_sub_i16 v36, v36, v39 clamp
	s_waitcnt vmcnt(0)
	v_xor_b32_e32 v37, v37, v68
	v_or_b32_sdwa v36, v36, v41 dst_sel:WORD_1 dst_unused:UNUSED_PAD src0_sel:BYTE_1 src1_sel:DWORD
	v_and_b32_e32 v39, 0xffffff00, v37
	v_or_b32_sdwa v36, v40, v36 dst_sel:DWORD dst_unused:UNUSED_PAD src0_sel:WORD_0 src1_sel:DWORD
	v_sub_i16 v39, v39, v67 clamp
	v_lshlrev_b16_e32 v40, 8, v37
	v_lshlrev_b16_e32 v41, 8, v66
	v_and_b32_e32 v39, 0xffffff00, v39
	v_sub_i16 v40, v40, v41 clamp
	v_or_b32_sdwa v39, v40, v39 dst_sel:DWORD dst_unused:UNUSED_PAD src0_sel:BYTE_1 src1_sel:DWORD
	v_and_b32_sdwa v40, v37, s30 dst_sel:DWORD dst_unused:UNUSED_PAD src0_sel:WORD_1 src1_sel:DWORD
	v_sub_i16 v38, v40, v38 clamp
	v_lshlrev_b16_sdwa v37, v52, v37 dst_sel:DWORD dst_unused:UNUSED_PAD src0_sel:DWORD src1_sel:WORD_1
	v_lshlrev_b16_e32 v40, 8, v65
	v_and_b32_e32 v38, 0xffffff00, v38
	v_sub_i16 v37, v37, v40 clamp
	v_or_b32_sdwa v37, v37, v38 dst_sel:WORD_1 dst_unused:UNUSED_PAD src0_sel:BYTE_1 src1_sel:DWORD
	v_dot4c_i32_i8_e32 v9, v36, v7
	v_or_b32_sdwa v37, v39, v37 dst_sel:DWORD dst_unused:UNUSED_PAD src0_sel:WORD_0 src1_sel:DWORD
	v_dot4c_i32_i8_e32 v9, v37, v0
	v_lshlrev_b32_e32 v37, 4, v75
	v_and_b32_sdwa v36, s28, v11 dst_sel:DWORD dst_unused:UNUSED_PAD src0_sel:DWORD src1_sel:BYTE_0
	v_and_b32_e32 v63, 0x100, v37
	v_or_b32_e32 v36, v63, v36
	v_lshlrev_b32_e32 v36, 2, v36
	global_load_dword v36, v36, s[20:21]
	v_lshlrev_b32_e32 v37, 3, v75
	v_and_b32_e32 v64, 0x100, v37
	v_or_b32_sdwa v11, v64, v11 dst_sel:DWORD dst_unused:UNUSED_PAD src0_sel:DWORD src1_sel:BYTE_1
	v_lshlrev_b32_e32 v11, 2, v11
	global_load_dword v11, v11, s[20:21]
	v_and_b32_sdwa v37, s28, v76 dst_sel:DWORD dst_unused:UNUSED_PAD src0_sel:DWORD src1_sel:BYTE_0
	v_bfe_u32 v41, v37, 3, 1
	v_lshlrev_b32_e32 v38, 5, v37
	v_lshrrev_b32_e32 v40, 1, v37
	v_cmp_ne_u16_e32 vcc, 0, v41
	v_and_b32_e32 v39, 1, v76
	v_bfe_i32 v40, v40, 0, 1
	v_lshrrev_b16_e32 v38, 7, v38
	v_cndmask_b32_e64 v41, 0, -1, vcc
	v_sub_u16_e32 v39, 0, v39
	v_bfe_i32 v38, v38, 0, 1
	v_lshlrev_b16_e32 v67, 8, v40
	v_lshlrev_b16_e32 v65, 8, v41
	v_or_b32_sdwa v40, v39, v67 dst_sel:DWORD dst_unused:UNUSED_PAD src0_sel:BYTE_0 src1_sel:DWORD
	v_or_b32_sdwa v41, v38, v65 dst_sel:WORD_1 dst_unused:UNUSED_PAD src0_sel:BYTE_0 src1_sel:DWORD
	v_lshrrev_b32_e32 v66, 5, v37
	v_or_b32_sdwa v69, v40, v41 dst_sel:DWORD dst_unused:UNUSED_PAD src0_sel:WORD_0 src1_sel:DWORD
	v_lshlrev_b32_e32 v40, 1, v37
	v_bfe_i32 v41, v37, 4, 1
	v_lshrrev_b32_e32 v37, 7, v37
	v_cmp_ne_u16_e32 vcc, 0, v37
	v_bfe_i32 v66, v66, 0, 1
	v_lshrrev_b16_e32 v40, 7, v40
	v_cndmask_b32_e64 v37, 0, -1, vcc
	v_bfe_i32 v40, v40, 0, 1
	v_lshlrev_b16_e32 v68, 8, v66
	v_lshlrev_b16_e32 v66, 8, v37
	v_or_b32_sdwa v70, v41, v68 dst_sel:DWORD dst_unused:UNUSED_PAD src0_sel:BYTE_0 src1_sel:DWORD
	v_or_b32_sdwa v37, v40, v66 dst_sel:WORD_1 dst_unused:UNUSED_PAD src0_sel:BYTE_0 src1_sel:DWORD
	v_lshlrev_b16_e32 v71, 8, v39
	v_or_b32_sdwa v70, v70, v37 dst_sel:DWORD dst_unused:UNUSED_PAD src0_sel:WORD_0 src1_sel:DWORD
	v_lshlrev_b16_e32 v73, 8, v41
	v_lshlrev_b16_e32 v74, 8, v40
	s_waitcnt vmcnt(1)
	v_xor_b32_e32 v36, v36, v69
	v_and_b32_e32 v37, 0xffffff00, v36
	v_sub_i16 v37, v37, v67 clamp
	v_lshlrev_b16_e32 v72, 8, v36
	v_and_b32_e32 v37, 0xffffff00, v37
	v_sub_i16 v39, v72, v71 clamp
	v_or_b32_sdwa v37, v39, v37 dst_sel:DWORD dst_unused:UNUSED_PAD src0_sel:BYTE_1 src1_sel:DWORD
	v_and_b32_sdwa v39, v36, s30 dst_sel:DWORD dst_unused:UNUSED_PAD src0_sel:WORD_1 src1_sel:DWORD
	v_sub_i16 v39, v39, v65 clamp
	v_lshlrev_b16_sdwa v36, v52, v36 dst_sel:DWORD dst_unused:UNUSED_PAD src0_sel:DWORD src1_sel:WORD_1
	v_lshlrev_b16_e32 v72, 8, v38
	v_and_b32_e32 v39, 0xffffff00, v39
	v_sub_i16 v36, v36, v72 clamp
	v_or_b32_sdwa v36, v36, v39 dst_sel:WORD_1 dst_unused:UNUSED_PAD src0_sel:BYTE_1 src1_sel:DWORD
	s_waitcnt vmcnt(0)
	v_xor_b32_e32 v11, v11, v70
	v_or_b32_sdwa v36, v37, v36 dst_sel:DWORD dst_unused:UNUSED_PAD src0_sel:WORD_0 src1_sel:DWORD
	v_and_b32_e32 v37, 0xffffff00, v11
	v_sub_i16 v37, v37, v68 clamp
	v_lshlrev_b16_e32 v38, 8, v11
	v_and_b32_e32 v37, 0xffffff00, v37
	v_sub_i16 v38, v38, v73 clamp
	v_or_b32_sdwa v37, v38, v37 dst_sel:DWORD dst_unused:UNUSED_PAD src0_sel:BYTE_1 src1_sel:DWORD
	v_and_b32_sdwa v38, v11, s30 dst_sel:DWORD dst_unused:UNUSED_PAD src0_sel:WORD_1 src1_sel:DWORD
	v_sub_i16 v38, v38, v66 clamp
	v_lshlrev_b16_sdwa v11, v52, v11 dst_sel:DWORD dst_unused:UNUSED_PAD src0_sel:DWORD src1_sel:WORD_1
	v_and_b32_e32 v38, 0xffffff00, v38
	v_sub_i16 v11, v11, v74 clamp
	v_or_b32_sdwa v11, v11, v38 dst_sel:WORD_1 dst_unused:UNUSED_PAD src0_sel:BYTE_1 src1_sel:DWORD
	v_dot4c_i32_i8_e32 v9, v36, v1
	v_or_b32_sdwa v11, v37, v11 dst_sel:DWORD dst_unused:UNUSED_PAD src0_sel:WORD_0 src1_sel:DWORD
	v_dot4c_i32_i8_e32 v9, v11, v2
	v_and_b32_sdwa v11, s28, v10 dst_sel:DWORD dst_unused:UNUSED_PAD src0_sel:DWORD src1_sel:BYTE_0
	v_lshlrev_b32_e32 v36, 2, v75
	v_and_or_b32 v11, v36, s29, v11
	v_lshlrev_b32_e32 v11, 2, v11
	global_load_dword v11, v11, s[20:21]
	v_lshrrev_b16_e32 v10, 8, v10
	v_lshlrev_b32_e32 v36, 1, v75
	v_and_or_b32 v10, v36, s29, v10
	v_lshlrev_b32_e32 v10, 2, v10
	global_load_dword v10, v10, s[20:21]
	v_lshrrev_b16_e32 v36, 8, v76
	v_bfe_u32 v40, v36, 3, 1
	v_lshlrev_b32_e32 v37, 5, v36
	v_lshrrev_b32_e32 v39, 1, v36
	v_cmp_ne_u16_e32 vcc, 0, v40
	v_lshlrev_b16_e32 v38, 7, v76
	v_bfe_i32 v39, v39, 0, 1
	v_lshrrev_b16_e32 v37, 7, v37
	v_cndmask_b32_e64 v40, 0, -1, vcc
	v_ashrrev_i16_e32 v38, 15, v38
	v_bfe_i32 v37, v37, 0, 1
	v_lshlrev_b16_e32 v39, 8, v39
	v_lshlrev_b16_e32 v40, 8, v40
	v_or_b32_sdwa v41, v38, v39 dst_sel:DWORD dst_unused:UNUSED_PAD src0_sel:BYTE_0 src1_sel:DWORD
	v_or_b32_sdwa v75, v37, v40 dst_sel:WORD_1 dst_unused:UNUSED_PAD src0_sel:BYTE_0 src1_sel:DWORD
	v_bfe_i32 v76, v36, 4, 1
	v_or_b32_sdwa v41, v41, v75 dst_sel:DWORD dst_unused:UNUSED_PAD src0_sel:WORD_0 src1_sel:DWORD
	v_lshlrev_b32_e32 v75, 1, v36
	v_lshrrev_b32_e32 v77, 5, v36
	v_lshrrev_b32_e32 v36, 7, v36
	v_cmp_ne_u16_e32 vcc, 0, v36
	v_lshlrev_b16_e32 v38, 8, v38
	v_bfe_i32 v77, v77, 0, 1
	v_lshrrev_b16_e32 v75, 7, v75
	v_cndmask_b32_e64 v36, 0, -1, vcc
	v_bfe_i32 v78, v75, 0, 1
	v_lshlrev_b16_e32 v77, 8, v77
	v_lshlrev_b16_e32 v36, 8, v36
	v_or_b32_sdwa v75, v76, v77 dst_sel:DWORD dst_unused:UNUSED_PAD src0_sel:BYTE_0 src1_sel:DWORD
	v_or_b32_sdwa v79, v78, v36 dst_sel:WORD_1 dst_unused:UNUSED_PAD src0_sel:BYTE_0 src1_sel:DWORD
	v_lshlrev_b16_e32 v37, 8, v37
	v_or_b32_sdwa v79, v75, v79 dst_sel:DWORD dst_unused:UNUSED_PAD src0_sel:WORD_0 src1_sel:DWORD
	s_waitcnt vmcnt(1)
	v_xor_b32_e32 v11, v11, v41
	v_and_b32_e32 v41, 0xffffff00, v11
	v_sub_i16 v39, v41, v39 clamp
	v_lshlrev_b16_e32 v41, 8, v11
	v_and_b32_e32 v39, 0xffffff00, v39
	v_sub_i16 v38, v41, v38 clamp
	v_or_b32_sdwa v38, v38, v39 dst_sel:DWORD dst_unused:UNUSED_PAD src0_sel:BYTE_1 src1_sel:DWORD
	v_and_b32_sdwa v39, v11, s30 dst_sel:DWORD dst_unused:UNUSED_PAD src0_sel:WORD_1 src1_sel:DWORD
	v_sub_i16 v39, v39, v40 clamp
	v_lshlrev_b16_sdwa v11, v52, v11 dst_sel:DWORD dst_unused:UNUSED_PAD src0_sel:DWORD src1_sel:WORD_1
	v_and_b32_e32 v39, 0xffffff00, v39
	v_sub_i16 v11, v11, v37 clamp
	v_or_b32_sdwa v11, v11, v39 dst_sel:WORD_1 dst_unused:UNUSED_PAD src0_sel:BYTE_1 src1_sel:DWORD
	s_waitcnt vmcnt(0)
	v_xor_b32_e32 v10, v10, v79
	v_or_b32_sdwa v75, v38, v11 dst_sel:DWORD dst_unused:UNUSED_PAD src0_sel:WORD_0 src1_sel:DWORD
	v_and_b32_e32 v11, 0xffffff00, v10
	v_sub_i16 v11, v11, v77 clamp
	v_lshlrev_b16_e32 v37, 8, v10
	v_lshlrev_b16_e32 v38, 8, v76
	v_and_b32_e32 v11, 0xffffff00, v11
	v_sub_i16 v37, v37, v38 clamp
	v_or_b32_sdwa v11, v37, v11 dst_sel:DWORD dst_unused:UNUSED_PAD src0_sel:BYTE_1 src1_sel:DWORD
	v_and_b32_sdwa v37, v10, s30 dst_sel:DWORD dst_unused:UNUSED_PAD src0_sel:WORD_1 src1_sel:DWORD
	v_sub_i16 v36, v37, v36 clamp
	v_lshlrev_b16_sdwa v10, v52, v10 dst_sel:DWORD dst_unused:UNUSED_PAD src0_sel:DWORD src1_sel:WORD_1
	v_lshlrev_b16_e32 v37, 8, v78
	v_and_b32_e32 v36, 0xffffff00, v36
	v_sub_i16 v10, v10, v37 clamp
	v_or_b32_sdwa v10, v10, v36 dst_sel:WORD_1 dst_unused:UNUSED_PAD src0_sel:BYTE_1 src1_sel:DWORD
	v_dot4c_i32_i8_e32 v9, v75, v3
	v_or_b32_sdwa v76, v11, v10 dst_sel:DWORD dst_unused:UNUSED_PAD src0_sel:WORD_0 src1_sel:DWORD
	global_load_ushort v10, v[30:31], off
	global_load_ushort v11, v[42:43], off offset:2
	global_load_ushort v37, v[42:43], off offset:4
	;; [unrolled: 1-line block ×4, first 2 shown]
	global_load_ubyte v84, v[44:45], off offset:66
	global_load_ushort v38, v[46:47], off offset:74
	global_load_ushort v85, v[46:47], off offset:76
	v_dot4c_i32_i8_e32 v9, v76, v8
	s_waitcnt vmcnt(6)
	v_and_b32_sdwa v30, s28, v11 dst_sel:DWORD dst_unused:UNUSED_PAD src0_sel:DWORD src1_sel:BYTE_0
	s_waitcnt vmcnt(2)
	v_lshlrev_b32_e32 v31, 8, v84
	v_and_b32_e32 v79, 0x100, v31
	v_or_b32_e32 v30, v79, v30
	v_lshlrev_b32_e32 v30, 2, v30
	global_load_dword v30, v30, s[20:21]
	v_lshlrev_b32_e32 v31, 7, v84
	v_and_b32_e32 v80, 0x100, v31
	v_or_b32_sdwa v11, v80, v11 dst_sel:DWORD dst_unused:UNUSED_PAD src0_sel:DWORD src1_sel:BYTE_1
	v_lshlrev_b32_e32 v11, 2, v11
	global_load_dword v11, v11, s[20:21]
	s_waitcnt vmcnt(3)
	v_and_b32_sdwa v31, s28, v38 dst_sel:DWORD dst_unused:UNUSED_PAD src0_sel:DWORD src1_sel:BYTE_0
	v_bfe_u32 v42, v31, 3, 1
	v_lshlrev_b32_e32 v39, 5, v31
	v_lshrrev_b32_e32 v41, 1, v31
	v_cmp_ne_u16_e32 vcc, 0, v42
	v_and_b32_e32 v40, 1, v38
	v_bfe_i32 v41, v41, 0, 1
	v_lshrrev_b16_e32 v39, 7, v39
	v_cndmask_b32_e64 v42, 0, -1, vcc
	v_sub_u16_e32 v40, 0, v40
	v_bfe_i32 v39, v39, 0, 1
	v_lshlrev_b16_e32 v41, 8, v41
	v_lshlrev_b16_e32 v42, 8, v42
	v_or_b32_sdwa v43, v40, v41 dst_sel:DWORD dst_unused:UNUSED_PAD src0_sel:BYTE_0 src1_sel:DWORD
	v_or_b32_sdwa v44, v39, v42 dst_sel:WORD_1 dst_unused:UNUSED_PAD src0_sel:BYTE_0 src1_sel:DWORD
	v_bfe_i32 v45, v31, 4, 1
	v_or_b32_sdwa v43, v43, v44 dst_sel:DWORD dst_unused:UNUSED_PAD src0_sel:WORD_0 src1_sel:DWORD
	v_lshlrev_b32_e32 v44, 1, v31
	v_lshrrev_b32_e32 v46, 5, v31
	v_lshrrev_b32_e32 v31, 7, v31
	v_cmp_ne_u16_e32 vcc, 0, v31
	v_bfe_i32 v46, v46, 0, 1
	v_lshrrev_b16_e32 v44, 7, v44
	v_cndmask_b32_e64 v31, 0, -1, vcc
	v_lshlrev_b16_e32 v40, 8, v40
	v_bfe_i32 v44, v44, 0, 1
	v_lshlrev_b16_e32 v46, 8, v46
	v_lshlrev_b16_e32 v31, 8, v31
	v_or_b32_sdwa v47, v45, v46 dst_sel:DWORD dst_unused:UNUSED_PAD src0_sel:BYTE_0 src1_sel:DWORD
	v_or_b32_sdwa v77, v44, v31 dst_sel:WORD_1 dst_unused:UNUSED_PAD src0_sel:BYTE_0 src1_sel:DWORD
	v_lshlrev_b16_e32 v39, 8, v39
	v_or_b32_sdwa v47, v47, v77 dst_sel:DWORD dst_unused:UNUSED_PAD src0_sel:WORD_0 src1_sel:DWORD
	s_waitcnt vmcnt(1)
	v_xor_b32_e32 v30, v30, v43
	v_and_b32_e32 v43, 0xffffff00, v30
	v_sub_i16 v41, v43, v41 clamp
	v_lshlrev_b16_e32 v43, 8, v30
	v_and_b32_e32 v41, 0xffffff00, v41
	v_sub_i16 v40, v43, v40 clamp
	v_or_b32_sdwa v40, v40, v41 dst_sel:DWORD dst_unused:UNUSED_PAD src0_sel:BYTE_1 src1_sel:DWORD
	v_and_b32_sdwa v41, v30, s30 dst_sel:DWORD dst_unused:UNUSED_PAD src0_sel:WORD_1 src1_sel:DWORD
	v_sub_i16 v41, v41, v42 clamp
	v_lshlrev_b16_sdwa v30, v52, v30 dst_sel:DWORD dst_unused:UNUSED_PAD src0_sel:DWORD src1_sel:WORD_1
	v_and_b32_e32 v41, 0xffffff00, v41
	v_sub_i16 v30, v30, v39 clamp
	s_waitcnt vmcnt(0)
	v_xor_b32_e32 v11, v11, v47
	v_or_b32_sdwa v30, v30, v41 dst_sel:WORD_1 dst_unused:UNUSED_PAD src0_sel:BYTE_1 src1_sel:DWORD
	v_and_b32_e32 v39, 0xffffff00, v11
	v_or_b32_sdwa v30, v40, v30 dst_sel:DWORD dst_unused:UNUSED_PAD src0_sel:WORD_0 src1_sel:DWORD
	v_sub_i16 v39, v39, v46 clamp
	v_lshlrev_b16_e32 v40, 8, v11
	v_lshlrev_b16_e32 v41, 8, v45
	v_and_b32_e32 v39, 0xffffff00, v39
	v_sub_i16 v40, v40, v41 clamp
	v_or_b32_sdwa v39, v40, v39 dst_sel:DWORD dst_unused:UNUSED_PAD src0_sel:BYTE_1 src1_sel:DWORD
	v_and_b32_sdwa v40, v11, s30 dst_sel:DWORD dst_unused:UNUSED_PAD src0_sel:WORD_1 src1_sel:DWORD
	v_sub_i16 v31, v40, v31 clamp
	v_lshlrev_b16_sdwa v11, v52, v11 dst_sel:DWORD dst_unused:UNUSED_PAD src0_sel:DWORD src1_sel:WORD_1
	v_lshlrev_b16_e32 v40, 8, v44
	v_and_b32_e32 v31, 0xffffff00, v31
	v_sub_i16 v11, v11, v40 clamp
	v_or_b32_sdwa v11, v11, v31 dst_sel:WORD_1 dst_unused:UNUSED_PAD src0_sel:BYTE_1 src1_sel:DWORD
	s_nop 0
	v_or_b32_sdwa v31, v39, v11 dst_sel:DWORD dst_unused:UNUSED_PAD src0_sel:WORD_0 src1_sel:DWORD
	v_mov_b32_e32 v11, 0
	v_dot4c_i32_i8_e32 v11, v30, v5
	v_dot4c_i32_i8_e32 v11, v31, v6
	v_lshlrev_b32_e32 v6, 6, v84
	v_and_b32_sdwa v5, s28, v37 dst_sel:DWORD dst_unused:UNUSED_PAD src0_sel:DWORD src1_sel:BYTE_0
	v_and_b32_e32 v77, 0x100, v6
	v_or_b32_e32 v5, v77, v5
	v_lshlrev_b32_e32 v5, 2, v5
	global_load_dword v5, v5, s[20:21]
	v_lshlrev_b32_e32 v6, 5, v84
	v_and_b32_e32 v78, 0x100, v6
	v_or_b32_sdwa v6, v78, v37 dst_sel:DWORD dst_unused:UNUSED_PAD src0_sel:DWORD src1_sel:BYTE_1
	v_lshlrev_b32_e32 v6, 2, v6
	global_load_dword v6, v6, s[20:21]
	v_lshrrev_b16_e32 v30, 8, v38
	v_bfe_u32 v39, v30, 3, 1
	v_lshlrev_b32_e32 v31, 5, v30
	v_lshlrev_b16_e32 v37, 7, v38
	v_lshrrev_b32_e32 v38, 1, v30
	v_cmp_ne_u16_e32 vcc, 0, v39
	v_bfe_i32 v38, v38, 0, 1
	v_lshrrev_b16_e32 v31, 7, v31
	v_cndmask_b32_e64 v39, 0, -1, vcc
	v_ashrrev_i16_e32 v37, 15, v37
	v_bfe_i32 v31, v31, 0, 1
	v_lshlrev_b16_e32 v38, 8, v38
	v_lshlrev_b16_e32 v39, 8, v39
	v_or_b32_sdwa v40, v37, v38 dst_sel:DWORD dst_unused:UNUSED_PAD src0_sel:BYTE_0 src1_sel:DWORD
	v_or_b32_sdwa v41, v31, v39 dst_sel:WORD_1 dst_unused:UNUSED_PAD src0_sel:BYTE_0 src1_sel:DWORD
	v_bfe_i32 v42, v30, 4, 1
	v_or_b32_sdwa v40, v40, v41 dst_sel:DWORD dst_unused:UNUSED_PAD src0_sel:WORD_0 src1_sel:DWORD
	v_lshlrev_b32_e32 v41, 1, v30
	v_lshrrev_b32_e32 v43, 5, v30
	v_lshrrev_b32_e32 v30, 7, v30
	v_cmp_ne_u16_e32 vcc, 0, v30
	v_bfe_i32 v43, v43, 0, 1
	v_lshrrev_b16_e32 v41, 7, v41
	v_cndmask_b32_e64 v30, 0, -1, vcc
	v_lshlrev_b16_e32 v37, 8, v37
	v_bfe_i32 v41, v41, 0, 1
	v_lshlrev_b16_e32 v43, 8, v43
	v_lshlrev_b16_e32 v30, 8, v30
	v_or_b32_sdwa v44, v42, v43 dst_sel:DWORD dst_unused:UNUSED_PAD src0_sel:BYTE_0 src1_sel:DWORD
	v_or_b32_sdwa v45, v41, v30 dst_sel:WORD_1 dst_unused:UNUSED_PAD src0_sel:BYTE_0 src1_sel:DWORD
	v_lshlrev_b16_e32 v31, 8, v31
	v_or_b32_sdwa v44, v44, v45 dst_sel:DWORD dst_unused:UNUSED_PAD src0_sel:WORD_0 src1_sel:DWORD
	s_waitcnt vmcnt(1)
	v_xor_b32_e32 v5, v5, v40
	v_and_b32_e32 v40, 0xffffff00, v5
	v_sub_i16 v38, v40, v38 clamp
	v_lshlrev_b16_e32 v40, 8, v5
	v_and_b32_e32 v38, 0xffffff00, v38
	v_sub_i16 v37, v40, v37 clamp
	v_or_b32_sdwa v37, v37, v38 dst_sel:DWORD dst_unused:UNUSED_PAD src0_sel:BYTE_1 src1_sel:DWORD
	v_and_b32_sdwa v38, v5, s30 dst_sel:DWORD dst_unused:UNUSED_PAD src0_sel:WORD_1 src1_sel:DWORD
	v_sub_i16 v38, v38, v39 clamp
	v_lshlrev_b16_sdwa v5, v52, v5 dst_sel:DWORD dst_unused:UNUSED_PAD src0_sel:DWORD src1_sel:WORD_1
	v_and_b32_e32 v38, 0xffffff00, v38
	v_sub_i16 v5, v5, v31 clamp
	s_waitcnt vmcnt(0)
	v_xor_b32_e32 v6, v6, v44
	v_or_b32_sdwa v5, v5, v38 dst_sel:WORD_1 dst_unused:UNUSED_PAD src0_sel:BYTE_1 src1_sel:DWORD
	v_and_b32_e32 v31, 0xffffff00, v6
	v_or_b32_sdwa v5, v37, v5 dst_sel:DWORD dst_unused:UNUSED_PAD src0_sel:WORD_0 src1_sel:DWORD
	v_sub_i16 v31, v31, v43 clamp
	v_lshlrev_b16_e32 v37, 8, v6
	v_lshlrev_b16_e32 v38, 8, v42
	v_and_b32_e32 v31, 0xffffff00, v31
	v_sub_i16 v37, v37, v38 clamp
	v_or_b32_sdwa v31, v37, v31 dst_sel:DWORD dst_unused:UNUSED_PAD src0_sel:BYTE_1 src1_sel:DWORD
	v_and_b32_sdwa v37, v6, s30 dst_sel:DWORD dst_unused:UNUSED_PAD src0_sel:WORD_1 src1_sel:DWORD
	v_sub_i16 v30, v37, v30 clamp
	v_lshlrev_b16_sdwa v6, v52, v6 dst_sel:DWORD dst_unused:UNUSED_PAD src0_sel:DWORD src1_sel:WORD_1
	v_lshlrev_b16_e32 v37, 8, v41
	v_and_b32_e32 v30, 0xffffff00, v30
	v_sub_i16 v6, v6, v37 clamp
	v_or_b32_sdwa v6, v6, v30 dst_sel:WORD_1 dst_unused:UNUSED_PAD src0_sel:BYTE_1 src1_sel:DWORD
	v_dot4c_i32_i8_e32 v11, v5, v7
	v_or_b32_sdwa v6, v31, v6 dst_sel:DWORD dst_unused:UNUSED_PAD src0_sel:WORD_0 src1_sel:DWORD
	v_lshlrev_b32_e32 v5, 4, v84
	v_dot4c_i32_i8_e32 v11, v6, v0
	v_and_b32_sdwa v0, s28, v36 dst_sel:DWORD dst_unused:UNUSED_PAD src0_sel:DWORD src1_sel:BYTE_0
	v_and_b32_e32 v45, 0x100, v5
	v_or_b32_e32 v0, v45, v0
	v_lshlrev_b32_e32 v0, 2, v0
	global_load_dword v0, v0, s[20:21]
	v_lshlrev_b32_e32 v5, 3, v84
	v_and_b32_e32 v46, 0x100, v5
	v_or_b32_sdwa v5, v46, v36 dst_sel:DWORD dst_unused:UNUSED_PAD src0_sel:DWORD src1_sel:BYTE_1
	v_lshlrev_b32_e32 v5, 2, v5
	global_load_dword v5, v5, s[20:21]
	v_and_b32_sdwa v6, s28, v85 dst_sel:DWORD dst_unused:UNUSED_PAD src0_sel:DWORD src1_sel:BYTE_0
	v_and_b32_e32 v30, 1, v85
	v_bfe_u32 v31, v6, 3, 1
	v_lshlrev_b32_e32 v7, 5, v6
	v_sub_u16_e32 v40, 0, v30
	v_lshrrev_b32_e32 v30, 1, v6
	v_cmp_ne_u16_e32 vcc, 0, v31
	v_bfe_i32 v30, v30, 0, 1
	v_lshrrev_b16_e32 v7, 7, v7
	v_cndmask_b32_e64 v31, 0, -1, vcc
	v_bfe_i32 v7, v7, 0, 1
	v_lshlrev_b16_e32 v36, 8, v30
	v_lshlrev_b16_e32 v30, 8, v31
	v_or_b32_sdwa v37, v40, v36 dst_sel:DWORD dst_unused:UNUSED_PAD src0_sel:BYTE_0 src1_sel:DWORD
	v_or_b32_sdwa v31, v7, v30 dst_sel:WORD_1 dst_unused:UNUSED_PAD src0_sel:BYTE_0 src1_sel:DWORD
	v_bfe_i32 v42, v6, 4, 1
	v_or_b32_sdwa v38, v37, v31 dst_sel:DWORD dst_unused:UNUSED_PAD src0_sel:WORD_0 src1_sel:DWORD
	v_lshlrev_b32_e32 v31, 1, v6
	v_lshrrev_b32_e32 v37, 5, v6
	v_lshrrev_b32_e32 v6, 7, v6
	v_cmp_ne_u16_e32 vcc, 0, v6
	v_bfe_i32 v37, v37, 0, 1
	v_lshrrev_b16_e32 v31, 7, v31
	v_cndmask_b32_e64 v6, 0, -1, vcc
	v_bfe_i32 v43, v31, 0, 1
	v_lshlrev_b16_e32 v37, 8, v37
	v_lshlrev_b16_e32 v31, 8, v6
	v_or_b32_sdwa v39, v42, v37 dst_sel:DWORD dst_unused:UNUSED_PAD src0_sel:BYTE_0 src1_sel:DWORD
	v_or_b32_sdwa v6, v43, v31 dst_sel:WORD_1 dst_unused:UNUSED_PAD src0_sel:BYTE_0 src1_sel:DWORD
	v_lshlrev_b16_e32 v40, 8, v40
	v_or_b32_sdwa v39, v39, v6 dst_sel:DWORD dst_unused:UNUSED_PAD src0_sel:WORD_0 src1_sel:DWORD
	v_lshlrev_b16_e32 v42, 8, v42
	v_lshlrev_b16_e32 v43, 8, v43
	s_waitcnt vmcnt(1)
	v_xor_b32_e32 v0, v0, v38
	v_and_b32_e32 v6, 0xffffff00, v0
	v_sub_i16 v6, v6, v36 clamp
	v_lshlrev_b16_e32 v41, 8, v0
	v_and_b32_e32 v6, 0xffffff00, v6
	v_sub_i16 v41, v41, v40 clamp
	v_or_b32_sdwa v6, v41, v6 dst_sel:DWORD dst_unused:UNUSED_PAD src0_sel:BYTE_1 src1_sel:DWORD
	v_and_b32_sdwa v41, v0, s30 dst_sel:DWORD dst_unused:UNUSED_PAD src0_sel:WORD_1 src1_sel:DWORD
	v_sub_i16 v41, v41, v30 clamp
	v_and_b32_e32 v44, 0xffffff00, v41
	v_lshlrev_b16_sdwa v0, v52, v0 dst_sel:DWORD dst_unused:UNUSED_PAD src0_sel:DWORD src1_sel:WORD_1
	v_lshlrev_b16_e32 v41, 8, v7
	v_sub_i16 v0, v0, v41 clamp
	v_or_b32_sdwa v0, v0, v44 dst_sel:WORD_1 dst_unused:UNUSED_PAD src0_sel:BYTE_1 src1_sel:DWORD
	s_waitcnt vmcnt(0)
	v_xor_b32_e32 v5, v5, v39
	v_or_b32_sdwa v0, v6, v0 dst_sel:DWORD dst_unused:UNUSED_PAD src0_sel:WORD_0 src1_sel:DWORD
	v_and_b32_e32 v6, 0xffffff00, v5
	v_dot4c_i32_i8_e32 v11, v0, v1
	v_and_b32_sdwa v0, s28, v83 dst_sel:DWORD dst_unused:UNUSED_PAD src0_sel:DWORD src1_sel:BYTE_0
	v_lshlrev_b32_e32 v1, 2, v84
	v_sub_i16 v6, v6, v37 clamp
	v_lshlrev_b16_e32 v7, 8, v5
	v_and_or_b32 v0, v1, s29, v0
	v_and_b32_e32 v6, 0xffffff00, v6
	v_sub_i16 v7, v7, v42 clamp
	v_lshlrev_b32_e32 v0, 2, v0
	v_or_b32_sdwa v6, v7, v6 dst_sel:DWORD dst_unused:UNUSED_PAD src0_sel:BYTE_1 src1_sel:DWORD
	v_and_b32_sdwa v7, v5, s30 dst_sel:DWORD dst_unused:UNUSED_PAD src0_sel:WORD_1 src1_sel:DWORD
	global_load_dword v0, v0, s[20:21]
	v_sub_i16 v7, v7, v31 clamp
	v_lshlrev_b16_sdwa v5, v52, v5 dst_sel:DWORD dst_unused:UNUSED_PAD src0_sel:DWORD src1_sel:WORD_1
	v_and_b32_e32 v7, 0xffffff00, v7
	v_sub_i16 v5, v5, v43 clamp
	v_or_b32_sdwa v5, v5, v7 dst_sel:WORD_1 dst_unused:UNUSED_PAD src0_sel:BYTE_1 src1_sel:DWORD
	v_lshrrev_b16_e32 v1, 8, v83
	v_or_b32_sdwa v5, v6, v5 dst_sel:DWORD dst_unused:UNUSED_PAD src0_sel:WORD_0 src1_sel:DWORD
	v_dot4c_i32_i8_e32 v11, v5, v2
	v_lshlrev_b32_e32 v2, 1, v84
	v_and_or_b32 v1, v2, s29, v1
	v_lshlrev_b32_e32 v1, 2, v1
	global_load_dword v1, v1, s[20:21]
	v_lshrrev_b16_e32 v2, 8, v85
	v_bfe_u32 v44, v2, 3, 1
	v_lshlrev_b32_e32 v5, 5, v2
	v_lshrrev_b32_e32 v7, 1, v2
	v_cmp_ne_u16_e32 vcc, 0, v44
	v_lshlrev_b16_e32 v6, 7, v85
	v_bfe_i32 v7, v7, 0, 1
	v_lshrrev_b16_e32 v5, 7, v5
	v_cndmask_b32_e64 v44, 0, -1, vcc
	v_ashrrev_i16_e32 v6, 15, v6
	v_bfe_i32 v5, v5, 0, 1
	v_lshlrev_b16_e32 v7, 8, v7
	v_lshlrev_b16_e32 v44, 8, v44
	v_or_b32_sdwa v47, v6, v7 dst_sel:DWORD dst_unused:UNUSED_PAD src0_sel:BYTE_0 src1_sel:DWORD
	v_or_b32_sdwa v83, v5, v44 dst_sel:WORD_1 dst_unused:UNUSED_PAD src0_sel:BYTE_0 src1_sel:DWORD
	v_bfe_i32 v84, v2, 4, 1
	v_or_b32_sdwa v47, v47, v83 dst_sel:DWORD dst_unused:UNUSED_PAD src0_sel:WORD_0 src1_sel:DWORD
	v_lshlrev_b32_e32 v83, 1, v2
	v_lshrrev_b32_e32 v85, 5, v2
	v_lshrrev_b32_e32 v2, 7, v2
	v_lshlrev_b16_e32 v6, 8, v6
	v_cmp_ne_u16_e32 vcc, 0, v2
	v_bfe_i32 v85, v85, 0, 1
	v_lshrrev_b16_e32 v83, 7, v83
	v_cndmask_b32_e64 v2, 0, -1, vcc
	v_bfe_i32 v83, v83, 0, 1
	v_lshlrev_b16_e32 v85, 8, v85
	v_lshlrev_b16_e32 v2, 8, v2
	;; [unrolled: 1-line block ×3, first 2 shown]
	v_or_b32_sdwa v86, v84, v85 dst_sel:DWORD dst_unused:UNUSED_PAD src0_sel:BYTE_0 src1_sel:DWORD
	v_or_b32_sdwa v87, v83, v2 dst_sel:WORD_1 dst_unused:UNUSED_PAD src0_sel:BYTE_0 src1_sel:DWORD
	s_waitcnt vmcnt(1)
	v_xor_b32_e32 v0, v0, v47
	v_and_b32_e32 v47, 0xffffff00, v0
	v_sub_i16 v7, v47, v7 clamp
	v_lshlrev_b16_e32 v47, 8, v0
	v_and_b32_e32 v7, 0xffffff00, v7
	v_sub_i16 v6, v47, v6 clamp
	v_or_b32_sdwa v6, v6, v7 dst_sel:DWORD dst_unused:UNUSED_PAD src0_sel:BYTE_1 src1_sel:DWORD
	v_and_b32_sdwa v7, v0, s30 dst_sel:DWORD dst_unused:UNUSED_PAD src0_sel:WORD_1 src1_sel:DWORD
	v_sub_i16 v7, v7, v44 clamp
	v_lshlrev_b16_sdwa v0, v52, v0 dst_sel:DWORD dst_unused:UNUSED_PAD src0_sel:DWORD src1_sel:WORD_1
	v_and_b32_e32 v7, 0xffffff00, v7
	v_sub_i16 v0, v0, v5 clamp
	v_or_b32_sdwa v86, v86, v87 dst_sel:DWORD dst_unused:UNUSED_PAD src0_sel:WORD_0 src1_sel:DWORD
	v_or_b32_sdwa v0, v0, v7 dst_sel:WORD_1 dst_unused:UNUSED_PAD src0_sel:BYTE_1 src1_sel:DWORD
	s_nop 0
	v_or_b32_sdwa v44, v6, v0 dst_sel:DWORD dst_unused:UNUSED_PAD src0_sel:WORD_0 src1_sel:DWORD
	s_waitcnt vmcnt(0)
	v_xor_b32_e32 v0, v1, v86
	v_and_b32_e32 v1, 0xffffff00, v0
	v_sub_i16 v1, v1, v85 clamp
	v_lshlrev_b16_e32 v5, 8, v0
	v_lshlrev_b16_e32 v6, 8, v84
	v_and_b32_e32 v1, 0xffffff00, v1
	v_sub_i16 v5, v5, v6 clamp
	v_or_b32_sdwa v1, v5, v1 dst_sel:DWORD dst_unused:UNUSED_PAD src0_sel:BYTE_1 src1_sel:DWORD
	v_and_b32_sdwa v5, v0, s30 dst_sel:DWORD dst_unused:UNUSED_PAD src0_sel:WORD_1 src1_sel:DWORD
	v_sub_i16 v2, v5, v2 clamp
	v_lshlrev_b16_sdwa v0, v52, v0 dst_sel:DWORD dst_unused:UNUSED_PAD src0_sel:DWORD src1_sel:WORD_1
	v_lshlrev_b16_e32 v5, 8, v83
	v_and_b32_e32 v2, 0xffffff00, v2
	v_sub_i16 v0, v0, v5 clamp
	v_or_b32_sdwa v0, v0, v2 dst_sel:WORD_1 dst_unused:UNUSED_PAD src0_sel:BYTE_1 src1_sel:DWORD
	v_dot4c_i32_i8_e32 v11, v44, v3
	v_or_b32_sdwa v47, v1, v0 dst_sel:DWORD dst_unused:UNUSED_PAD src0_sel:WORD_0 src1_sel:DWORD
	global_load_ushort v0, v[32:33], off
	global_load_ubyte v1, v[28:29], off offset:106
	global_load_ubyte v2, v[34:35], off offset:106
	v_dot4c_i32_i8_e32 v11, v47, v8
	v_cvt_f32_f16_e32 v28, v10
	v_and_or_b32 v35, v62, s23, v81
	v_lshlrev_b32_e32 v35, 2, v35
	v_and_b32_e32 v81, 1, v57
	s_waitcnt vmcnt(2)
	v_cvt_f32_f16_e32 v29, v0
	s_waitcnt vmcnt(1)
	v_lshrrev_b32_e32 v1, v18, v1
	s_waitcnt vmcnt(0)
	v_lshrrev_b32_e32 v2, v13, v2
	v_lshlrev_b32_e32 v1, 1, v1
	v_lshlrev_b32_e32 v2, 1, v2
	v_and_or_b32 v32, v2, 30, 1
	v_and_or_b32 v33, v1, 30, 1
	v_mul_lo_u32 v1, v9, v33
	v_mul_lo_u32 v2, v11, v32
	v_cvt_f32_i32_e32 v7, v2
	v_cvt_f32_i32_e32 v6, v1
	scratch_load_dwordx4 v[0:3], off, off offset:32
	v_pk_mul_f32 v[4:5], v[4:5], v[28:29] op_sel_hi:[0,1]
	s_waitcnt vmcnt(0)
	v_pk_fma_f32 v[0:1], v[4:5], v[6:7], v[0:1]
	v_add_u32_e32 v4, s15, v51
	v_mad_u64_u32 v[4:5], s[34:35], v4, 36, s[24:25]
	v_mad_u64_u32 v[84:85], s[34:35], v14, 36, v[4:5]
	global_load_dword v34, v[84:85], off offset:32
	global_load_dwordx4 v[4:7], v[84:85], off offset:16
	global_load_dwordx4 v[8:11], v[84:85], off
	global_load_dword v83, v35, s[20:21]
	v_sub_u16_e32 v84, 0, v81
	global_load_dword v48, v48, s[20:21]
	v_or_b32_sdwa v35, v82, v62 dst_sel:DWORD dst_unused:UNUSED_PAD src0_sel:DWORD src1_sel:BYTE_1
	v_lshlrev_b32_e32 v35, 2, v35
	global_load_dword v35, v35, s[20:21]
	v_lshlrev_b32_sdwa v62, v53, v57 dst_sel:DWORD dst_unused:UNUSED_PAD src0_sel:DWORD src1_sel:BYTE_0
	global_load_dword v49, v49, s[20:21]
	v_bfe_u32 v81, v57, 1, 7
	v_lshrrev_b16_e32 v62, 7, v62
	v_bfe_i32 v82, v81, 0, 1
	v_bfe_i32 v81, v62, 0, 1
	v_bfe_u32 v62, v57, 3, 1
	v_cmp_ne_u16_e32 vcc, 0, v62
	v_lshlrev_b16_e32 v86, 8, v82
	v_or_b32_sdwa v82, v84, v86 dst_sel:DWORD dst_unused:UNUSED_PAD src0_sel:BYTE_0 src1_sel:DWORD
	v_cndmask_b32_e64 v62, 0, -1, vcc
	v_lshlrev_b16_e32 v85, 8, v62
	v_or_b32_sdwa v62, v81, v85 dst_sel:WORD_1 dst_unused:UNUSED_PAD src0_sel:BYTE_0 src1_sel:DWORD
	v_cmp_ne_u16_e32 vcc, 0, v89
	v_or_b32_sdwa v87, v82, v62 dst_sel:DWORD dst_unused:UNUSED_PAD src0_sel:WORD_0 src1_sel:DWORD
	v_lshlrev_b32_sdwa v62, v54, v57 dst_sel:DWORD dst_unused:UNUSED_PAD src0_sel:DWORD src1_sel:BYTE_0
	v_lshrrev_b16_e32 v62, 7, v62
	v_cndmask_b32_e64 v89, 0, -1, vcc
	v_lshlrev_b16_e32 v84, 8, v84
	v_bfe_i32 v82, v57, 4, 1
	v_bfe_i32 v62, v62, 0, 1
	v_lshlrev_b16_e32 v89, 8, v89
	v_or_b32_sdwa v90, v82, v88 dst_sel:DWORD dst_unused:UNUSED_PAD src0_sel:BYTE_0 src1_sel:DWORD
	v_or_b32_sdwa v91, v62, v89 dst_sel:WORD_1 dst_unused:UNUSED_PAD src0_sel:BYTE_0 src1_sel:DWORD
	v_lshlrev_b16_e32 v81, 8, v81
	v_or_b32_sdwa v90, v90, v91 dst_sel:DWORD dst_unused:UNUSED_PAD src0_sel:WORD_0 src1_sel:DWORD
	v_lshlrev_b16_e32 v82, 8, v82
	v_lshlrev_b16_e32 v62, 8, v62
	;; [unrolled: 1-line block ×3, first 2 shown]
	v_ashrrev_i16_e32 v57, 15, v57
	v_add_u32_e32 v51, 64, v51
	s_waitcnt vmcnt(4)
	v_cvt_f32_f16_e32 v8, v8
	s_waitcnt vmcnt(3)
	v_xor_b32_e32 v83, v83, v87
	v_and_b32_e32 v87, 0xffffff00, v83
	v_sub_i16 v86, v87, v86 clamp
	v_lshlrev_b16_e32 v87, 8, v83
	v_and_b32_e32 v86, 0xffffff00, v86
	v_sub_i16 v84, v87, v84 clamp
	v_or_b32_sdwa v84, v84, v86 dst_sel:DWORD dst_unused:UNUSED_PAD src0_sel:BYTE_1 src1_sel:DWORD
	v_and_b32_sdwa v86, v83, s30 dst_sel:DWORD dst_unused:UNUSED_PAD src0_sel:WORD_1 src1_sel:DWORD
	v_sub_i16 v85, v86, v85 clamp
	v_lshlrev_b16_sdwa v83, v52, v83 dst_sel:DWORD dst_unused:UNUSED_PAD src0_sel:DWORD src1_sel:WORD_1
	v_and_b32_e32 v85, 0xffffff00, v85
	v_sub_i16 v81, v83, v81 clamp
	s_waitcnt vmcnt(1)
	v_xor_b32_e32 v35, v35, v90
	v_or_b32_sdwa v81, v81, v85 dst_sel:WORD_1 dst_unused:UNUSED_PAD src0_sel:BYTE_1 src1_sel:DWORD
	v_and_b32_e32 v83, 0xffffff00, v35
	v_or_b32_sdwa v81, v84, v81 dst_sel:DWORD dst_unused:UNUSED_PAD src0_sel:WORD_0 src1_sel:DWORD
	v_sub_i16 v83, v83, v88 clamp
	v_lshlrev_b16_e32 v84, 8, v35
	v_and_b32_e32 v83, 0xffffff00, v83
	v_sub_i16 v82, v84, v82 clamp
	v_or_b32_sdwa v82, v82, v83 dst_sel:DWORD dst_unused:UNUSED_PAD src0_sel:BYTE_1 src1_sel:DWORD
	v_and_b32_sdwa v83, v35, s30 dst_sel:DWORD dst_unused:UNUSED_PAD src0_sel:WORD_1 src1_sel:DWORD
	v_sub_i16 v83, v83, v89 clamp
	v_lshlrev_b16_sdwa v35, v52, v35 dst_sel:DWORD dst_unused:UNUSED_PAD src0_sel:DWORD src1_sel:WORD_1
	v_and_b32_e32 v83, 0xffffff00, v83
	v_sub_i16 v35, v35, v62 clamp
	v_or_b32_sdwa v35, v35, v83 dst_sel:WORD_1 dst_unused:UNUSED_PAD src0_sel:BYTE_1 src1_sel:DWORD
	v_bfe_i32 v85, v56, 4, 1
	v_or_b32_sdwa v62, v82, v35 dst_sel:DWORD dst_unused:UNUSED_PAD src0_sel:WORD_0 src1_sel:DWORD
	v_mov_b32_e32 v35, 0
	v_dot4c_i32_i8_e32 v35, v81, v9
	v_bfe_u32 v82, v56, 3, 1
	v_dot4c_i32_i8_e32 v35, v62, v10
	v_lshlrev_b32_e32 v62, 5, v56
	v_lshrrev_b32_e32 v81, 1, v56
	v_cmp_ne_u16_e32 vcc, 0, v82
	v_bfe_i32 v81, v81, 0, 1
	v_lshrrev_b16_e32 v62, 7, v62
	v_cndmask_b32_e64 v82, 0, -1, vcc
	v_bfe_i32 v62, v62, 0, 1
	v_lshlrev_b16_e32 v81, 8, v81
	v_lshlrev_b16_e32 v82, 8, v82
	v_or_b32_sdwa v83, v57, v81 dst_sel:DWORD dst_unused:UNUSED_PAD src0_sel:BYTE_0 src1_sel:DWORD
	v_or_b32_sdwa v84, v62, v82 dst_sel:WORD_1 dst_unused:UNUSED_PAD src0_sel:BYTE_0 src1_sel:DWORD
	v_lshrrev_b32_e32 v86, 5, v56
	v_or_b32_sdwa v83, v83, v84 dst_sel:DWORD dst_unused:UNUSED_PAD src0_sel:WORD_0 src1_sel:DWORD
	v_xor_b32_e32 v48, v48, v83
	v_lshlrev_b32_e32 v84, 1, v56
	v_lshrrev_b32_e32 v56, 7, v56
	v_and_b32_e32 v83, 0xffffff00, v48
	v_cmp_ne_u16_e32 vcc, 0, v56
	v_sub_i16 v81, v83, v81 clamp
	v_lshlrev_b16_e32 v83, 8, v48
	v_lshlrev_b16_e32 v57, 8, v57
	v_bfe_i32 v86, v86, 0, 1
	v_lshrrev_b16_e32 v84, 7, v84
	v_cndmask_b32_e64 v56, 0, -1, vcc
	v_and_b32_e32 v81, 0xffffff00, v81
	v_sub_i16 v57, v83, v57 clamp
	v_bfe_i32 v84, v84, 0, 1
	v_lshlrev_b16_e32 v86, 8, v86
	v_lshlrev_b16_e32 v56, 8, v56
	v_or_b32_sdwa v57, v57, v81 dst_sel:DWORD dst_unused:UNUSED_PAD src0_sel:BYTE_1 src1_sel:DWORD
	v_and_b32_sdwa v81, v48, s30 dst_sel:DWORD dst_unused:UNUSED_PAD src0_sel:WORD_1 src1_sel:DWORD
	v_or_b32_sdwa v87, v85, v86 dst_sel:DWORD dst_unused:UNUSED_PAD src0_sel:BYTE_0 src1_sel:DWORD
	v_or_b32_sdwa v88, v84, v56 dst_sel:WORD_1 dst_unused:UNUSED_PAD src0_sel:BYTE_0 src1_sel:DWORD
	v_sub_i16 v81, v81, v82 clamp
	v_lshlrev_b16_sdwa v48, v52, v48 dst_sel:DWORD dst_unused:UNUSED_PAD src0_sel:DWORD src1_sel:WORD_1
	v_lshlrev_b16_e32 v62, 8, v62
	v_or_b32_sdwa v87, v87, v88 dst_sel:DWORD dst_unused:UNUSED_PAD src0_sel:WORD_0 src1_sel:DWORD
	v_and_b32_e32 v81, 0xffffff00, v81
	v_sub_i16 v48, v48, v62 clamp
	v_or_b32_sdwa v48, v48, v81 dst_sel:WORD_1 dst_unused:UNUSED_PAD src0_sel:BYTE_1 src1_sel:DWORD
	s_waitcnt vmcnt(0)
	v_xor_b32_e32 v49, v49, v87
	v_or_b32_sdwa v48, v57, v48 dst_sel:DWORD dst_unused:UNUSED_PAD src0_sel:WORD_0 src1_sel:DWORD
	v_and_b32_e32 v57, 0xffffff00, v49
	v_sub_i16 v57, v57, v86 clamp
	v_lshlrev_b16_e32 v62, 8, v49
	v_lshlrev_b16_e32 v81, 8, v85
	v_dot4c_i32_i8_e32 v35, v48, v11
	v_and_or_b32 v48, v55, s23, v63
	v_and_b32_e32 v57, 0xffffff00, v57
	v_sub_i16 v62, v62, v81 clamp
	v_lshlrev_b32_e32 v48, 2, v48
	v_or_b32_sdwa v57, v62, v57 dst_sel:DWORD dst_unused:UNUSED_PAD src0_sel:BYTE_1 src1_sel:DWORD
	v_and_b32_sdwa v62, v49, s30 dst_sel:DWORD dst_unused:UNUSED_PAD src0_sel:WORD_1 src1_sel:DWORD
	global_load_dword v48, v48, s[20:21]
	v_sub_i16 v56, v62, v56 clamp
	v_lshlrev_b16_sdwa v49, v52, v49 dst_sel:DWORD dst_unused:UNUSED_PAD src0_sel:DWORD src1_sel:WORD_1
	v_lshlrev_b16_e32 v62, 8, v84
	v_and_b32_e32 v56, 0xffffff00, v56
	v_sub_i16 v49, v49, v62 clamp
	v_or_b32_sdwa v49, v49, v56 dst_sel:WORD_1 dst_unused:UNUSED_PAD src0_sel:BYTE_1 src1_sel:DWORD
	s_nop 0
	v_or_b32_sdwa v49, v57, v49 dst_sel:DWORD dst_unused:UNUSED_PAD src0_sel:WORD_0 src1_sel:DWORD
	v_dot4c_i32_i8_e32 v35, v49, v4
	v_or_b32_sdwa v49, v64, v55 dst_sel:DWORD dst_unused:UNUSED_PAD src0_sel:DWORD src1_sel:BYTE_1
	v_lshlrev_b32_e32 v49, 2, v49
	global_load_dword v49, v49, s[20:21]
	v_bfe_u32 v57, v59, 1, 7
	v_bfe_i32 v57, v57, 0, 1
	v_lshlrev_b16_e32 v57, 8, v57
	v_bfe_i32 v64, v59, 4, 1
	s_waitcnt vmcnt(1)
	v_xor_b32_e32 v48, v48, v69
	v_and_b32_e32 v55, 0xffffff00, v48
	v_sub_i16 v55, v55, v67 clamp
	v_lshlrev_b16_e32 v56, 8, v48
	v_and_b32_e32 v55, 0xffffff00, v55
	v_sub_i16 v56, v56, v71 clamp
	v_or_b32_sdwa v55, v56, v55 dst_sel:DWORD dst_unused:UNUSED_PAD src0_sel:BYTE_1 src1_sel:DWORD
	v_and_b32_sdwa v56, v48, s30 dst_sel:DWORD dst_unused:UNUSED_PAD src0_sel:WORD_1 src1_sel:DWORD
	v_sub_i16 v56, v56, v65 clamp
	v_lshlrev_b16_sdwa v48, v52, v48 dst_sel:DWORD dst_unused:UNUSED_PAD src0_sel:DWORD src1_sel:WORD_1
	v_and_b32_e32 v56, 0xffffff00, v56
	v_sub_i16 v48, v48, v72 clamp
	v_or_b32_sdwa v48, v48, v56 dst_sel:WORD_1 dst_unused:UNUSED_PAD src0_sel:BYTE_1 src1_sel:DWORD
	s_waitcnt vmcnt(0)
	v_xor_b32_e32 v49, v49, v70
	v_or_b32_sdwa v48, v55, v48 dst_sel:DWORD dst_unused:UNUSED_PAD src0_sel:WORD_0 src1_sel:DWORD
	v_and_b32_e32 v55, 0xffffff00, v49
	v_sub_i16 v55, v55, v68 clamp
	v_lshlrev_b16_e32 v56, 8, v49
	v_and_b32_e32 v55, 0xffffff00, v55
	v_sub_i16 v56, v56, v73 clamp
	v_or_b32_sdwa v55, v56, v55 dst_sel:DWORD dst_unused:UNUSED_PAD src0_sel:BYTE_1 src1_sel:DWORD
	v_and_b32_sdwa v56, v49, s30 dst_sel:DWORD dst_unused:UNUSED_PAD src0_sel:WORD_1 src1_sel:DWORD
	v_sub_i16 v56, v56, v66 clamp
	v_lshlrev_b16_sdwa v49, v52, v49 dst_sel:DWORD dst_unused:UNUSED_PAD src0_sel:DWORD src1_sel:WORD_1
	v_and_b32_e32 v56, 0xffffff00, v56
	v_sub_i16 v49, v49, v74 clamp
	v_dot4c_i32_i8_e32 v35, v48, v5
	v_and_or_b32 v48, v61, s23, v79
	v_or_b32_sdwa v49, v49, v56 dst_sel:WORD_1 dst_unused:UNUSED_PAD src0_sel:BYTE_1 src1_sel:DWORD
	v_lshlrev_b32_e32 v48, 2, v48
	v_or_b32_sdwa v49, v55, v49 dst_sel:DWORD dst_unused:UNUSED_PAD src0_sel:WORD_0 src1_sel:DWORD
	global_load_dword v55, v48, s[20:21]
	v_or_b32_sdwa v48, v80, v61 dst_sel:DWORD dst_unused:UNUSED_PAD src0_sel:DWORD src1_sel:BYTE_1
	v_lshlrev_b32_e32 v48, 2, v48
	global_load_dword v48, v48, s[20:21]
	v_bfe_u32 v61, v59, 3, 1
	v_dot4c_i32_i8_e32 v35, v49, v6
	v_lshlrev_b32_sdwa v49, v53, v59 dst_sel:DWORD dst_unused:UNUSED_PAD src0_sel:DWORD src1_sel:BYTE_0
	v_cmp_ne_u16_e32 vcc, 0, v61
	v_and_b32_e32 v56, 1, v59
	v_lshrrev_b16_e32 v49, 7, v49
	v_cndmask_b32_e64 v61, 0, -1, vcc
	v_sub_u16_e32 v56, 0, v56
	v_bfe_i32 v49, v49, 0, 1
	v_lshlrev_b16_e32 v61, 8, v61
	v_or_b32_sdwa v62, v56, v57 dst_sel:DWORD dst_unused:UNUSED_PAD src0_sel:BYTE_0 src1_sel:DWORD
	v_or_b32_sdwa v63, v49, v61 dst_sel:WORD_1 dst_unused:UNUSED_PAD src0_sel:BYTE_0 src1_sel:DWORD
	v_bfe_u32 v66, v59, 7, 1
	v_or_b32_sdwa v62, v62, v63 dst_sel:DWORD dst_unused:UNUSED_PAD src0_sel:WORD_0 src1_sel:DWORD
	v_lshlrev_b32_sdwa v63, v54, v59 dst_sel:DWORD dst_unused:UNUSED_PAD src0_sel:DWORD src1_sel:BYTE_0
	v_bfe_u32 v65, v59, 5, 3
	v_cmp_ne_u16_e32 vcc, 0, v66
	v_bfe_i32 v65, v65, 0, 1
	v_lshrrev_b16_e32 v63, 7, v63
	v_cndmask_b32_e64 v66, 0, -1, vcc
	v_lshlrev_b16_e32 v56, 8, v56
	v_bfe_i32 v63, v63, 0, 1
	v_lshlrev_b16_e32 v65, 8, v65
	v_lshlrev_b16_e32 v66, 8, v66
	v_or_b32_sdwa v67, v64, v65 dst_sel:DWORD dst_unused:UNUSED_PAD src0_sel:BYTE_0 src1_sel:DWORD
	v_or_b32_sdwa v68, v63, v66 dst_sel:WORD_1 dst_unused:UNUSED_PAD src0_sel:BYTE_0 src1_sel:DWORD
	v_lshlrev_b16_e32 v49, 8, v49
	v_or_b32_sdwa v67, v67, v68 dst_sel:DWORD dst_unused:UNUSED_PAD src0_sel:WORD_0 src1_sel:DWORD
	v_dot4c_i32_i8_e32 v35, v75, v7
	v_dot4c_i32_i8_e32 v35, v76, v34
	s_waitcnt vmcnt(1)
	v_xor_b32_e32 v55, v55, v62
	v_and_b32_e32 v62, 0xffffff00, v55
	v_sub_i16 v57, v62, v57 clamp
	v_lshlrev_b16_e32 v62, 8, v55
	v_and_b32_e32 v57, 0xffffff00, v57
	v_sub_i16 v56, v62, v56 clamp
	v_or_b32_sdwa v56, v56, v57 dst_sel:DWORD dst_unused:UNUSED_PAD src0_sel:BYTE_1 src1_sel:DWORD
	v_and_b32_sdwa v57, v55, s30 dst_sel:DWORD dst_unused:UNUSED_PAD src0_sel:WORD_1 src1_sel:DWORD
	v_sub_i16 v57, v57, v61 clamp
	v_lshlrev_b16_sdwa v55, v52, v55 dst_sel:DWORD dst_unused:UNUSED_PAD src0_sel:DWORD src1_sel:WORD_1
	v_and_b32_e32 v57, 0xffffff00, v57
	v_sub_i16 v49, v55, v49 clamp
	s_waitcnt vmcnt(0)
	v_xor_b32_e32 v48, v48, v67
	v_or_b32_sdwa v49, v49, v57 dst_sel:WORD_1 dst_unused:UNUSED_PAD src0_sel:BYTE_1 src1_sel:DWORD
	v_and_b32_e32 v55, 0xffffff00, v48
	v_or_b32_sdwa v49, v56, v49 dst_sel:DWORD dst_unused:UNUSED_PAD src0_sel:WORD_0 src1_sel:DWORD
	v_sub_i16 v55, v55, v65 clamp
	v_lshlrev_b16_e32 v56, 8, v48
	v_lshlrev_b16_e32 v57, 8, v64
	v_and_b32_e32 v55, 0xffffff00, v55
	v_sub_i16 v56, v56, v57 clamp
	v_or_b32_sdwa v55, v56, v55 dst_sel:DWORD dst_unused:UNUSED_PAD src0_sel:BYTE_1 src1_sel:DWORD
	v_and_b32_sdwa v56, v48, s30 dst_sel:DWORD dst_unused:UNUSED_PAD src0_sel:WORD_1 src1_sel:DWORD
	v_sub_i16 v56, v56, v66 clamp
	v_lshlrev_b16_sdwa v48, v52, v48 dst_sel:DWORD dst_unused:UNUSED_PAD src0_sel:DWORD src1_sel:WORD_1
	v_lshlrev_b16_e32 v57, 8, v63
	v_and_b32_e32 v56, 0xffffff00, v56
	v_sub_i16 v48, v48, v57 clamp
	v_or_b32_sdwa v48, v48, v56 dst_sel:WORD_1 dst_unused:UNUSED_PAD src0_sel:BYTE_1 src1_sel:DWORD
	v_lshlrev_b16_e32 v56, 7, v59
	v_or_b32_sdwa v55, v55, v48 dst_sel:DWORD dst_unused:UNUSED_PAD src0_sel:WORD_0 src1_sel:DWORD
	v_mov_b32_e32 v48, 0
	v_dot4c_i32_i8_e32 v48, v49, v9
	v_and_or_b32 v9, v60, s23, v77
	v_lshlrev_b32_e32 v9, 2, v9
	global_load_dword v9, v9, s[20:21]
	v_dot4c_i32_i8_e32 v48, v55, v10
	v_or_b32_sdwa v10, v78, v60 dst_sel:DWORD dst_unused:UNUSED_PAD src0_sel:DWORD src1_sel:BYTE_1
	v_lshlrev_b32_e32 v10, 2, v10
	global_load_dword v10, v10, s[20:21]
	v_lshrrev_b16_e32 v49, 8, v59
	v_bfe_u32 v59, v49, 3, 1
	v_lshlrev_b32_e32 v55, 5, v49
	v_lshrrev_b32_e32 v57, 1, v49
	v_cmp_ne_u16_e32 vcc, 0, v59
	v_bfe_i32 v57, v57, 0, 1
	v_lshrrev_b16_e32 v55, 7, v55
	v_cndmask_b32_e64 v59, 0, -1, vcc
	v_ashrrev_i16_e32 v56, 15, v56
	v_bfe_i32 v55, v55, 0, 1
	v_lshlrev_b16_e32 v57, 8, v57
	v_lshlrev_b16_e32 v59, 8, v59
	v_or_b32_sdwa v60, v56, v57 dst_sel:DWORD dst_unused:UNUSED_PAD src0_sel:BYTE_0 src1_sel:DWORD
	v_or_b32_sdwa v61, v55, v59 dst_sel:WORD_1 dst_unused:UNUSED_PAD src0_sel:BYTE_0 src1_sel:DWORD
	v_bfe_i32 v62, v49, 4, 1
	v_or_b32_sdwa v60, v60, v61 dst_sel:DWORD dst_unused:UNUSED_PAD src0_sel:WORD_0 src1_sel:DWORD
	v_lshlrev_b32_e32 v61, 1, v49
	v_lshrrev_b32_e32 v63, 5, v49
	v_lshrrev_b32_e32 v49, 7, v49
	v_cmp_ne_u16_e32 vcc, 0, v49
	v_bfe_i32 v63, v63, 0, 1
	v_lshrrev_b16_e32 v61, 7, v61
	v_cndmask_b32_e64 v49, 0, -1, vcc
	v_lshlrev_b16_e32 v56, 8, v56
	v_bfe_i32 v61, v61, 0, 1
	v_lshlrev_b16_e32 v63, 8, v63
	v_lshlrev_b16_e32 v49, 8, v49
	v_or_b32_sdwa v64, v62, v63 dst_sel:DWORD dst_unused:UNUSED_PAD src0_sel:BYTE_0 src1_sel:DWORD
	v_or_b32_sdwa v65, v61, v49 dst_sel:WORD_1 dst_unused:UNUSED_PAD src0_sel:BYTE_0 src1_sel:DWORD
	v_lshlrev_b16_e32 v55, 8, v55
	v_or_b32_sdwa v64, v64, v65 dst_sel:DWORD dst_unused:UNUSED_PAD src0_sel:WORD_0 src1_sel:DWORD
	v_cmp_le_u32_e32 vcc, s5, v50
	s_or_b64 s[12:13], vcc, s[12:13]
	s_waitcnt vmcnt(1)
	v_xor_b32_e32 v9, v9, v60
	v_and_b32_e32 v60, 0xffffff00, v9
	v_sub_i16 v57, v60, v57 clamp
	v_lshlrev_b16_e32 v60, 8, v9
	v_and_b32_e32 v57, 0xffffff00, v57
	v_sub_i16 v56, v60, v56 clamp
	v_or_b32_sdwa v56, v56, v57 dst_sel:DWORD dst_unused:UNUSED_PAD src0_sel:BYTE_1 src1_sel:DWORD
	v_and_b32_sdwa v57, v9, s30 dst_sel:DWORD dst_unused:UNUSED_PAD src0_sel:WORD_1 src1_sel:DWORD
	v_sub_i16 v57, v57, v59 clamp
	v_lshlrev_b16_sdwa v9, v52, v9 dst_sel:DWORD dst_unused:UNUSED_PAD src0_sel:DWORD src1_sel:WORD_1
	v_and_b32_e32 v57, 0xffffff00, v57
	v_sub_i16 v9, v9, v55 clamp
	s_waitcnt vmcnt(0)
	v_xor_b32_e32 v10, v10, v64
	v_or_b32_sdwa v9, v9, v57 dst_sel:WORD_1 dst_unused:UNUSED_PAD src0_sel:BYTE_1 src1_sel:DWORD
	v_and_b32_e32 v55, 0xffffff00, v10
	v_or_b32_sdwa v9, v56, v9 dst_sel:DWORD dst_unused:UNUSED_PAD src0_sel:WORD_0 src1_sel:DWORD
	v_sub_i16 v55, v55, v63 clamp
	v_lshlrev_b16_e32 v56, 8, v10
	v_lshlrev_b16_e32 v57, 8, v62
	v_and_b32_e32 v55, 0xffffff00, v55
	v_sub_i16 v56, v56, v57 clamp
	v_or_b32_sdwa v55, v56, v55 dst_sel:DWORD dst_unused:UNUSED_PAD src0_sel:BYTE_1 src1_sel:DWORD
	v_and_b32_sdwa v56, v10, s30 dst_sel:DWORD dst_unused:UNUSED_PAD src0_sel:WORD_1 src1_sel:DWORD
	v_sub_i16 v49, v56, v49 clamp
	v_lshlrev_b16_sdwa v10, v52, v10 dst_sel:DWORD dst_unused:UNUSED_PAD src0_sel:DWORD src1_sel:WORD_1
	v_lshlrev_b16_e32 v56, 8, v61
	v_and_b32_e32 v49, 0xffffff00, v49
	v_sub_i16 v10, v10, v56 clamp
	v_or_b32_sdwa v10, v10, v49 dst_sel:WORD_1 dst_unused:UNUSED_PAD src0_sel:BYTE_1 src1_sel:DWORD
	v_dot4c_i32_i8_e32 v48, v9, v11
	v_or_b32_sdwa v10, v55, v10 dst_sel:DWORD dst_unused:UNUSED_PAD src0_sel:WORD_0 src1_sel:DWORD
	v_dot4c_i32_i8_e32 v48, v10, v4
	v_and_or_b32 v4, v58, s23, v45
	v_lshlrev_b32_e32 v4, 2, v4
	global_load_dword v4, v4, s[20:21]
	v_or_b32_sdwa v9, v46, v58 dst_sel:DWORD dst_unused:UNUSED_PAD src0_sel:DWORD src1_sel:BYTE_1
	v_lshlrev_b32_e32 v9, 2, v9
	global_load_dword v9, v9, s[20:21]
	s_waitcnt vmcnt(1)
	v_xor_b32_e32 v4, v4, v38
	v_and_b32_e32 v10, 0xffffff00, v4
	v_sub_i16 v10, v10, v36 clamp
	v_lshlrev_b16_e32 v11, 8, v4
	v_and_b32_e32 v10, 0xffffff00, v10
	v_sub_i16 v11, v11, v40 clamp
	v_or_b32_sdwa v10, v11, v10 dst_sel:DWORD dst_unused:UNUSED_PAD src0_sel:BYTE_1 src1_sel:DWORD
	v_and_b32_sdwa v11, v4, s30 dst_sel:DWORD dst_unused:UNUSED_PAD src0_sel:WORD_1 src1_sel:DWORD
	v_sub_i16 v11, v11, v30 clamp
	v_lshlrev_b16_sdwa v4, v52, v4 dst_sel:DWORD dst_unused:UNUSED_PAD src0_sel:DWORD src1_sel:WORD_1
	v_and_b32_e32 v11, 0xffffff00, v11
	v_sub_i16 v4, v4, v41 clamp
	v_or_b32_sdwa v4, v4, v11 dst_sel:WORD_1 dst_unused:UNUSED_PAD src0_sel:BYTE_1 src1_sel:DWORD
	s_waitcnt vmcnt(0)
	v_xor_b32_e32 v9, v9, v39
	v_or_b32_sdwa v4, v10, v4 dst_sel:DWORD dst_unused:UNUSED_PAD src0_sel:WORD_0 src1_sel:DWORD
	v_and_b32_e32 v10, 0xffffff00, v9
	v_sub_i16 v10, v10, v37 clamp
	v_lshlrev_b16_e32 v11, 8, v9
	v_and_b32_e32 v10, 0xffffff00, v10
	v_sub_i16 v11, v11, v42 clamp
	v_or_b32_sdwa v10, v11, v10 dst_sel:DWORD dst_unused:UNUSED_PAD src0_sel:BYTE_1 src1_sel:DWORD
	v_and_b32_sdwa v11, v9, s30 dst_sel:DWORD dst_unused:UNUSED_PAD src0_sel:WORD_1 src1_sel:DWORD
	v_sub_i16 v11, v11, v31 clamp
	v_lshlrev_b16_sdwa v9, v52, v9 dst_sel:DWORD dst_unused:UNUSED_PAD src0_sel:DWORD src1_sel:WORD_1
	v_and_b32_e32 v11, 0xffffff00, v11
	v_sub_i16 v9, v9, v43 clamp
	v_or_b32_sdwa v9, v9, v11 dst_sel:WORD_1 dst_unused:UNUSED_PAD src0_sel:BYTE_1 src1_sel:DWORD
	v_dot4c_i32_i8_e32 v48, v4, v5
	v_or_b32_sdwa v9, v10, v9 dst_sel:DWORD dst_unused:UNUSED_PAD src0_sel:WORD_0 src1_sel:DWORD
	v_dot4c_i32_i8_e32 v48, v9, v6
	v_dot4c_i32_i8_e32 v48, v44, v7
	;; [unrolled: 1-line block ×3, first 2 shown]
	v_mul_lo_u32 v4, v35, v33
	v_cvt_f32_i32_e32 v4, v4
	v_pk_mul_f32 v[6:7], v[8:9], v[28:29] op_sel_hi:[0,1]
	v_mul_lo_u32 v5, v48, v32
	v_cvt_f32_i32_e32 v5, v5
	v_pk_fma_f32 v[2:3], v[6:7], v[4:5], v[2:3]
	scratch_store_dwordx4 off, v[0:3], off offset:32
	s_andn2_b64 exec, exec, s[12:13]
	s_cbranch_execnz .LBB261_2
.LBB261_3:
	s_or_b64 exec, exec, s[6:7]
	s_mov_b32 s5, 0
	v_cmp_eq_u32_e32 vcc, 0, v19
	s_waitcnt lgkmcnt(0)
	; wave barrier
	s_and_saveexec_b64 s[6:7], vcc
	s_cbranch_execz .LBB261_16
; %bb.4:
	scratch_load_dwordx2 v[2:3], off, off
	v_mbcnt_lo_u32_b32 v0, -1, 0
	v_mbcnt_hi_u32_b32 v13, -1, v0
	s_load_dwordx2 s[6:7], s[0:1], 0x38
	s_mul_i32 s0, s3, s14
	v_or_b32_e32 v1, s2, v12
	v_and_b32_e32 v0, 64, v13
	s_mul_i32 s4, s4, s18
	s_add_i32 s2, s0, s2
	v_cmp_gt_u32_e64 s[0:1], s10, v1
	v_xor_b32_e32 v1, 32, v13
	v_add_u32_e32 v14, 64, v0
	s_add_i32 s4, s2, s4
	v_cmp_lt_i32_e64 s[2:3], v1, v14
	v_cmp_gt_u32_e32 vcc, 2, v12
	s_nop 0
	v_cndmask_b32_e64 v0, v13, v1, s[2:3]
	v_lshlrev_b32_e32 v0, 2, v0
	v_xor_b32_e32 v1, 16, v13
	v_cmp_lt_i32_e64 s[2:3], v1, v14
	s_waitcnt vmcnt(0)
	ds_bpermute_b32 v4, v0, v2
	ds_bpermute_b32 v5, v0, v3
	v_cndmask_b32_e64 v1, v13, v1, s[2:3]
	v_lshlrev_b32_e32 v1, 2, v1
	s_waitcnt lgkmcnt(0)
	v_pk_add_f32 v[4:5], v[2:3], v[4:5]
	ds_bpermute_b32 v6, v1, v4
	ds_bpermute_b32 v7, v1, v5
	v_xor_b32_e32 v2, 8, v13
	v_cmp_lt_i32_e64 s[2:3], v2, v14
	v_xor_b32_e32 v3, 4, v13
	s_waitcnt lgkmcnt(0)
	v_pk_add_f32 v[4:5], v[4:5], v[6:7]
	v_cndmask_b32_e64 v2, v13, v2, s[2:3]
	v_lshlrev_b32_e32 v2, 2, v2
	ds_bpermute_b32 v6, v2, v4
	ds_bpermute_b32 v7, v2, v5
	v_cmp_lt_i32_e64 s[2:3], v3, v14
	s_waitcnt lgkmcnt(0)
	v_pk_add_f32 v[6:7], v[4:5], v[6:7]
	v_cndmask_b32_e64 v3, v13, v3, s[2:3]
	v_lshlrev_b32_e32 v3, 2, v3
	ds_bpermute_b32 v8, v3, v6
	ds_bpermute_b32 v9, v3, v7
	v_xor_b32_e32 v4, 2, v13
	v_cmp_lt_i32_e64 s[2:3], v4, v14
	v_xor_b32_e32 v5, 1, v13
	s_waitcnt lgkmcnt(0)
	v_pk_add_f32 v[8:9], v[6:7], v[8:9]
	v_cndmask_b32_e64 v4, v13, v4, s[2:3]
	v_lshlrev_b32_e32 v4, 2, v4
	ds_bpermute_b32 v10, v4, v8
	ds_bpermute_b32 v11, v4, v9
	v_cmp_lt_i32_e64 s[2:3], v5, v14
	s_waitcnt lgkmcnt(0)
	v_pk_add_f32 v[8:9], v[8:9], v[10:11]
	v_cndmask_b32_e64 v5, v13, v5, s[2:3]
	v_lshlrev_b32_e32 v6, 2, v5
	ds_bpermute_b32 v10, v6, v8
	ds_bpermute_b32 v11, v6, v9
	s_lshl_b64 s[2:3], s[4:5], 2
	s_add_u32 s2, s6, s2
	s_addc_u32 s3, s7, s3
	s_and_b64 s[0:1], vcc, s[0:1]
	s_waitcnt lgkmcnt(0)
	v_pk_add_f32 v[8:9], v[8:9], v[10:11]
	v_lshlrev_b32_e32 v5, 2, v12
	scratch_store_dwordx2 off, v[8:9], off
	s_and_saveexec_b64 s[4:5], s[0:1]
	s_cbranch_execz .LBB261_6
; %bb.5:
	scratch_load_dword v7, v5, off
	s_waitcnt vmcnt(0)
	global_store_dword v5, v7, s[2:3]
.LBB261_6:
	s_or_b64 exec, exec, s[4:5]
	scratch_load_dwordx2 v[8:9], off, off offset:8
	s_waitcnt vmcnt(0)
	ds_bpermute_b32 v10, v0, v8
	ds_bpermute_b32 v11, v0, v9
	s_waitcnt lgkmcnt(0)
	v_pk_add_f32 v[8:9], v[8:9], v[10:11]
	ds_bpermute_b32 v10, v1, v8
	ds_bpermute_b32 v11, v1, v9
	s_waitcnt lgkmcnt(0)
	v_pk_add_f32 v[8:9], v[8:9], v[10:11]
	;; [unrolled: 4-line block ×6, first 2 shown]
	scratch_store_dwordx2 off, v[8:9], off offset:8
	s_and_saveexec_b64 s[4:5], s[0:1]
	s_cbranch_execz .LBB261_8
; %bb.7:
	scratch_load_dword v7, v5, off offset:8
	v_add_u32_e32 v8, s10, v12
	v_mov_b32_e32 v9, 0
	v_lshl_add_u64 v[8:9], v[8:9], 2, s[2:3]
	s_waitcnt vmcnt(0)
	global_store_dword v[8:9], v7, off
.LBB261_8:
	s_or_b64 exec, exec, s[4:5]
	scratch_load_dwordx2 v[8:9], off, off offset:16
	s_waitcnt vmcnt(0)
	ds_bpermute_b32 v10, v0, v8
	ds_bpermute_b32 v11, v0, v9
	s_waitcnt lgkmcnt(0)
	v_pk_add_f32 v[8:9], v[8:9], v[10:11]
	ds_bpermute_b32 v10, v1, v8
	ds_bpermute_b32 v11, v1, v9
	s_waitcnt lgkmcnt(0)
	v_pk_add_f32 v[8:9], v[8:9], v[10:11]
	;; [unrolled: 4-line block ×6, first 2 shown]
	scratch_store_dwordx2 off, v[8:9], off offset:16
	s_and_saveexec_b64 s[4:5], s[0:1]
	s_cbranch_execz .LBB261_10
; %bb.9:
	scratch_load_dword v7, v5, off offset:16
	v_lshl_or_b32 v8, s10, 1, v12
	v_mov_b32_e32 v9, 0
	v_lshl_add_u64 v[8:9], v[8:9], 2, s[2:3]
	s_waitcnt vmcnt(0)
	global_store_dword v[8:9], v7, off
.LBB261_10:
	s_or_b64 exec, exec, s[4:5]
	scratch_load_dwordx2 v[8:9], off, off offset:24
	s_waitcnt vmcnt(0)
	ds_bpermute_b32 v10, v0, v8
	ds_bpermute_b32 v11, v0, v9
	s_waitcnt lgkmcnt(0)
	v_pk_add_f32 v[8:9], v[8:9], v[10:11]
	ds_bpermute_b32 v10, v1, v8
	ds_bpermute_b32 v11, v1, v9
	s_waitcnt lgkmcnt(0)
	v_pk_add_f32 v[8:9], v[8:9], v[10:11]
	ds_bpermute_b32 v10, v2, v8
	ds_bpermute_b32 v11, v2, v9
	s_waitcnt lgkmcnt(0)
	v_pk_add_f32 v[8:9], v[8:9], v[10:11]
	ds_bpermute_b32 v10, v3, v8
	ds_bpermute_b32 v11, v3, v9
	s_waitcnt lgkmcnt(0)
	v_pk_add_f32 v[8:9], v[8:9], v[10:11]
	ds_bpermute_b32 v10, v4, v8
	ds_bpermute_b32 v11, v4, v9
	s_waitcnt lgkmcnt(0)
	v_pk_add_f32 v[8:9], v[8:9], v[10:11]
	ds_bpermute_b32 v10, v6, v8
	ds_bpermute_b32 v11, v6, v9
	s_waitcnt lgkmcnt(0)
	v_pk_add_f32 v[8:9], v[8:9], v[10:11]
	scratch_store_dwordx2 off, v[8:9], off offset:24
	s_and_saveexec_b64 s[4:5], s[0:1]
	s_cbranch_execz .LBB261_12
; %bb.11:
	scratch_load_dword v7, v5, off offset:24
	v_mad_u64_u32 v[8:9], s[6:7], s10, 3, v[12:13]
	v_mov_b32_e32 v9, 0
	v_lshl_add_u64 v[8:9], v[8:9], 2, s[2:3]
	s_waitcnt vmcnt(0)
	global_store_dword v[8:9], v7, off
.LBB261_12:
	s_or_b64 exec, exec, s[4:5]
	scratch_load_dwordx2 v[8:9], off, off offset:32
	s_waitcnt vmcnt(0)
	ds_bpermute_b32 v10, v0, v8
	ds_bpermute_b32 v11, v0, v9
	s_waitcnt lgkmcnt(0)
	v_pk_add_f32 v[8:9], v[8:9], v[10:11]
	ds_bpermute_b32 v10, v1, v8
	ds_bpermute_b32 v11, v1, v9
	s_waitcnt lgkmcnt(0)
	v_pk_add_f32 v[8:9], v[8:9], v[10:11]
	;; [unrolled: 4-line block ×6, first 2 shown]
	scratch_store_dwordx2 off, v[8:9], off offset:32
	s_and_saveexec_b64 s[4:5], s[0:1]
	s_cbranch_execz .LBB261_14
; %bb.13:
	scratch_load_dword v7, v5, off offset:32
	v_lshl_or_b32 v8, s10, 2, v12
	v_mov_b32_e32 v9, 0
	v_lshl_add_u64 v[8:9], v[8:9], 2, s[2:3]
	s_waitcnt vmcnt(0)
	global_store_dword v[8:9], v7, off
.LBB261_14:
	s_or_b64 exec, exec, s[4:5]
	scratch_load_dwordx2 v[8:9], off, off offset:40
	s_waitcnt vmcnt(0)
	ds_bpermute_b32 v10, v0, v8
	ds_bpermute_b32 v11, v0, v9
	s_waitcnt lgkmcnt(0)
	v_pk_add_f32 v[8:9], v[8:9], v[10:11]
	ds_bpermute_b32 v0, v1, v8
	ds_bpermute_b32 v1, v1, v9
	s_waitcnt lgkmcnt(0)
	v_pk_add_f32 v[0:1], v[8:9], v[0:1]
	ds_bpermute_b32 v8, v2, v0
	ds_bpermute_b32 v9, v2, v1
	s_waitcnt lgkmcnt(0)
	v_pk_add_f32 v[0:1], v[0:1], v[8:9]
	ds_bpermute_b32 v2, v3, v0
	ds_bpermute_b32 v3, v3, v1
	s_waitcnt lgkmcnt(0)
	v_pk_add_f32 v[0:1], v[0:1], v[2:3]
	ds_bpermute_b32 v2, v4, v0
	ds_bpermute_b32 v3, v4, v1
	s_waitcnt lgkmcnt(0)
	v_pk_add_f32 v[0:1], v[0:1], v[2:3]
	ds_bpermute_b32 v2, v6, v0
	ds_bpermute_b32 v3, v6, v1
	s_waitcnt lgkmcnt(0)
	v_pk_add_f32 v[0:1], v[0:1], v[2:3]
	scratch_store_dwordx2 off, v[0:1], off offset:40
	s_and_b64 exec, exec, s[0:1]
	s_cbranch_execz .LBB261_16
; %bb.15:
	scratch_load_dword v2, v5, off offset:40
	v_mad_u64_u32 v[0:1], s[0:1], s10, 5, v[12:13]
	v_mov_b32_e32 v1, 0
	v_lshl_add_u64 v[0:1], v[0:1], 2, s[2:3]
	s_waitcnt vmcnt(0)
	global_store_dword v[0:1], v2, off
.LBB261_16:
	s_endpgm
	.section	.rodata,"a",@progbits
	.p2align	6, 0x0
	.amdhsa_kernel _ZL13mul_mat_vec_qIL9ggml_type21ELi6ELb0ELb0EEvPKvS2_PKi31ggml_cuda_mm_fusion_args_devicePfj15HIP_vector_typeIjLj3EEjjjS8_jjjS8_jjjj
		.amdhsa_group_segment_fixed_size 0
		.amdhsa_private_segment_fixed_size 64
		.amdhsa_kernarg_size 144
		.amdhsa_user_sgpr_count 2
		.amdhsa_user_sgpr_dispatch_ptr 0
		.amdhsa_user_sgpr_queue_ptr 0
		.amdhsa_user_sgpr_kernarg_segment_ptr 1
		.amdhsa_user_sgpr_dispatch_id 0
		.amdhsa_user_sgpr_kernarg_preload_length 0
		.amdhsa_user_sgpr_kernarg_preload_offset 0
		.amdhsa_user_sgpr_private_segment_size 0
		.amdhsa_uses_dynamic_stack 0
		.amdhsa_enable_private_segment 1
		.amdhsa_system_sgpr_workgroup_id_x 1
		.amdhsa_system_sgpr_workgroup_id_y 1
		.amdhsa_system_sgpr_workgroup_id_z 1
		.amdhsa_system_sgpr_workgroup_info 0
		.amdhsa_system_vgpr_workitem_id 1
		.amdhsa_next_free_vgpr 107
		.amdhsa_next_free_sgpr 36
		.amdhsa_accum_offset 108
		.amdhsa_reserve_vcc 1
		.amdhsa_float_round_mode_32 0
		.amdhsa_float_round_mode_16_64 0
		.amdhsa_float_denorm_mode_32 3
		.amdhsa_float_denorm_mode_16_64 3
		.amdhsa_dx10_clamp 1
		.amdhsa_ieee_mode 1
		.amdhsa_fp16_overflow 0
		.amdhsa_tg_split 0
		.amdhsa_exception_fp_ieee_invalid_op 0
		.amdhsa_exception_fp_denorm_src 0
		.amdhsa_exception_fp_ieee_div_zero 0
		.amdhsa_exception_fp_ieee_overflow 0
		.amdhsa_exception_fp_ieee_underflow 0
		.amdhsa_exception_fp_ieee_inexact 0
		.amdhsa_exception_int_div_zero 0
	.end_amdhsa_kernel
	.section	.text._ZL13mul_mat_vec_qIL9ggml_type21ELi6ELb0ELb0EEvPKvS2_PKi31ggml_cuda_mm_fusion_args_devicePfj15HIP_vector_typeIjLj3EEjjjS8_jjjS8_jjjj,"axG",@progbits,_ZL13mul_mat_vec_qIL9ggml_type21ELi6ELb0ELb0EEvPKvS2_PKi31ggml_cuda_mm_fusion_args_devicePfj15HIP_vector_typeIjLj3EEjjjS8_jjjS8_jjjj,comdat
.Lfunc_end261:
	.size	_ZL13mul_mat_vec_qIL9ggml_type21ELi6ELb0ELb0EEvPKvS2_PKi31ggml_cuda_mm_fusion_args_devicePfj15HIP_vector_typeIjLj3EEjjjS8_jjjS8_jjjj, .Lfunc_end261-_ZL13mul_mat_vec_qIL9ggml_type21ELi6ELb0ELb0EEvPKvS2_PKi31ggml_cuda_mm_fusion_args_devicePfj15HIP_vector_typeIjLj3EEjjjS8_jjjS8_jjjj
                                        ; -- End function
	.section	.AMDGPU.csdata,"",@progbits
; Kernel info:
; codeLenInByte = 20148
; NumSgprs: 42
; NumVgprs: 107
; NumAgprs: 0
; TotalNumVgprs: 107
; ScratchSize: 64
; MemoryBound: 0
; FloatMode: 240
; IeeeMode: 1
; LDSByteSize: 0 bytes/workgroup (compile time only)
; SGPRBlocks: 5
; VGPRBlocks: 13
; NumSGPRsForWavesPerEU: 42
; NumVGPRsForWavesPerEU: 107
; AccumOffset: 108
; Occupancy: 4
; WaveLimiterHint : 0
; COMPUTE_PGM_RSRC2:SCRATCH_EN: 1
; COMPUTE_PGM_RSRC2:USER_SGPR: 2
; COMPUTE_PGM_RSRC2:TRAP_HANDLER: 0
; COMPUTE_PGM_RSRC2:TGID_X_EN: 1
; COMPUTE_PGM_RSRC2:TGID_Y_EN: 1
; COMPUTE_PGM_RSRC2:TGID_Z_EN: 1
; COMPUTE_PGM_RSRC2:TIDIG_COMP_CNT: 1
; COMPUTE_PGM_RSRC3_GFX90A:ACCUM_OFFSET: 26
; COMPUTE_PGM_RSRC3_GFX90A:TG_SPLIT: 0
	.section	.text._ZL13mul_mat_vec_qIL9ggml_type21ELi7ELb0ELb0EEvPKvS2_PKi31ggml_cuda_mm_fusion_args_devicePfj15HIP_vector_typeIjLj3EEjjjS8_jjjS8_jjjj,"axG",@progbits,_ZL13mul_mat_vec_qIL9ggml_type21ELi7ELb0ELb0EEvPKvS2_PKi31ggml_cuda_mm_fusion_args_devicePfj15HIP_vector_typeIjLj3EEjjjS8_jjjS8_jjjj,comdat
	.globl	_ZL13mul_mat_vec_qIL9ggml_type21ELi7ELb0ELb0EEvPKvS2_PKi31ggml_cuda_mm_fusion_args_devicePfj15HIP_vector_typeIjLj3EEjjjS8_jjjS8_jjjj ; -- Begin function _ZL13mul_mat_vec_qIL9ggml_type21ELi7ELb0ELb0EEvPKvS2_PKi31ggml_cuda_mm_fusion_args_devicePfj15HIP_vector_typeIjLj3EEjjjS8_jjjS8_jjjj
	.p2align	8
	.type	_ZL13mul_mat_vec_qIL9ggml_type21ELi7ELb0ELb0EEvPKvS2_PKi31ggml_cuda_mm_fusion_args_devicePfj15HIP_vector_typeIjLj3EEjjjS8_jjjS8_jjjj,@function
_ZL13mul_mat_vec_qIL9ggml_type21ELi7ELb0ELb0EEvPKvS2_PKi31ggml_cuda_mm_fusion_args_devicePfj15HIP_vector_typeIjLj3EEjjjS8_jjjS8_jjjj: ; @_ZL13mul_mat_vec_qIL9ggml_type21ELi7ELb0ELb0EEvPKvS2_PKi31ggml_cuda_mm_fusion_args_devicePfj15HIP_vector_typeIjLj3EEjjjS8_jjjS8_jjjj
; %bb.0:
	v_bfe_u32 v19, v0, 10, 10
	v_and_b32_e32 v12, 0x3ff, v0
	s_mov_b32 s20, 0
	s_load_dword s5, s[0:1], 0x40
	s_load_dwordx4 s[8:11], s[0:1], 0x50
	s_load_dword s27, s[0:1], 0x60
	s_load_dwordx4 s[12:15], s[0:1], 0x68
	;; [unrolled: 2-line block ×3, first 2 shown]
	v_lshl_or_b32 v4, v19, 6, v12
	s_mov_b32 s21, s20
	s_waitcnt lgkmcnt(0)
	s_lshr_b32 s5, s5, 8
	v_mov_b32_e32 v15, 0
	s_mov_b32 s22, s20
	s_mov_b32 s23, s20
	v_mov_b64_e32 v[0:1], s[20:21]
	v_lshrrev_b32_e32 v50, 3, v4
	s_lshl_b32 s2, s2, 1
	v_mov_b32_e32 v14, v15
	v_mov_b64_e32 v[2:3], s[22:23]
	v_cmp_gt_u32_e32 vcc, s5, v50
	scratch_store_dwordx2 off, v[14:15], off offset:48
	scratch_store_dwordx4 off, v[0:3], off offset:32
	scratch_store_dwordx4 off, v[0:3], off offset:16
	scratch_store_dwordx4 off, v[0:3], off
	s_and_saveexec_b64 s[6:7], vcc
	s_cbranch_execz .LBB262_3
; %bb.1:
	s_load_dwordx4 s[20:23], s[0:1], 0x0
	s_mul_i32 s17, s4, s17
	s_mul_i32 s24, s17, 36
	;; [unrolled: 1-line block ×3, first 2 shown]
	s_mul_hi_u32 s19, s17, 36
	s_waitcnt lgkmcnt(0)
	s_add_u32 s24, s22, s24
	s_addc_u32 s19, s23, s19
	s_mul_i32 s28, s13, 36
	s_mul_hi_u32 s29, s13, 36
	s_add_u32 s24, s24, s28
	s_mul_hi_u32 s11, s11, s3
	s_addc_u32 s25, s19, s29
	s_add_i32 s11, s3, s11
	s_lshr_b32 s11, s11, s27
	s_mul_i32 s11, s11, s12
	s_mul_hi_u32 s12, s15, s4
	s_add_i32 s12, s4, s12
	s_lshr_b32 s12, s12, s26
	s_mul_i32 s12, s12, s16
	s_mul_i32 s13, s2, s8
	s_add_i32 s12, s12, s11
	v_lshlrev_b32_e32 v1, 1, v12
	s_add_i32 s11, s12, s13
	s_add_i32 s13, s2, 1
	v_and_b32_e32 v0, 14, v1
	v_bfe_u32 v16, v1, 2, 2
	s_mul_i32 s8, s8, s13
	v_lshl_add_u32 v1, v19, 6, v12
	s_add_i32 s8, s12, s8
	v_lshrrev_b32_e32 v1, 3, v1
	s_movk_i32 s12, 0x120
	v_mov_b64_e32 v[4:5], s[28:29]
	v_mad_u64_u32 v[4:5], s[12:13], v1, s12, v[4:5]
	v_and_b32_e32 v14, 7, v12
	v_mad_u64_u32 v[4:5], s[12:13], s17, 36, v[4:5]
	v_lshlrev_b32_e32 v2, 1, v0
	v_mad_u64_u32 v[4:5], s[12:13], v14, 36, v[4:5]
	v_and_b32_e32 v18, 4, v2
	v_lshl_add_u64 v[4:5], v[4:5], 0, s[22:23]
	v_mov_b32_e32 v17, v15
	v_mov_b32_e32 v13, v18
	v_lshlrev_b32_e32 v51, 3, v50
	s_mul_i32 s15, s9, 6
	s_mul_i32 s19, s9, 5
	s_lshl_b32 s26, s9, 2
	s_mul_i32 s27, s9, 3
	v_lshl_add_u64 v[20:21], v[4:5], 0, 16
	s_lshl_b32 s22, s9, 1
	s_mov_b64 s[12:13], 0
	s_movk_i32 s23, 0x6e
	v_mov_b64_e32 v[22:23], s[20:21]
	v_lshlrev_b32_e32 v24, 1, v2
	v_lshlrev_b32_e32 v26, 1, v0
	s_movk_i32 s28, 0xff
	s_mov_b32 s29, 0xffff
	s_movk_i32 s30, 0x100
	s_movk_i32 s31, 0xff00
	s_mov_b64 s[16:17], 0x900
	v_mov_b32_e32 v25, v15
	v_mov_b32_e32 v27, v15
	;; [unrolled: 1-line block ×5, first 2 shown]
.LBB262_2:                              ; =>This Inner Loop Header: Depth=1
	v_add_u32_e32 v9, s11, v50
	v_mad_i64_i32 v[34:35], s[20:21], v9, s23, v[22:23]
	v_lshl_add_u64 v[42:43], v[34:35], 0, v[24:25]
	v_lshl_add_u64 v[44:45], v[34:35], 0, v[14:15]
	global_load_dword v8, v[20:21], off offset:16
	global_load_dwordx4 v[0:3], v[20:21], off
	global_load_dwordx4 v[4:7], v[20:21], off offset:-16
	global_load_ushort v9, v[42:43], off offset:2
	global_load_dword v62, v[42:43], off offset:2
	global_load_dword v60, v[42:43], off offset:4
	;; [unrolled: 1-line block ×3, first 2 shown]
	global_load_ubyte v29, v[44:45], off offset:66
	v_lshl_add_u64 v[46:47], v[34:35], 0, v[26:27]
	global_load_ushort v30, v[46:47], off offset:74
	global_load_dword v61, v[46:47], off offset:74
	s_getpc_b64 s[20:21]
	s_add_u32 s20, s20, _ZL9iq3s_grid@rel32@lo+4
	s_addc_u32 s21, s21, _ZL9iq3s_grid@rel32@hi+12
	v_mov_b32_e32 v106, 0
	v_lshl_add_u64 v[20:21], v[20:21], 0, s[16:17]
	s_waitcnt vmcnt(7)
	v_cvt_f32_f16_e32 v4, v4
	s_waitcnt vmcnt(6)
	v_and_b32_sdwa v33, s29, v9 dst_sel:DWORD dst_unused:UNUSED_PAD src0_sel:DWORD src1_sel:BYTE_0
	v_lshrrev_b16_e32 v9, 8, v9
	s_waitcnt vmcnt(5)
	v_lshrrev_b32_e32 v10, 16, v62
	s_waitcnt vmcnt(2)
	v_lshlrev_b32_e32 v36, 8, v29
	v_and_or_b32 v33, v36, s30, v33
	v_lshlrev_b32_e32 v33, 2, v33
	global_load_dword v33, v33, s[20:21]
	v_lshlrev_b32_e32 v36, 7, v29
	v_and_or_b32 v9, v36, s30, v9
	v_lshlrev_b32_e32 v9, 2, v9
	global_load_dword v9, v9, s[20:21]
	s_waitcnt vmcnt(3)
	v_and_b32_sdwa v36, s29, v30 dst_sel:DWORD dst_unused:UNUSED_PAD src0_sel:DWORD src1_sel:BYTE_0
	v_bfe_u32 v40, v36, 3, 1
	v_lshlrev_b32_e32 v37, 5, v36
	v_lshrrev_b32_e32 v39, 1, v36
	v_cmp_ne_u16_e32 vcc, 0, v40
	v_and_b32_e32 v38, 1, v30
	v_bfe_i32 v39, v39, 0, 1
	v_lshrrev_b16_e32 v37, 7, v37
	v_cndmask_b32_e64 v40, 0, -1, vcc
	v_sub_u16_e32 v38, 0, v38
	v_bfe_i32 v37, v37, 0, 1
	v_lshlrev_b16_e32 v39, 8, v39
	v_lshlrev_b16_e32 v40, 8, v40
	v_or_b32_sdwa v41, v38, v39 dst_sel:DWORD dst_unused:UNUSED_PAD src0_sel:BYTE_0 src1_sel:DWORD
	v_or_b32_sdwa v48, v37, v40 dst_sel:WORD_1 dst_unused:UNUSED_PAD src0_sel:BYTE_0 src1_sel:DWORD
	v_bfe_i32 v49, v36, 4, 1
	v_or_b32_sdwa v41, v41, v48 dst_sel:DWORD dst_unused:UNUSED_PAD src0_sel:WORD_0 src1_sel:DWORD
	v_lshlrev_b32_e32 v48, 1, v36
	v_lshrrev_b32_e32 v55, 5, v36
	v_lshrrev_b32_e32 v36, 7, v36
	v_cmp_ne_u16_e32 vcc, 0, v36
	v_lshlrev_b16_e32 v38, 8, v38
	v_bfe_i32 v55, v55, 0, 1
	v_lshrrev_b16_e32 v48, 7, v48
	v_cndmask_b32_e64 v36, 0, -1, vcc
	v_bfe_i32 v48, v48, 0, 1
	v_lshlrev_b16_e32 v55, 8, v55
	v_lshlrev_b16_e32 v36, 8, v36
	v_or_b32_sdwa v56, v49, v55 dst_sel:DWORD dst_unused:UNUSED_PAD src0_sel:BYTE_0 src1_sel:DWORD
	v_or_b32_sdwa v57, v48, v36 dst_sel:WORD_1 dst_unused:UNUSED_PAD src0_sel:BYTE_0 src1_sel:DWORD
	v_lshlrev_b16_e32 v37, 8, v37
	v_or_b32_sdwa v56, v56, v57 dst_sel:DWORD dst_unused:UNUSED_PAD src0_sel:WORD_0 src1_sel:DWORD
	v_lshrrev_b32_e32 v11, 16, v60
	s_waitcnt vmcnt(2)
	v_lshrrev_b32_e32 v31, 16, v61
	v_lshrrev_b32_e32 v28, 16, v59
	;; [unrolled: 1-line block ×3, first 2 shown]
	s_waitcnt vmcnt(1)
	v_xor_b32_e32 v33, v33, v41
	v_and_b32_e32 v41, 0xffffff00, v33
	v_sub_i16 v39, v41, v39 clamp
	v_lshlrev_b16_e32 v41, 8, v33
	v_and_b32_e32 v39, 0xffffff00, v39
	v_sub_i16 v38, v41, v38 clamp
	v_or_b32_sdwa v38, v38, v39 dst_sel:DWORD dst_unused:UNUSED_PAD src0_sel:BYTE_1 src1_sel:DWORD
	v_and_b32_sdwa v39, v33, s31 dst_sel:DWORD dst_unused:UNUSED_PAD src0_sel:WORD_1 src1_sel:DWORD
	v_sub_i16 v39, v39, v40 clamp
	v_lshlrev_b16_sdwa v33, v52, v33 dst_sel:DWORD dst_unused:UNUSED_PAD src0_sel:DWORD src1_sel:WORD_1
	v_and_b32_e32 v39, 0xffffff00, v39
	v_sub_i16 v33, v33, v37 clamp
	v_or_b32_sdwa v33, v33, v39 dst_sel:WORD_1 dst_unused:UNUSED_PAD src0_sel:BYTE_1 src1_sel:DWORD
	s_waitcnt vmcnt(0)
	v_xor_b32_e32 v9, v9, v56
	v_or_b32_sdwa v63, v38, v33 dst_sel:DWORD dst_unused:UNUSED_PAD src0_sel:WORD_0 src1_sel:DWORD
	v_and_b32_e32 v33, 0xffffff00, v9
	v_sub_i16 v33, v33, v55 clamp
	v_lshlrev_b16_e32 v37, 8, v9
	v_lshlrev_b16_e32 v38, 8, v49
	v_and_b32_e32 v33, 0xffffff00, v33
	v_sub_i16 v37, v37, v38 clamp
	v_or_b32_sdwa v33, v37, v33 dst_sel:DWORD dst_unused:UNUSED_PAD src0_sel:BYTE_1 src1_sel:DWORD
	v_and_b32_sdwa v37, v9, s31 dst_sel:DWORD dst_unused:UNUSED_PAD src0_sel:WORD_1 src1_sel:DWORD
	v_sub_i16 v36, v37, v36 clamp
	v_lshlrev_b16_sdwa v9, v52, v9 dst_sel:DWORD dst_unused:UNUSED_PAD src0_sel:DWORD src1_sel:WORD_1
	v_lshlrev_b16_e32 v37, 8, v48
	v_and_b32_e32 v36, 0xffffff00, v36
	v_sub_i16 v9, v9, v37 clamp
	v_or_b32_sdwa v9, v9, v36 dst_sel:WORD_1 dst_unused:UNUSED_PAD src0_sel:BYTE_1 src1_sel:DWORD
	v_lshrrev_b16_e32 v36, 8, v30
	v_or_b32_sdwa v64, v33, v9 dst_sel:DWORD dst_unused:UNUSED_PAD src0_sel:WORD_0 src1_sel:DWORD
	v_lshlrev_b32_e32 v33, 6, v29
	v_and_b32_e32 v65, 0x100, v33
	v_and_or_b32 v10, v10, s28, v65
	v_lshlrev_b32_e32 v10, 2, v10
	global_load_dword v10, v10, s[20:21]
	v_bfe_u32 v39, v36, 3, 1
	v_lshlrev_b32_e32 v37, 5, v36
	v_lshrrev_b32_e32 v38, 1, v36
	v_cmp_ne_u16_e32 vcc, 0, v39
	v_lshlrev_b16_e32 v30, 7, v30
	v_bfe_i32 v38, v38, 0, 1
	v_lshrrev_b16_e32 v37, 7, v37
	v_cndmask_b32_e64 v39, 0, -1, vcc
	v_ashrrev_i16_e32 v30, 15, v30
	v_bfe_i32 v37, v37, 0, 1
	v_lshlrev_b16_e32 v69, 8, v38
	v_lshlrev_b16_e32 v67, 8, v39
	v_lshlrev_b32_e32 v33, 5, v29
	v_or_b32_sdwa v38, v30, v69 dst_sel:DWORD dst_unused:UNUSED_PAD src0_sel:BYTE_0 src1_sel:DWORD
	v_or_b32_sdwa v39, v37, v67 dst_sel:WORD_1 dst_unused:UNUSED_PAD src0_sel:BYTE_0 src1_sel:DWORD
	v_and_b32_e32 v66, 0x100, v33
	v_or_b32_sdwa v71, v38, v39 dst_sel:DWORD dst_unused:UNUSED_PAD src0_sel:WORD_0 src1_sel:DWORD
	v_lshlrev_b32_e32 v38, 1, v36
	v_bfe_i32 v39, v36, 4, 1
	v_lshrrev_b32_e32 v40, 5, v36
	v_lshrrev_b32_e32 v36, 7, v36
	v_or_b32_sdwa v33, v66, v62 dst_sel:DWORD dst_unused:UNUSED_PAD src0_sel:DWORD src1_sel:BYTE_3
	v_cmp_ne_u16_e32 vcc, 0, v36
	v_lshlrev_b32_e32 v33, 2, v33
	global_load_dword v33, v33, s[20:21]
	v_bfe_i32 v40, v40, 0, 1
	v_lshrrev_b16_e32 v38, 7, v38
	v_cndmask_b32_e64 v36, 0, -1, vcc
	v_bfe_i32 v38, v38, 0, 1
	v_lshlrev_b16_e32 v70, 8, v40
	v_lshlrev_b16_e32 v68, 8, v36
	v_or_b32_sdwa v40, v39, v70 dst_sel:DWORD dst_unused:UNUSED_PAD src0_sel:BYTE_0 src1_sel:DWORD
	v_or_b32_sdwa v36, v38, v68 dst_sel:WORD_1 dst_unused:UNUSED_PAD src0_sel:BYTE_0 src1_sel:DWORD
	v_lshlrev_b16_e32 v73, 8, v30
	v_or_b32_sdwa v72, v40, v36 dst_sel:DWORD dst_unused:UNUSED_PAD src0_sel:WORD_0 src1_sel:DWORD
	v_lshlrev_b16_e32 v74, 8, v37
	v_mov_b32_e32 v9, 0
	v_dot4c_i32_i8_e32 v9, v63, v5
	v_dot4c_i32_i8_e32 v9, v64, v6
	v_lshlrev_b16_e32 v75, 8, v39
	v_lshlrev_b16_e32 v76, 8, v38
	v_bfe_u32 v37, v61, 19, 1
	v_cmp_ne_u16_e32 vcc, 0, v37
	v_bfe_u32 v48, v31, 7, 1
	v_bfe_u32 v41, v31, 5, 3
	v_cndmask_b32_e64 v37, 0, -1, vcc
	v_lshlrev_b16_e32 v37, 8, v37
	v_cmp_ne_u16_e32 vcc, 0, v48
	v_bfe_i32 v41, v41, 0, 1
	v_lshlrev_b16_e32 v41, 8, v41
	v_cndmask_b32_e64 v48, 0, -1, vcc
	v_lshlrev_b16_e32 v48, 8, v48
	s_waitcnt vmcnt(1)
	v_xor_b32_e32 v10, v10, v71
	v_and_b32_e32 v36, 0xffffff00, v10
	v_sub_i16 v36, v36, v69 clamp
	v_lshlrev_b16_e32 v40, 8, v10
	v_and_b32_e32 v36, 0xffffff00, v36
	v_sub_i16 v30, v40, v73 clamp
	v_or_b32_sdwa v30, v30, v36 dst_sel:DWORD dst_unused:UNUSED_PAD src0_sel:BYTE_1 src1_sel:DWORD
	v_and_b32_sdwa v36, v10, s31 dst_sel:DWORD dst_unused:UNUSED_PAD src0_sel:WORD_1 src1_sel:DWORD
	v_sub_i16 v36, v36, v67 clamp
	v_lshlrev_b16_sdwa v10, v52, v10 dst_sel:DWORD dst_unused:UNUSED_PAD src0_sel:DWORD src1_sel:WORD_1
	v_and_b32_e32 v36, 0xffffff00, v36
	v_sub_i16 v10, v10, v74 clamp
	v_or_b32_sdwa v10, v10, v36 dst_sel:WORD_1 dst_unused:UNUSED_PAD src0_sel:BYTE_1 src1_sel:DWORD
	v_bfe_i32 v40, v61, 20, 1
	v_or_b32_sdwa v10, v30, v10 dst_sel:DWORD dst_unused:UNUSED_PAD src0_sel:WORD_0 src1_sel:DWORD
	v_dot4c_i32_i8_e32 v9, v10, v7
	v_lshlrev_b32_e32 v10, 4, v29
	v_and_b32_e32 v77, 0x100, v10
	v_and_or_b32 v10, v11, s28, v77
	v_lshlrev_b32_e32 v10, 2, v10
	global_load_dword v10, v10, s[20:21]
	v_lshlrev_b32_e32 v11, 3, v29
	v_and_b32_e32 v78, 0x100, v11
	v_or_b32_sdwa v11, v78, v60 dst_sel:DWORD dst_unused:UNUSED_PAD src0_sel:DWORD src1_sel:BYTE_3
	v_lshlrev_b32_e32 v11, 2, v11
	global_load_dword v11, v11, s[20:21]
	s_waitcnt vmcnt(2)
	v_xor_b32_e32 v30, v33, v72
	v_and_b32_e32 v33, 0xffffff00, v30
	v_sub_i16 v33, v33, v70 clamp
	v_lshlrev_b16_e32 v36, 8, v30
	v_and_b32_e32 v33, 0xffffff00, v33
	v_sub_i16 v36, v36, v75 clamp
	v_or_b32_sdwa v33, v36, v33 dst_sel:DWORD dst_unused:UNUSED_PAD src0_sel:BYTE_1 src1_sel:DWORD
	v_and_b32_sdwa v36, v30, s31 dst_sel:DWORD dst_unused:UNUSED_PAD src0_sel:WORD_1 src1_sel:DWORD
	v_sub_i16 v36, v36, v68 clamp
	v_lshlrev_b16_sdwa v30, v52, v30 dst_sel:DWORD dst_unused:UNUSED_PAD src0_sel:DWORD src1_sel:WORD_1
	v_and_b32_e32 v36, 0xffffff00, v36
	v_sub_i16 v30, v30, v76 clamp
	v_or_b32_sdwa v30, v30, v36 dst_sel:WORD_1 dst_unused:UNUSED_PAD src0_sel:BYTE_1 src1_sel:DWORD
	v_bfe_u32 v36, v31, 1, 7
	v_or_b32_sdwa v30, v33, v30 dst_sel:DWORD dst_unused:UNUSED_PAD src0_sel:WORD_0 src1_sel:DWORD
	v_dot4c_i32_i8_e32 v9, v30, v0
	v_lshlrev_b32_sdwa v30, v53, v61 dst_sel:DWORD dst_unused:UNUSED_PAD src0_sel:DWORD src1_sel:BYTE_2
	v_and_b32_e32 v33, 1, v31
	v_bfe_i32 v36, v36, 0, 1
	v_lshrrev_b16_e32 v30, 7, v30
	v_sub_u16_e32 v33, 0, v33
	v_bfe_i32 v30, v30, 0, 1
	v_lshlrev_b16_e32 v36, 8, v36
	v_or_b32_sdwa v38, v33, v36 dst_sel:DWORD dst_unused:UNUSED_PAD src0_sel:BYTE_0 src1_sel:DWORD
	v_or_b32_sdwa v39, v30, v37 dst_sel:WORD_1 dst_unused:UNUSED_PAD src0_sel:BYTE_0 src1_sel:DWORD
	v_lshlrev_b16_e32 v33, 8, v33
	v_or_b32_sdwa v38, v38, v39 dst_sel:DWORD dst_unused:UNUSED_PAD src0_sel:WORD_0 src1_sel:DWORD
	v_lshlrev_b32_sdwa v39, v54, v61 dst_sel:DWORD dst_unused:UNUSED_PAD src0_sel:DWORD src1_sel:BYTE_2
	v_lshrrev_b16_e32 v39, 7, v39
	v_bfe_i32 v39, v39, 0, 1
	v_or_b32_sdwa v49, v40, v41 dst_sel:DWORD dst_unused:UNUSED_PAD src0_sel:BYTE_0 src1_sel:DWORD
	v_or_b32_sdwa v55, v39, v48 dst_sel:WORD_1 dst_unused:UNUSED_PAD src0_sel:BYTE_0 src1_sel:DWORD
	v_lshlrev_b16_e32 v30, 8, v30
	v_or_b32_sdwa v49, v49, v55 dst_sel:DWORD dst_unused:UNUSED_PAD src0_sel:WORD_0 src1_sel:DWORD
	s_waitcnt vmcnt(1)
	v_xor_b32_e32 v10, v10, v38
	v_and_b32_e32 v38, 0xffffff00, v10
	v_sub_i16 v36, v38, v36 clamp
	v_lshlrev_b16_e32 v38, 8, v10
	v_and_b32_e32 v36, 0xffffff00, v36
	v_sub_i16 v33, v38, v33 clamp
	v_or_b32_sdwa v33, v33, v36 dst_sel:DWORD dst_unused:UNUSED_PAD src0_sel:BYTE_1 src1_sel:DWORD
	v_and_b32_sdwa v36, v10, s31 dst_sel:DWORD dst_unused:UNUSED_PAD src0_sel:WORD_1 src1_sel:DWORD
	v_sub_i16 v36, v36, v37 clamp
	v_lshlrev_b16_sdwa v10, v52, v10 dst_sel:DWORD dst_unused:UNUSED_PAD src0_sel:DWORD src1_sel:WORD_1
	v_and_b32_e32 v36, 0xffffff00, v36
	v_sub_i16 v10, v10, v30 clamp
	s_waitcnt vmcnt(0)
	v_xor_b32_e32 v11, v11, v49
	v_or_b32_sdwa v10, v10, v36 dst_sel:WORD_1 dst_unused:UNUSED_PAD src0_sel:BYTE_1 src1_sel:DWORD
	v_and_b32_e32 v30, 0xffffff00, v11
	v_or_b32_sdwa v10, v33, v10 dst_sel:DWORD dst_unused:UNUSED_PAD src0_sel:WORD_0 src1_sel:DWORD
	v_sub_i16 v30, v30, v41 clamp
	v_lshlrev_b16_e32 v33, 8, v11
	v_lshlrev_b16_e32 v36, 8, v40
	v_and_b32_e32 v30, 0xffffff00, v30
	v_sub_i16 v33, v33, v36 clamp
	v_dot4c_i32_i8_e32 v9, v10, v1
	v_lshlrev_b32_e32 v10, 2, v29
	v_or_b32_sdwa v30, v33, v30 dst_sel:DWORD dst_unused:UNUSED_PAD src0_sel:BYTE_1 src1_sel:DWORD
	v_and_b32_sdwa v33, v11, s31 dst_sel:DWORD dst_unused:UNUSED_PAD src0_sel:WORD_1 src1_sel:DWORD
	v_and_b32_e32 v79, 0x100, v10
	v_sub_i16 v33, v33, v48 clamp
	v_lshlrev_b16_sdwa v11, v52, v11 dst_sel:DWORD dst_unused:UNUSED_PAD src0_sel:DWORD src1_sel:WORD_1
	v_lshlrev_b16_e32 v36, 8, v39
	v_and_or_b32 v10, v28, s28, v79
	v_and_b32_e32 v33, 0xffffff00, v33
	v_sub_i16 v11, v11, v36 clamp
	v_lshlrev_b32_e32 v10, 2, v10
	v_or_b32_sdwa v11, v11, v33 dst_sel:WORD_1 dst_unused:UNUSED_PAD src0_sel:BYTE_1 src1_sel:DWORD
	global_load_dword v10, v10, s[20:21]
	v_or_b32_sdwa v11, v30, v11 dst_sel:DWORD dst_unused:UNUSED_PAD src0_sel:WORD_0 src1_sel:DWORD
	v_dot4c_i32_i8_e32 v9, v11, v2
	v_lshlrev_b32_e32 v11, 1, v29
	v_and_b32_e32 v80, 0x100, v11
	v_or_b32_sdwa v11, v80, v59 dst_sel:DWORD dst_unused:UNUSED_PAD src0_sel:DWORD src1_sel:BYTE_3
	v_lshlrev_b32_e32 v11, 2, v11
	global_load_dword v11, v11, s[20:21]
	v_lshlrev_b16_e32 v29, 7, v31
	v_bfe_u32 v31, v61, 27, 1
	v_lshlrev_b32_e32 v28, 5, v32
	v_lshrrev_b32_e32 v30, 25, v61
	v_cmp_ne_u16_e32 vcc, 0, v31
	v_bfe_i32 v30, v30, 0, 1
	v_lshrrev_b16_e32 v28, 7, v28
	v_cndmask_b32_e64 v31, 0, -1, vcc
	v_ashrrev_i16_e32 v29, 15, v29
	v_bfe_i32 v28, v28, 0, 1
	v_lshlrev_b16_e32 v30, 8, v30
	v_lshlrev_b16_e32 v31, 8, v31
	v_or_b32_sdwa v33, v29, v30 dst_sel:DWORD dst_unused:UNUSED_PAD src0_sel:BYTE_0 src1_sel:DWORD
	v_or_b32_sdwa v36, v28, v31 dst_sel:WORD_1 dst_unused:UNUSED_PAD src0_sel:BYTE_0 src1_sel:DWORD
	v_lshrrev_b32_e32 v38, 31, v61
	v_or_b32_sdwa v33, v33, v36 dst_sel:DWORD dst_unused:UNUSED_PAD src0_sel:WORD_0 src1_sel:DWORD
	v_lshlrev_b32_e32 v36, 1, v32
	v_lshrrev_b32_e32 v37, 29, v61
	v_cmp_ne_u16_e32 vcc, 0, v38
	v_bfe_i32 v37, v37, 0, 1
	v_lshrrev_b16_e32 v36, 7, v36
	v_cndmask_b32_e64 v38, 0, -1, vcc
	v_lshlrev_b16_e32 v29, 8, v29
	v_bfe_i32 v32, v32, 4, 1
	v_bfe_i32 v36, v36, 0, 1
	v_lshlrev_b16_e32 v37, 8, v37
	v_lshlrev_b16_e32 v38, 8, v38
	v_or_b32_sdwa v39, v32, v37 dst_sel:DWORD dst_unused:UNUSED_PAD src0_sel:BYTE_0 src1_sel:DWORD
	v_or_b32_sdwa v40, v36, v38 dst_sel:WORD_1 dst_unused:UNUSED_PAD src0_sel:BYTE_0 src1_sel:DWORD
	v_lshlrev_b16_e32 v28, 8, v28
	v_or_b32_sdwa v39, v39, v40 dst_sel:DWORD dst_unused:UNUSED_PAD src0_sel:WORD_0 src1_sel:DWORD
	s_waitcnt vmcnt(1)
	v_xor_b32_e32 v10, v10, v33
	v_and_b32_e32 v33, 0xffffff00, v10
	v_sub_i16 v30, v33, v30 clamp
	v_lshlrev_b16_e32 v33, 8, v10
	v_and_b32_e32 v30, 0xffffff00, v30
	v_sub_i16 v29, v33, v29 clamp
	v_or_b32_sdwa v29, v29, v30 dst_sel:DWORD dst_unused:UNUSED_PAD src0_sel:BYTE_1 src1_sel:DWORD
	v_and_b32_sdwa v30, v10, s31 dst_sel:DWORD dst_unused:UNUSED_PAD src0_sel:WORD_1 src1_sel:DWORD
	v_sub_i16 v30, v30, v31 clamp
	v_lshlrev_b16_sdwa v10, v52, v10 dst_sel:DWORD dst_unused:UNUSED_PAD src0_sel:DWORD src1_sel:WORD_1
	v_and_b32_e32 v30, 0xffffff00, v30
	v_sub_i16 v10, v10, v28 clamp
	s_waitcnt vmcnt(0)
	v_xor_b32_e32 v11, v11, v39
	v_or_b32_sdwa v10, v10, v30 dst_sel:WORD_1 dst_unused:UNUSED_PAD src0_sel:BYTE_1 src1_sel:DWORD
	v_and_b32_e32 v28, 0xffffff00, v11
	v_or_b32_sdwa v10, v29, v10 dst_sel:DWORD dst_unused:UNUSED_PAD src0_sel:WORD_0 src1_sel:DWORD
	v_sub_i16 v28, v28, v37 clamp
	v_lshlrev_b16_e32 v29, 8, v11
	v_lshlrev_b16_e32 v30, 8, v32
	v_and_b32_e32 v28, 0xffffff00, v28
	v_sub_i16 v29, v29, v30 clamp
	v_or_b32_sdwa v28, v29, v28 dst_sel:DWORD dst_unused:UNUSED_PAD src0_sel:BYTE_1 src1_sel:DWORD
	v_and_b32_sdwa v29, v11, s31 dst_sel:DWORD dst_unused:UNUSED_PAD src0_sel:WORD_1 src1_sel:DWORD
	v_sub_i16 v29, v29, v38 clamp
	v_lshlrev_b16_sdwa v11, v52, v11 dst_sel:DWORD dst_unused:UNUSED_PAD src0_sel:DWORD src1_sel:WORD_1
	v_lshlrev_b16_e32 v30, 8, v36
	v_and_b32_e32 v29, 0xffffff00, v29
	v_sub_i16 v11, v11, v30 clamp
	v_or_b32_sdwa v11, v11, v29 dst_sel:WORD_1 dst_unused:UNUSED_PAD src0_sel:BYTE_1 src1_sel:DWORD
	v_dot4c_i32_i8_e32 v9, v10, v3
	v_or_b32_sdwa v11, v28, v11 dst_sel:DWORD dst_unused:UNUSED_PAD src0_sel:WORD_0 src1_sel:DWORD
	v_dot4c_i32_i8_e32 v9, v11, v8
	v_add_u32_e32 v11, s8, v50
	v_mad_i64_i32 v[30:31], s[34:35], v11, s23, v[22:23]
	v_lshl_add_u64 v[36:37], v[30:31], 0, v[24:25]
	v_lshl_add_u64 v[38:39], v[30:31], 0, v[14:15]
	global_load_ushort v10, v[34:35], off
	global_load_ushort v11, v[36:37], off offset:2
	global_load_dword v58, v[36:37], off offset:2
	global_load_dword v56, v[36:37], off offset:4
	;; [unrolled: 1-line block ×3, first 2 shown]
	global_load_ubyte v49, v[38:39], off offset:66
	v_lshl_add_u64 v[40:41], v[30:31], 0, v[26:27]
	global_load_ushort v85, v[40:41], off offset:74
	global_load_dword v57, v[40:41], off offset:74
	v_lshl_add_u64 v[28:29], v[34:35], 0, v[16:17]
	v_add_u32_e32 v50, 8, v50
	s_waitcnt vmcnt(6)
	v_and_b32_sdwa v81, s29, v11 dst_sel:DWORD dst_unused:UNUSED_PAD src0_sel:DWORD src1_sel:BYTE_0
	v_lshrrev_b16_e32 v11, 8, v11
	s_waitcnt vmcnt(5)
	v_lshrrev_b32_e32 v32, 16, v58
	s_waitcnt vmcnt(4)
	v_lshrrev_b32_e32 v33, 16, v56
	s_waitcnt vmcnt(2)
	v_lshlrev_b32_e32 v82, 8, v49
	v_and_or_b32 v81, v82, s30, v81
	v_lshlrev_b32_e32 v81, 2, v81
	global_load_dword v81, v81, s[20:21]
	v_lshlrev_b32_e32 v82, 7, v49
	v_and_or_b32 v11, v82, s30, v11
	v_lshlrev_b32_e32 v11, 2, v11
	global_load_dword v11, v11, s[20:21]
	s_waitcnt vmcnt(3)
	v_and_b32_sdwa v82, s29, v85 dst_sel:DWORD dst_unused:UNUSED_PAD src0_sel:DWORD src1_sel:BYTE_0
	v_bfe_u32 v87, v82, 3, 1
	v_lshlrev_b32_e32 v83, 5, v82
	v_lshrrev_b32_e32 v86, 1, v82
	v_cmp_ne_u16_e32 vcc, 0, v87
	v_and_b32_e32 v84, 1, v85
	v_bfe_i32 v86, v86, 0, 1
	v_lshrrev_b16_e32 v83, 7, v83
	v_cndmask_b32_e64 v87, 0, -1, vcc
	v_sub_u16_e32 v84, 0, v84
	v_bfe_i32 v83, v83, 0, 1
	v_lshlrev_b16_e32 v86, 8, v86
	v_lshlrev_b16_e32 v87, 8, v87
	v_or_b32_sdwa v88, v84, v86 dst_sel:DWORD dst_unused:UNUSED_PAD src0_sel:BYTE_0 src1_sel:DWORD
	v_or_b32_sdwa v89, v83, v87 dst_sel:WORD_1 dst_unused:UNUSED_PAD src0_sel:BYTE_0 src1_sel:DWORD
	v_bfe_i32 v90, v82, 4, 1
	v_or_b32_sdwa v88, v88, v89 dst_sel:DWORD dst_unused:UNUSED_PAD src0_sel:WORD_0 src1_sel:DWORD
	v_lshlrev_b32_e32 v89, 1, v82
	v_lshrrev_b32_e32 v91, 5, v82
	v_lshrrev_b32_e32 v82, 7, v82
	v_cmp_ne_u16_e32 vcc, 0, v82
	v_bfe_i32 v91, v91, 0, 1
	v_lshrrev_b16_e32 v89, 7, v89
	v_cndmask_b32_e64 v82, 0, -1, vcc
	v_lshlrev_b16_e32 v84, 8, v84
	v_bfe_i32 v89, v89, 0, 1
	v_lshlrev_b16_e32 v91, 8, v91
	v_lshlrev_b16_e32 v82, 8, v82
	v_or_b32_sdwa v92, v90, v91 dst_sel:DWORD dst_unused:UNUSED_PAD src0_sel:BYTE_0 src1_sel:DWORD
	v_or_b32_sdwa v93, v89, v82 dst_sel:WORD_1 dst_unused:UNUSED_PAD src0_sel:BYTE_0 src1_sel:DWORD
	v_lshlrev_b16_e32 v83, 8, v83
	v_or_b32_sdwa v92, v92, v93 dst_sel:DWORD dst_unused:UNUSED_PAD src0_sel:WORD_0 src1_sel:DWORD
	s_waitcnt vmcnt(2)
	v_lshrrev_b32_e32 v99, 16, v57
	v_bfe_u32 v103, v99, 7, 1
	v_bfe_u32 v102, v99, 5, 3
	v_lshrrev_b32_e32 v48, 16, v55
	v_bfe_i32 v102, v102, 0, 1
	v_bfe_i32 v101, v57, 20, 1
	v_lshlrev_b16_e32 v102, 8, v102
	v_or_b32_sdwa v104, v101, v102 dst_sel:DWORD dst_unused:UNUSED_PAD src0_sel:BYTE_0 src1_sel:DWORD
	v_lshrrev_b32_e32 v100, 24, v57
	s_waitcnt vmcnt(1)
	v_xor_b32_e32 v81, v81, v88
	v_and_b32_e32 v88, 0xffffff00, v81
	v_sub_i16 v86, v88, v86 clamp
	v_lshlrev_b16_e32 v88, 8, v81
	v_and_b32_e32 v86, 0xffffff00, v86
	v_sub_i16 v84, v88, v84 clamp
	v_or_b32_sdwa v84, v84, v86 dst_sel:DWORD dst_unused:UNUSED_PAD src0_sel:BYTE_1 src1_sel:DWORD
	v_and_b32_sdwa v86, v81, s31 dst_sel:DWORD dst_unused:UNUSED_PAD src0_sel:WORD_1 src1_sel:DWORD
	v_sub_i16 v86, v86, v87 clamp
	v_lshlrev_b16_sdwa v81, v52, v81 dst_sel:DWORD dst_unused:UNUSED_PAD src0_sel:DWORD src1_sel:WORD_1
	v_and_b32_e32 v86, 0xffffff00, v86
	v_sub_i16 v81, v81, v83 clamp
	s_waitcnt vmcnt(0)
	v_xor_b32_e32 v11, v11, v92
	v_or_b32_sdwa v81, v81, v86 dst_sel:WORD_1 dst_unused:UNUSED_PAD src0_sel:BYTE_1 src1_sel:DWORD
	v_and_b32_e32 v83, 0xffffff00, v11
	v_or_b32_sdwa v81, v84, v81 dst_sel:DWORD dst_unused:UNUSED_PAD src0_sel:WORD_0 src1_sel:DWORD
	v_sub_i16 v83, v83, v91 clamp
	v_lshlrev_b16_e32 v84, 8, v11
	v_lshlrev_b16_e32 v86, 8, v90
	v_and_b32_e32 v83, 0xffffff00, v83
	v_sub_i16 v84, v84, v86 clamp
	v_or_b32_sdwa v83, v84, v83 dst_sel:DWORD dst_unused:UNUSED_PAD src0_sel:BYTE_1 src1_sel:DWORD
	v_and_b32_sdwa v84, v11, s31 dst_sel:DWORD dst_unused:UNUSED_PAD src0_sel:WORD_1 src1_sel:DWORD
	v_sub_i16 v82, v84, v82 clamp
	v_lshlrev_b16_sdwa v11, v52, v11 dst_sel:DWORD dst_unused:UNUSED_PAD src0_sel:DWORD src1_sel:WORD_1
	v_lshlrev_b16_e32 v84, 8, v89
	v_and_b32_e32 v82, 0xffffff00, v82
	v_sub_i16 v11, v11, v84 clamp
	v_or_b32_sdwa v11, v11, v82 dst_sel:WORD_1 dst_unused:UNUSED_PAD src0_sel:BYTE_1 src1_sel:DWORD
	s_nop 0
	v_or_b32_sdwa v82, v83, v11 dst_sel:DWORD dst_unused:UNUSED_PAD src0_sel:WORD_0 src1_sel:DWORD
	v_mov_b32_e32 v11, 0
	v_dot4c_i32_i8_e32 v11, v81, v5
	v_lshlrev_b32_e32 v5, 6, v49
	v_and_b32_e32 v83, 0x100, v5
	v_and_or_b32 v5, v32, s28, v83
	v_lshlrev_b32_e32 v5, 2, v5
	global_load_dword v5, v5, s[20:21]
	v_dot4c_i32_i8_e32 v11, v82, v6
	v_lshlrev_b32_e32 v6, 5, v49
	v_and_b32_e32 v84, 0x100, v6
	v_or_b32_sdwa v6, v84, v58 dst_sel:DWORD dst_unused:UNUSED_PAD src0_sel:DWORD src1_sel:BYTE_3
	v_lshlrev_b32_e32 v6, 2, v6
	global_load_dword v6, v6, s[20:21]
	v_lshrrev_b16_e32 v32, 8, v85
	v_lshlrev_b32_e32 v86, 5, v32
	v_lshrrev_b16_e32 v86, 7, v86
	v_lshlrev_b16_e32 v85, 7, v85
	v_bfe_i32 v92, v86, 0, 1
	v_bfe_u32 v86, v32, 3, 1
	v_ashrrev_i16_e32 v91, 15, v85
	v_lshrrev_b32_e32 v85, 1, v32
	v_cmp_ne_u16_e32 vcc, 0, v86
	v_bfe_i32 v85, v85, 0, 1
	v_lshlrev_b16_e32 v87, 8, v85
	v_cndmask_b32_e64 v86, 0, -1, vcc
	v_lshlrev_b16_e32 v85, 8, v86
	v_or_b32_sdwa v88, v91, v87 dst_sel:DWORD dst_unused:UNUSED_PAD src0_sel:BYTE_0 src1_sel:DWORD
	v_or_b32_sdwa v86, v92, v85 dst_sel:WORD_1 dst_unused:UNUSED_PAD src0_sel:BYTE_0 src1_sel:DWORD
	v_bfe_i32 v93, v32, 4, 1
	v_or_b32_sdwa v89, v88, v86 dst_sel:DWORD dst_unused:UNUSED_PAD src0_sel:WORD_0 src1_sel:DWORD
	v_lshlrev_b32_e32 v86, 1, v32
	v_lshrrev_b32_e32 v88, 5, v32
	v_lshrrev_b32_e32 v32, 7, v32
	v_cmp_ne_u16_e32 vcc, 0, v32
	v_bfe_i32 v88, v88, 0, 1
	v_lshrrev_b16_e32 v86, 7, v86
	v_cndmask_b32_e64 v32, 0, -1, vcc
	v_bfe_i32 v94, v86, 0, 1
	v_lshlrev_b16_e32 v88, 8, v88
	v_lshlrev_b16_e32 v86, 8, v32
	v_or_b32_sdwa v90, v93, v88 dst_sel:DWORD dst_unused:UNUSED_PAD src0_sel:BYTE_0 src1_sel:DWORD
	v_or_b32_sdwa v32, v94, v86 dst_sel:WORD_1 dst_unused:UNUSED_PAD src0_sel:BYTE_0 src1_sel:DWORD
	v_lshlrev_b16_e32 v91, 8, v91
	v_or_b32_sdwa v90, v90, v32 dst_sel:DWORD dst_unused:UNUSED_PAD src0_sel:WORD_0 src1_sel:DWORD
	v_lshlrev_b16_e32 v92, 8, v92
	v_lshlrev_b16_e32 v93, 8, v93
	;; [unrolled: 1-line block ×3, first 2 shown]
	s_waitcnt vmcnt(1)
	v_xor_b32_e32 v5, v5, v89
	v_and_b32_e32 v32, 0xffffff00, v5
	v_sub_i16 v32, v32, v87 clamp
	v_lshlrev_b16_e32 v95, 8, v5
	v_and_b32_e32 v32, 0xffffff00, v32
	v_sub_i16 v95, v95, v91 clamp
	v_or_b32_sdwa v32, v95, v32 dst_sel:DWORD dst_unused:UNUSED_PAD src0_sel:BYTE_1 src1_sel:DWORD
	v_and_b32_sdwa v95, v5, s31 dst_sel:DWORD dst_unused:UNUSED_PAD src0_sel:WORD_1 src1_sel:DWORD
	v_sub_i16 v95, v95, v85 clamp
	v_lshlrev_b16_sdwa v5, v52, v5 dst_sel:DWORD dst_unused:UNUSED_PAD src0_sel:DWORD src1_sel:WORD_1
	v_and_b32_e32 v95, 0xffffff00, v95
	v_sub_i16 v5, v5, v92 clamp
	v_or_b32_sdwa v5, v5, v95 dst_sel:WORD_1 dst_unused:UNUSED_PAD src0_sel:BYTE_1 src1_sel:DWORD
	s_waitcnt vmcnt(0)
	v_xor_b32_e32 v6, v6, v90
	v_or_b32_sdwa v5, v32, v5 dst_sel:DWORD dst_unused:UNUSED_PAD src0_sel:WORD_0 src1_sel:DWORD
	v_and_b32_e32 v32, 0xffffff00, v6
	v_sub_i16 v32, v32, v88 clamp
	v_lshlrev_b16_e32 v95, 8, v6
	v_and_b32_e32 v32, 0xffffff00, v32
	v_sub_i16 v95, v95, v93 clamp
	v_or_b32_sdwa v32, v95, v32 dst_sel:DWORD dst_unused:UNUSED_PAD src0_sel:BYTE_1 src1_sel:DWORD
	v_and_b32_sdwa v95, v6, s31 dst_sel:DWORD dst_unused:UNUSED_PAD src0_sel:WORD_1 src1_sel:DWORD
	v_sub_i16 v95, v95, v86 clamp
	v_lshlrev_b16_sdwa v6, v52, v6 dst_sel:DWORD dst_unused:UNUSED_PAD src0_sel:DWORD src1_sel:WORD_1
	v_and_b32_e32 v95, 0xffffff00, v95
	v_sub_i16 v6, v6, v94 clamp
	v_or_b32_sdwa v6, v6, v95 dst_sel:WORD_1 dst_unused:UNUSED_PAD src0_sel:BYTE_1 src1_sel:DWORD
	v_dot4c_i32_i8_e32 v11, v5, v7
	v_or_b32_sdwa v6, v32, v6 dst_sel:DWORD dst_unused:UNUSED_PAD src0_sel:WORD_0 src1_sel:DWORD
	v_dot4c_i32_i8_e32 v11, v6, v0
	v_lshlrev_b32_e32 v0, 4, v49
	v_and_b32_e32 v95, 0x100, v0
	v_and_or_b32 v0, v33, s28, v95
	v_lshlrev_b32_e32 v0, 2, v0
	global_load_dword v0, v0, s[20:21]
	v_lshlrev_b32_e32 v5, 3, v49
	v_and_b32_e32 v96, 0x100, v5
	v_or_b32_sdwa v5, v96, v56 dst_sel:DWORD dst_unused:UNUSED_PAD src0_sel:DWORD src1_sel:BYTE_3
	v_lshlrev_b32_e32 v5, 2, v5
	global_load_dword v5, v5, s[20:21]
	v_bfe_u32 v33, v57, 19, 1
	v_lshlrev_b32_sdwa v6, v53, v57 dst_sel:DWORD dst_unused:UNUSED_PAD src0_sel:DWORD src1_sel:BYTE_2
	v_bfe_u32 v32, v99, 1, 7
	v_cmp_ne_u16_e32 vcc, 0, v33
	v_and_b32_e32 v7, 1, v99
	v_bfe_i32 v32, v32, 0, 1
	v_lshrrev_b16_e32 v6, 7, v6
	v_cndmask_b32_e64 v33, 0, -1, vcc
	v_sub_u16_e32 v7, 0, v7
	v_bfe_i32 v6, v6, 0, 1
	v_lshlrev_b16_e32 v32, 8, v32
	v_lshlrev_b16_e32 v33, 8, v33
	v_or_b32_sdwa v97, v7, v32 dst_sel:DWORD dst_unused:UNUSED_PAD src0_sel:BYTE_0 src1_sel:DWORD
	v_or_b32_sdwa v98, v6, v33 dst_sel:WORD_1 dst_unused:UNUSED_PAD src0_sel:BYTE_0 src1_sel:DWORD
	v_lshlrev_b16_e32 v7, 8, v7
	v_or_b32_sdwa v97, v97, v98 dst_sel:DWORD dst_unused:UNUSED_PAD src0_sel:WORD_0 src1_sel:DWORD
	v_lshlrev_b16_e32 v6, 8, v6
	v_lshlrev_b32_sdwa v98, v54, v57 dst_sel:DWORD dst_unused:UNUSED_PAD src0_sel:DWORD src1_sel:BYTE_2
	v_cmp_ne_u16_e32 vcc, 0, v103
	v_lshrrev_b16_e32 v98, 7, v98
	v_bfe_i32 v98, v98, 0, 1
	v_cndmask_b32_e64 v103, 0, -1, vcc
	v_lshlrev_b16_e32 v103, 8, v103
	v_or_b32_sdwa v105, v98, v103 dst_sel:WORD_1 dst_unused:UNUSED_PAD src0_sel:BYTE_0 src1_sel:DWORD
	s_waitcnt vmcnt(1)
	v_xor_b32_e32 v0, v0, v97
	v_and_b32_e32 v97, 0xffffff00, v0
	v_sub_i16 v32, v97, v32 clamp
	v_lshlrev_b16_e32 v97, 8, v0
	v_and_b32_e32 v32, 0xffffff00, v32
	v_sub_i16 v7, v97, v7 clamp
	v_or_b32_sdwa v7, v7, v32 dst_sel:DWORD dst_unused:UNUSED_PAD src0_sel:BYTE_1 src1_sel:DWORD
	v_and_b32_sdwa v32, v0, s31 dst_sel:DWORD dst_unused:UNUSED_PAD src0_sel:WORD_1 src1_sel:DWORD
	v_sub_i16 v32, v32, v33 clamp
	v_lshlrev_b16_sdwa v0, v52, v0 dst_sel:DWORD dst_unused:UNUSED_PAD src0_sel:DWORD src1_sel:WORD_1
	v_and_b32_e32 v32, 0xffffff00, v32
	v_sub_i16 v0, v0, v6 clamp
	v_or_b32_sdwa v0, v0, v32 dst_sel:WORD_1 dst_unused:UNUSED_PAD src0_sel:BYTE_1 src1_sel:DWORD
	v_or_b32_sdwa v104, v104, v105 dst_sel:DWORD dst_unused:UNUSED_PAD src0_sel:WORD_0 src1_sel:DWORD
	v_or_b32_sdwa v0, v7, v0 dst_sel:DWORD dst_unused:UNUSED_PAD src0_sel:WORD_0 src1_sel:DWORD
	v_dot4c_i32_i8_e32 v11, v0, v1
	v_lshlrev_b32_e32 v0, 2, v49
	v_and_b32_e32 v97, 0x100, v0
	v_and_or_b32 v0, v48, s28, v97
	v_lshlrev_b32_e32 v0, 2, v0
	global_load_dword v0, v0, s[20:21]
	s_waitcnt vmcnt(1)
	v_xor_b32_e32 v5, v5, v104
	v_lshlrev_b16_e32 v7, 8, v5
	v_lshlrev_b16_e32 v32, 8, v101
	v_lshlrev_b32_e32 v1, 1, v49
	v_sub_i16 v7, v7, v32 clamp
	v_lshlrev_b16_e32 v32, 8, v98
	v_and_b32_e32 v98, 0x100, v1
	v_or_b32_sdwa v1, v98, v55 dst_sel:DWORD dst_unused:UNUSED_PAD src0_sel:DWORD src1_sel:BYTE_3
	v_lshlrev_b32_e32 v1, 2, v1
	global_load_dword v1, v1, s[20:21]
	v_and_b32_e32 v6, 0xffffff00, v5
	v_sub_i16 v6, v6, v102 clamp
	v_and_b32_e32 v6, 0xffffff00, v6
	v_or_b32_sdwa v6, v7, v6 dst_sel:DWORD dst_unused:UNUSED_PAD src0_sel:BYTE_1 src1_sel:DWORD
	v_and_b32_sdwa v7, v5, s31 dst_sel:DWORD dst_unused:UNUSED_PAD src0_sel:WORD_1 src1_sel:DWORD
	v_sub_i16 v7, v7, v103 clamp
	v_lshlrev_b16_sdwa v5, v52, v5 dst_sel:DWORD dst_unused:UNUSED_PAD src0_sel:DWORD src1_sel:WORD_1
	v_and_b32_e32 v7, 0xffffff00, v7
	v_sub_i16 v5, v5, v32 clamp
	v_or_b32_sdwa v5, v5, v7 dst_sel:WORD_1 dst_unused:UNUSED_PAD src0_sel:BYTE_1 src1_sel:DWORD
	v_bfe_u32 v7, v57, 27, 1
	v_or_b32_sdwa v5, v6, v5 dst_sel:DWORD dst_unused:UNUSED_PAD src0_sel:WORD_0 src1_sel:DWORD
	v_dot4c_i32_i8_e32 v11, v5, v2
	v_lshlrev_b32_e32 v2, 5, v100
	v_lshrrev_b32_e32 v6, 25, v57
	v_cmp_ne_u16_e32 vcc, 0, v7
	v_lshlrev_b16_e32 v5, 7, v99
	v_bfe_i32 v6, v6, 0, 1
	v_lshrrev_b16_e32 v2, 7, v2
	v_cndmask_b32_e64 v7, 0, -1, vcc
	v_ashrrev_i16_e32 v5, 15, v5
	v_bfe_i32 v2, v2, 0, 1
	v_lshlrev_b16_e32 v6, 8, v6
	v_lshlrev_b16_e32 v7, 8, v7
	v_or_b32_sdwa v32, v5, v6 dst_sel:DWORD dst_unused:UNUSED_PAD src0_sel:BYTE_0 src1_sel:DWORD
	v_or_b32_sdwa v33, v2, v7 dst_sel:WORD_1 dst_unused:UNUSED_PAD src0_sel:BYTE_0 src1_sel:DWORD
	v_lshrrev_b32_e32 v99, 31, v57
	v_or_b32_sdwa v32, v32, v33 dst_sel:DWORD dst_unused:UNUSED_PAD src0_sel:WORD_0 src1_sel:DWORD
	v_lshlrev_b32_e32 v33, 1, v100
	v_lshrrev_b32_e32 v49, 29, v57
	v_cmp_ne_u16_e32 vcc, 0, v99
	v_bfe_i32 v49, v49, 0, 1
	v_lshrrev_b16_e32 v33, 7, v33
	v_cndmask_b32_e64 v99, 0, -1, vcc
	v_lshlrev_b16_e32 v5, 8, v5
	v_bfe_i32 v48, v100, 4, 1
	v_bfe_i32 v33, v33, 0, 1
	v_lshlrev_b16_e32 v49, 8, v49
	v_lshlrev_b16_e32 v99, 8, v99
	v_or_b32_sdwa v100, v48, v49 dst_sel:DWORD dst_unused:UNUSED_PAD src0_sel:BYTE_0 src1_sel:DWORD
	v_or_b32_sdwa v101, v33, v99 dst_sel:WORD_1 dst_unused:UNUSED_PAD src0_sel:BYTE_0 src1_sel:DWORD
	v_lshlrev_b16_e32 v2, 8, v2
	v_or_b32_sdwa v100, v100, v101 dst_sel:DWORD dst_unused:UNUSED_PAD src0_sel:WORD_0 src1_sel:DWORD
	s_waitcnt vmcnt(1)
	v_xor_b32_e32 v0, v0, v32
	v_and_b32_e32 v32, 0xffffff00, v0
	v_sub_i16 v6, v32, v6 clamp
	v_lshlrev_b16_e32 v32, 8, v0
	v_and_b32_e32 v6, 0xffffff00, v6
	v_sub_i16 v5, v32, v5 clamp
	v_or_b32_sdwa v5, v5, v6 dst_sel:DWORD dst_unused:UNUSED_PAD src0_sel:BYTE_1 src1_sel:DWORD
	v_and_b32_sdwa v6, v0, s31 dst_sel:DWORD dst_unused:UNUSED_PAD src0_sel:WORD_1 src1_sel:DWORD
	v_sub_i16 v6, v6, v7 clamp
	v_lshlrev_b16_sdwa v0, v52, v0 dst_sel:DWORD dst_unused:UNUSED_PAD src0_sel:DWORD src1_sel:WORD_1
	v_and_b32_e32 v6, 0xffffff00, v6
	v_sub_i16 v0, v0, v2 clamp
	s_waitcnt vmcnt(0)
	v_xor_b32_e32 v1, v1, v100
	v_or_b32_sdwa v0, v0, v6 dst_sel:WORD_1 dst_unused:UNUSED_PAD src0_sel:BYTE_1 src1_sel:DWORD
	v_and_b32_e32 v2, 0xffffff00, v1
	v_or_b32_sdwa v0, v5, v0 dst_sel:DWORD dst_unused:UNUSED_PAD src0_sel:WORD_0 src1_sel:DWORD
	v_sub_i16 v2, v2, v49 clamp
	v_lshlrev_b16_e32 v5, 8, v1
	v_lshlrev_b16_e32 v6, 8, v48
	v_and_b32_e32 v2, 0xffffff00, v2
	v_sub_i16 v5, v5, v6 clamp
	v_or_b32_sdwa v2, v5, v2 dst_sel:DWORD dst_unused:UNUSED_PAD src0_sel:BYTE_1 src1_sel:DWORD
	v_and_b32_sdwa v5, v1, s31 dst_sel:DWORD dst_unused:UNUSED_PAD src0_sel:WORD_1 src1_sel:DWORD
	v_sub_i16 v5, v5, v99 clamp
	v_lshlrev_b16_sdwa v1, v52, v1 dst_sel:DWORD dst_unused:UNUSED_PAD src0_sel:DWORD src1_sel:WORD_1
	v_lshlrev_b16_e32 v6, 8, v33
	v_and_b32_e32 v5, 0xffffff00, v5
	v_sub_i16 v1, v1, v6 clamp
	v_or_b32_sdwa v1, v1, v5 dst_sel:WORD_1 dst_unused:UNUSED_PAD src0_sel:BYTE_1 src1_sel:DWORD
	v_dot4c_i32_i8_e32 v11, v0, v3
	v_or_b32_sdwa v1, v2, v1 dst_sel:DWORD dst_unused:UNUSED_PAD src0_sel:WORD_0 src1_sel:DWORD
	v_dot4c_i32_i8_e32 v11, v1, v8
	v_lshl_add_u64 v[32:33], v[30:31], 0, v[16:17]
	global_load_ushort v0, v[30:31], off
	global_load_ubyte v1, v[28:29], off offset:106
	global_load_ubyte v2, v[32:33], off offset:106
	v_cvt_f32_f16_e32 v48, v10
	s_waitcnt vmcnt(2)
	v_cvt_f32_f16_e32 v49, v0
	s_waitcnt vmcnt(1)
	v_lshrrev_b32_e32 v1, v18, v1
	s_waitcnt vmcnt(0)
	v_lshrrev_b32_e32 v2, v13, v2
	v_lshlrev_b32_e32 v1, 1, v1
	v_lshlrev_b32_e32 v2, 1, v2
	v_and_or_b32 v99, v2, 30, 1
	v_and_or_b32 v100, v1, 30, 1
	v_mul_lo_u32 v1, v9, v100
	v_mul_lo_u32 v2, v11, v99
	v_cvt_f32_i32_e32 v7, v2
	v_cvt_f32_i32_e32 v6, v1
	scratch_load_dwordx4 v[0:3], off, off
	v_pk_mul_f32 v[4:5], v[4:5], v[48:49] op_sel_hi:[0,1]
	s_waitcnt vmcnt(0)
	v_pk_fma_f32 v[0:1], v[4:5], v[6:7], v[0:1]
	v_add_u32_e32 v4, s9, v51
	v_mad_u64_u32 v[4:5], s[34:35], v4, 36, s[24:25]
	v_mad_u64_u32 v[102:103], s[34:35], v14, 36, v[4:5]
	global_load_dword v101, v[102:103], off offset:32
	global_load_dwordx4 v[4:7], v[102:103], off offset:16
	global_load_dwordx4 v[8:11], v[102:103], off
	s_nop 0
	global_load_ushort v102, v[42:43], off offset:4
	global_load_ushort v103, v[42:43], off offset:6
	;; [unrolled: 1-line block ×4, first 2 shown]
	s_waitcnt vmcnt(4)
	v_dot4c_i32_i8_e32 v106, v63, v9
	s_waitcnt vmcnt(3)
	v_and_b32_sdwa v63, s29, v102 dst_sel:DWORD dst_unused:UNUSED_PAD src0_sel:DWORD src1_sel:BYTE_0
	v_or_b32_e32 v63, v65, v63
	v_lshlrev_b32_e32 v63, 2, v63
	global_load_dword v63, v63, s[20:21]
	v_dot4c_i32_i8_e32 v106, v64, v10
	v_or_b32_sdwa v64, v66, v102 dst_sel:DWORD dst_unused:UNUSED_PAD src0_sel:DWORD src1_sel:BYTE_1
	v_lshlrev_b32_e32 v64, 2, v64
	global_load_dword v64, v64, s[20:21]
	v_cvt_f32_f16_e32 v8, v8
	s_waitcnt vmcnt(1)
	v_xor_b32_e32 v63, v63, v71
	v_and_b32_e32 v65, 0xffffff00, v63
	v_sub_i16 v65, v65, v69 clamp
	v_lshlrev_b16_e32 v66, 8, v63
	v_and_b32_e32 v65, 0xffffff00, v65
	v_sub_i16 v66, v66, v73 clamp
	v_or_b32_sdwa v65, v66, v65 dst_sel:DWORD dst_unused:UNUSED_PAD src0_sel:BYTE_1 src1_sel:DWORD
	v_and_b32_sdwa v66, v63, s31 dst_sel:DWORD dst_unused:UNUSED_PAD src0_sel:WORD_1 src1_sel:DWORD
	v_sub_i16 v66, v66, v67 clamp
	v_lshlrev_b16_sdwa v63, v52, v63 dst_sel:DWORD dst_unused:UNUSED_PAD src0_sel:DWORD src1_sel:WORD_1
	v_and_b32_e32 v66, 0xffffff00, v66
	v_sub_i16 v63, v63, v74 clamp
	v_or_b32_sdwa v63, v63, v66 dst_sel:WORD_1 dst_unused:UNUSED_PAD src0_sel:BYTE_1 src1_sel:DWORD
	s_waitcnt vmcnt(0)
	v_xor_b32_e32 v64, v64, v72
	v_or_b32_sdwa v63, v65, v63 dst_sel:DWORD dst_unused:UNUSED_PAD src0_sel:WORD_0 src1_sel:DWORD
	v_and_b32_e32 v65, 0xffffff00, v64
	v_dot4c_i32_i8_e32 v106, v63, v11
	v_and_b32_sdwa v63, s29, v103 dst_sel:DWORD dst_unused:UNUSED_PAD src0_sel:DWORD src1_sel:BYTE_0
	v_sub_i16 v65, v65, v70 clamp
	v_lshlrev_b16_e32 v66, 8, v64
	v_or_b32_e32 v63, v77, v63
	v_and_b32_e32 v65, 0xffffff00, v65
	v_sub_i16 v66, v66, v75 clamp
	v_lshlrev_b32_e32 v63, 2, v63
	v_or_b32_sdwa v65, v66, v65 dst_sel:DWORD dst_unused:UNUSED_PAD src0_sel:BYTE_1 src1_sel:DWORD
	v_and_b32_sdwa v66, v64, s31 dst_sel:DWORD dst_unused:UNUSED_PAD src0_sel:WORD_1 src1_sel:DWORD
	global_load_dword v63, v63, s[20:21]
	v_sub_i16 v66, v66, v68 clamp
	v_lshlrev_b16_sdwa v64, v52, v64 dst_sel:DWORD dst_unused:UNUSED_PAD src0_sel:DWORD src1_sel:WORD_1
	v_and_b32_e32 v66, 0xffffff00, v66
	v_sub_i16 v64, v64, v76 clamp
	v_or_b32_sdwa v64, v64, v66 dst_sel:WORD_1 dst_unused:UNUSED_PAD src0_sel:BYTE_1 src1_sel:DWORD
	v_and_b32_e32 v67, 1, v105
	v_or_b32_sdwa v64, v65, v64 dst_sel:DWORD dst_unused:UNUSED_PAD src0_sel:WORD_0 src1_sel:DWORD
	v_dot4c_i32_i8_e32 v106, v64, v4
	v_or_b32_sdwa v64, v78, v103 dst_sel:DWORD dst_unused:UNUSED_PAD src0_sel:DWORD src1_sel:BYTE_1
	v_lshlrev_b32_e32 v64, 2, v64
	global_load_dword v64, v64, s[20:21]
	v_and_b32_sdwa v65, s29, v105 dst_sel:DWORD dst_unused:UNUSED_PAD src0_sel:DWORD src1_sel:BYTE_0
	v_bfe_u32 v69, v65, 3, 1
	v_lshlrev_b32_e32 v66, 5, v65
	v_lshrrev_b32_e32 v68, 1, v65
	v_cmp_ne_u16_e32 vcc, 0, v69
	v_bfe_i32 v68, v68, 0, 1
	v_lshrrev_b16_e32 v66, 7, v66
	v_cndmask_b32_e64 v69, 0, -1, vcc
	v_sub_u16_e32 v67, 0, v67
	v_bfe_i32 v66, v66, 0, 1
	v_lshlrev_b16_e32 v68, 8, v68
	v_lshlrev_b16_e32 v69, 8, v69
	v_or_b32_sdwa v70, v67, v68 dst_sel:DWORD dst_unused:UNUSED_PAD src0_sel:BYTE_0 src1_sel:DWORD
	v_or_b32_sdwa v71, v66, v69 dst_sel:WORD_1 dst_unused:UNUSED_PAD src0_sel:BYTE_0 src1_sel:DWORD
	v_bfe_i32 v72, v65, 4, 1
	v_or_b32_sdwa v70, v70, v71 dst_sel:DWORD dst_unused:UNUSED_PAD src0_sel:WORD_0 src1_sel:DWORD
	v_lshlrev_b32_e32 v71, 1, v65
	v_lshrrev_b32_e32 v73, 5, v65
	v_lshrrev_b32_e32 v65, 7, v65
	v_cmp_ne_u16_e32 vcc, 0, v65
	v_lshlrev_b16_e32 v67, 8, v67
	v_bfe_i32 v73, v73, 0, 1
	v_lshrrev_b16_e32 v71, 7, v71
	v_cndmask_b32_e64 v65, 0, -1, vcc
	v_bfe_i32 v71, v71, 0, 1
	v_lshlrev_b16_e32 v73, 8, v73
	v_lshlrev_b16_e32 v65, 8, v65
	v_or_b32_sdwa v74, v72, v73 dst_sel:DWORD dst_unused:UNUSED_PAD src0_sel:BYTE_0 src1_sel:DWORD
	v_or_b32_sdwa v75, v71, v65 dst_sel:WORD_1 dst_unused:UNUSED_PAD src0_sel:BYTE_0 src1_sel:DWORD
	v_lshlrev_b16_e32 v66, 8, v66
	v_or_b32_sdwa v74, v74, v75 dst_sel:DWORD dst_unused:UNUSED_PAD src0_sel:WORD_0 src1_sel:DWORD
	s_waitcnt vmcnt(1)
	v_xor_b32_e32 v63, v63, v70
	v_and_b32_e32 v70, 0xffffff00, v63
	v_sub_i16 v68, v70, v68 clamp
	v_lshlrev_b16_e32 v70, 8, v63
	v_and_b32_e32 v68, 0xffffff00, v68
	v_sub_i16 v67, v70, v67 clamp
	v_or_b32_sdwa v67, v67, v68 dst_sel:DWORD dst_unused:UNUSED_PAD src0_sel:BYTE_1 src1_sel:DWORD
	v_and_b32_sdwa v68, v63, s31 dst_sel:DWORD dst_unused:UNUSED_PAD src0_sel:WORD_1 src1_sel:DWORD
	v_sub_i16 v68, v68, v69 clamp
	v_lshlrev_b16_sdwa v63, v52, v63 dst_sel:DWORD dst_unused:UNUSED_PAD src0_sel:DWORD src1_sel:WORD_1
	v_and_b32_e32 v68, 0xffffff00, v68
	v_sub_i16 v63, v63, v66 clamp
	v_or_b32_sdwa v63, v63, v68 dst_sel:WORD_1 dst_unused:UNUSED_PAD src0_sel:BYTE_1 src1_sel:DWORD
	s_waitcnt vmcnt(0)
	v_xor_b32_e32 v64, v64, v74
	v_or_b32_sdwa v63, v67, v63 dst_sel:DWORD dst_unused:UNUSED_PAD src0_sel:WORD_0 src1_sel:DWORD
	v_and_b32_e32 v66, 0xffffff00, v64
	v_sub_i16 v66, v66, v73 clamp
	v_lshlrev_b16_e32 v67, 8, v64
	v_lshlrev_b16_e32 v68, 8, v72
	v_dot4c_i32_i8_e32 v106, v63, v5
	v_and_b32_sdwa v63, s29, v104 dst_sel:DWORD dst_unused:UNUSED_PAD src0_sel:DWORD src1_sel:BYTE_0
	v_and_b32_e32 v66, 0xffffff00, v66
	v_sub_i16 v67, v67, v68 clamp
	v_or_b32_e32 v63, v79, v63
	v_or_b32_sdwa v66, v67, v66 dst_sel:DWORD dst_unused:UNUSED_PAD src0_sel:BYTE_1 src1_sel:DWORD
	v_and_b32_sdwa v67, v64, s31 dst_sel:DWORD dst_unused:UNUSED_PAD src0_sel:WORD_1 src1_sel:DWORD
	v_lshlrev_b32_e32 v63, 2, v63
	v_sub_i16 v65, v67, v65 clamp
	v_lshlrev_b16_sdwa v64, v52, v64 dst_sel:DWORD dst_unused:UNUSED_PAD src0_sel:DWORD src1_sel:WORD_1
	v_lshlrev_b16_e32 v67, 8, v71
	global_load_dword v63, v63, s[20:21]
	v_and_b32_e32 v65, 0xffffff00, v65
	v_sub_i16 v64, v64, v67 clamp
	v_or_b32_sdwa v64, v64, v65 dst_sel:WORD_1 dst_unused:UNUSED_PAD src0_sel:BYTE_1 src1_sel:DWORD
	v_lshrrev_b16_e32 v65, 8, v105
	v_or_b32_sdwa v64, v66, v64 dst_sel:DWORD dst_unused:UNUSED_PAD src0_sel:WORD_0 src1_sel:DWORD
	v_dot4c_i32_i8_e32 v106, v64, v6
	v_or_b32_sdwa v64, v80, v104 dst_sel:DWORD dst_unused:UNUSED_PAD src0_sel:DWORD src1_sel:BYTE_1
	v_lshlrev_b32_e32 v64, 2, v64
	global_load_dword v64, v64, s[20:21]
	v_bfe_u32 v69, v65, 3, 1
	v_lshlrev_b32_e32 v66, 5, v65
	v_lshrrev_b32_e32 v68, 1, v65
	v_cmp_ne_u16_e32 vcc, 0, v69
	v_lshlrev_b16_e32 v67, 7, v105
	v_bfe_i32 v68, v68, 0, 1
	v_lshrrev_b16_e32 v66, 7, v66
	v_cndmask_b32_e64 v69, 0, -1, vcc
	v_ashrrev_i16_e32 v67, 15, v67
	v_bfe_i32 v66, v66, 0, 1
	v_lshlrev_b16_e32 v68, 8, v68
	v_lshlrev_b16_e32 v69, 8, v69
	v_or_b32_sdwa v70, v67, v68 dst_sel:DWORD dst_unused:UNUSED_PAD src0_sel:BYTE_0 src1_sel:DWORD
	v_or_b32_sdwa v71, v66, v69 dst_sel:WORD_1 dst_unused:UNUSED_PAD src0_sel:BYTE_0 src1_sel:DWORD
	v_bfe_i32 v72, v65, 4, 1
	v_or_b32_sdwa v70, v70, v71 dst_sel:DWORD dst_unused:UNUSED_PAD src0_sel:WORD_0 src1_sel:DWORD
	v_lshlrev_b32_e32 v71, 1, v65
	v_lshrrev_b32_e32 v73, 5, v65
	v_lshrrev_b32_e32 v65, 7, v65
	v_cmp_ne_u16_e32 vcc, 0, v65
	v_bfe_i32 v73, v73, 0, 1
	v_lshrrev_b16_e32 v71, 7, v71
	v_cndmask_b32_e64 v65, 0, -1, vcc
	v_lshlrev_b16_e32 v67, 8, v67
	v_bfe_i32 v71, v71, 0, 1
	v_lshlrev_b16_e32 v73, 8, v73
	v_lshlrev_b16_e32 v65, 8, v65
	v_or_b32_sdwa v74, v72, v73 dst_sel:DWORD dst_unused:UNUSED_PAD src0_sel:BYTE_0 src1_sel:DWORD
	v_or_b32_sdwa v75, v71, v65 dst_sel:WORD_1 dst_unused:UNUSED_PAD src0_sel:BYTE_0 src1_sel:DWORD
	v_lshlrev_b16_e32 v66, 8, v66
	v_or_b32_sdwa v74, v74, v75 dst_sel:DWORD dst_unused:UNUSED_PAD src0_sel:WORD_0 src1_sel:DWORD
	s_waitcnt vmcnt(1)
	v_xor_b32_e32 v63, v63, v70
	v_and_b32_e32 v70, 0xffffff00, v63
	v_sub_i16 v68, v70, v68 clamp
	v_lshlrev_b16_e32 v70, 8, v63
	v_and_b32_e32 v68, 0xffffff00, v68
	v_sub_i16 v67, v70, v67 clamp
	v_or_b32_sdwa v67, v67, v68 dst_sel:DWORD dst_unused:UNUSED_PAD src0_sel:BYTE_1 src1_sel:DWORD
	v_and_b32_sdwa v68, v63, s31 dst_sel:DWORD dst_unused:UNUSED_PAD src0_sel:WORD_1 src1_sel:DWORD
	v_sub_i16 v68, v68, v69 clamp
	v_lshlrev_b16_sdwa v63, v52, v63 dst_sel:DWORD dst_unused:UNUSED_PAD src0_sel:DWORD src1_sel:WORD_1
	v_and_b32_e32 v68, 0xffffff00, v68
	v_sub_i16 v63, v63, v66 clamp
	s_waitcnt vmcnt(0)
	v_xor_b32_e32 v64, v64, v74
	v_or_b32_sdwa v63, v63, v68 dst_sel:WORD_1 dst_unused:UNUSED_PAD src0_sel:BYTE_1 src1_sel:DWORD
	v_and_b32_e32 v66, 0xffffff00, v64
	v_or_b32_sdwa v63, v67, v63 dst_sel:DWORD dst_unused:UNUSED_PAD src0_sel:WORD_0 src1_sel:DWORD
	v_sub_i16 v66, v66, v73 clamp
	v_lshlrev_b16_e32 v67, 8, v64
	v_lshlrev_b16_e32 v68, 8, v72
	v_and_b32_e32 v66, 0xffffff00, v66
	v_sub_i16 v67, v67, v68 clamp
	v_or_b32_sdwa v66, v67, v66 dst_sel:DWORD dst_unused:UNUSED_PAD src0_sel:BYTE_1 src1_sel:DWORD
	v_and_b32_sdwa v67, v64, s31 dst_sel:DWORD dst_unused:UNUSED_PAD src0_sel:WORD_1 src1_sel:DWORD
	v_sub_i16 v65, v67, v65 clamp
	v_lshlrev_b16_sdwa v64, v52, v64 dst_sel:DWORD dst_unused:UNUSED_PAD src0_sel:DWORD src1_sel:WORD_1
	v_lshlrev_b16_e32 v67, 8, v71
	v_and_b32_e32 v65, 0xffffff00, v65
	v_sub_i16 v64, v64, v67 clamp
	v_or_b32_sdwa v64, v64, v65 dst_sel:WORD_1 dst_unused:UNUSED_PAD src0_sel:BYTE_1 src1_sel:DWORD
	v_dot4c_i32_i8_e32 v106, v63, v7
	v_or_b32_sdwa v64, v66, v64 dst_sel:DWORD dst_unused:UNUSED_PAD src0_sel:WORD_0 src1_sel:DWORD
	v_dot4c_i32_i8_e32 v106, v64, v101
	global_load_ushort v63, v[36:37], off offset:4
	global_load_ushort v64, v[36:37], off offset:6
	global_load_ushort v65, v[36:37], off offset:8
	global_load_ushort v66, v[40:41], off offset:76
	v_mov_b32_e32 v67, 0
	v_dot4c_i32_i8_e32 v67, v81, v9
	v_dot4c_i32_i8_e32 v67, v82, v10
	s_waitcnt vmcnt(3)
	v_and_b32_sdwa v9, s29, v63 dst_sel:DWORD dst_unused:UNUSED_PAD src0_sel:DWORD src1_sel:BYTE_0
	v_or_b32_e32 v9, v83, v9
	v_lshlrev_b32_e32 v9, 2, v9
	global_load_dword v9, v9, s[20:21]
	v_or_b32_sdwa v10, v84, v63 dst_sel:DWORD dst_unused:UNUSED_PAD src0_sel:DWORD src1_sel:BYTE_1
	v_lshlrev_b32_e32 v10, 2, v10
	global_load_dword v10, v10, s[20:21]
	s_waitcnt vmcnt(1)
	v_xor_b32_e32 v9, v9, v89
	v_and_b32_e32 v63, 0xffffff00, v9
	v_sub_i16 v63, v63, v87 clamp
	v_lshlrev_b16_e32 v68, 8, v9
	v_and_b32_e32 v63, 0xffffff00, v63
	v_sub_i16 v68, v68, v91 clamp
	v_or_b32_sdwa v63, v68, v63 dst_sel:DWORD dst_unused:UNUSED_PAD src0_sel:BYTE_1 src1_sel:DWORD
	v_and_b32_sdwa v68, v9, s31 dst_sel:DWORD dst_unused:UNUSED_PAD src0_sel:WORD_1 src1_sel:DWORD
	v_sub_i16 v68, v68, v85 clamp
	v_lshlrev_b16_sdwa v9, v52, v9 dst_sel:DWORD dst_unused:UNUSED_PAD src0_sel:DWORD src1_sel:WORD_1
	v_and_b32_e32 v68, 0xffffff00, v68
	v_sub_i16 v9, v9, v92 clamp
	v_or_b32_sdwa v9, v9, v68 dst_sel:WORD_1 dst_unused:UNUSED_PAD src0_sel:BYTE_1 src1_sel:DWORD
	s_waitcnt vmcnt(0)
	v_xor_b32_e32 v10, v10, v90
	v_or_b32_sdwa v9, v63, v9 dst_sel:DWORD dst_unused:UNUSED_PAD src0_sel:WORD_0 src1_sel:DWORD
	v_and_b32_e32 v63, 0xffffff00, v10
	v_sub_i16 v63, v63, v88 clamp
	v_lshlrev_b16_e32 v68, 8, v10
	v_and_b32_e32 v63, 0xffffff00, v63
	v_sub_i16 v68, v68, v93 clamp
	v_or_b32_sdwa v63, v68, v63 dst_sel:DWORD dst_unused:UNUSED_PAD src0_sel:BYTE_1 src1_sel:DWORD
	v_and_b32_sdwa v68, v10, s31 dst_sel:DWORD dst_unused:UNUSED_PAD src0_sel:WORD_1 src1_sel:DWORD
	v_sub_i16 v68, v68, v86 clamp
	v_lshlrev_b16_sdwa v10, v52, v10 dst_sel:DWORD dst_unused:UNUSED_PAD src0_sel:DWORD src1_sel:WORD_1
	v_and_b32_e32 v68, 0xffffff00, v68
	v_sub_i16 v10, v10, v94 clamp
	v_or_b32_sdwa v10, v10, v68 dst_sel:WORD_1 dst_unused:UNUSED_PAD src0_sel:BYTE_1 src1_sel:DWORD
	v_dot4c_i32_i8_e32 v67, v9, v11
	v_or_b32_sdwa v10, v63, v10 dst_sel:DWORD dst_unused:UNUSED_PAD src0_sel:WORD_0 src1_sel:DWORD
	v_dot4c_i32_i8_e32 v67, v10, v4
	v_and_b32_sdwa v4, s29, v64 dst_sel:DWORD dst_unused:UNUSED_PAD src0_sel:DWORD src1_sel:BYTE_0
	v_or_b32_e32 v4, v95, v4
	v_lshlrev_b32_e32 v4, 2, v4
	global_load_dword v4, v4, s[20:21]
	v_and_b32_sdwa v10, s29, v66 dst_sel:DWORD dst_unused:UNUSED_PAD src0_sel:DWORD src1_sel:BYTE_0
	v_or_b32_sdwa v9, v96, v64 dst_sel:DWORD dst_unused:UNUSED_PAD src0_sel:DWORD src1_sel:BYTE_1
	v_bfe_u32 v68, v10, 3, 1
	v_lshlrev_b32_e32 v9, 2, v9
	global_load_dword v9, v9, s[20:21]
	v_lshlrev_b32_e32 v11, 5, v10
	v_lshrrev_b32_e32 v64, 1, v10
	v_cmp_ne_u16_e32 vcc, 0, v68
	v_and_b32_e32 v63, 1, v66
	v_bfe_i32 v64, v64, 0, 1
	v_lshrrev_b16_e32 v11, 7, v11
	v_cndmask_b32_e64 v68, 0, -1, vcc
	v_sub_u16_e32 v63, 0, v63
	v_bfe_i32 v11, v11, 0, 1
	v_lshlrev_b16_e32 v64, 8, v64
	v_lshlrev_b16_e32 v68, 8, v68
	v_or_b32_sdwa v69, v63, v64 dst_sel:DWORD dst_unused:UNUSED_PAD src0_sel:BYTE_0 src1_sel:DWORD
	v_or_b32_sdwa v70, v11, v68 dst_sel:WORD_1 dst_unused:UNUSED_PAD src0_sel:BYTE_0 src1_sel:DWORD
	v_lshlrev_b16_e32 v63, 8, v63
	v_or_b32_sdwa v69, v69, v70 dst_sel:DWORD dst_unused:UNUSED_PAD src0_sel:WORD_0 src1_sel:DWORD
	v_lshlrev_b16_e32 v11, 8, v11
	v_lshlrev_b32_e32 v70, 1, v10
	v_bfe_i32 v71, v10, 4, 1
	v_lshrrev_b32_e32 v72, 5, v10
	v_lshrrev_b32_e32 v10, 7, v10
	v_cmp_ne_u16_e32 vcc, 0, v10
	v_bfe_i32 v72, v72, 0, 1
	v_lshrrev_b16_e32 v70, 7, v70
	v_cndmask_b32_e64 v10, 0, -1, vcc
	v_bfe_i32 v70, v70, 0, 1
	v_lshlrev_b16_e32 v72, 8, v72
	v_lshlrev_b16_e32 v10, 8, v10
	v_or_b32_sdwa v73, v71, v72 dst_sel:DWORD dst_unused:UNUSED_PAD src0_sel:BYTE_0 src1_sel:DWORD
	v_or_b32_sdwa v74, v70, v10 dst_sel:WORD_1 dst_unused:UNUSED_PAD src0_sel:BYTE_0 src1_sel:DWORD
	s_waitcnt vmcnt(1)
	v_xor_b32_e32 v4, v4, v69
	v_and_b32_e32 v69, 0xffffff00, v4
	v_sub_i16 v64, v69, v64 clamp
	v_lshlrev_b16_e32 v69, 8, v4
	v_and_b32_e32 v64, 0xffffff00, v64
	v_sub_i16 v63, v69, v63 clamp
	v_or_b32_sdwa v63, v63, v64 dst_sel:DWORD dst_unused:UNUSED_PAD src0_sel:BYTE_1 src1_sel:DWORD
	v_and_b32_sdwa v64, v4, s31 dst_sel:DWORD dst_unused:UNUSED_PAD src0_sel:WORD_1 src1_sel:DWORD
	v_sub_i16 v64, v64, v68 clamp
	v_lshlrev_b16_sdwa v4, v52, v4 dst_sel:DWORD dst_unused:UNUSED_PAD src0_sel:DWORD src1_sel:WORD_1
	v_and_b32_e32 v64, 0xffffff00, v64
	v_sub_i16 v4, v4, v11 clamp
	v_or_b32_sdwa v4, v4, v64 dst_sel:WORD_1 dst_unused:UNUSED_PAD src0_sel:BYTE_1 src1_sel:DWORD
	v_or_b32_sdwa v73, v73, v74 dst_sel:DWORD dst_unused:UNUSED_PAD src0_sel:WORD_0 src1_sel:DWORD
	v_or_b32_sdwa v4, v63, v4 dst_sel:DWORD dst_unused:UNUSED_PAD src0_sel:WORD_0 src1_sel:DWORD
	v_dot4c_i32_i8_e32 v67, v4, v5
	v_and_b32_sdwa v4, s29, v65 dst_sel:DWORD dst_unused:UNUSED_PAD src0_sel:DWORD src1_sel:BYTE_0
	v_or_b32_e32 v4, v97, v4
	v_lshlrev_b32_e32 v4, 2, v4
	global_load_dword v4, v4, s[20:21]
	v_or_b32_sdwa v5, v98, v65 dst_sel:DWORD dst_unused:UNUSED_PAD src0_sel:DWORD src1_sel:BYTE_1
	v_lshlrev_b32_e32 v5, 2, v5
	global_load_dword v5, v5, s[20:21]
	s_waitcnt vmcnt(2)
	v_xor_b32_e32 v9, v9, v73
	v_and_b32_e32 v11, 0xffffff00, v9
	v_sub_i16 v11, v11, v72 clamp
	v_lshlrev_b16_e32 v63, 8, v9
	v_lshlrev_b16_e32 v64, 8, v71
	v_and_b32_e32 v11, 0xffffff00, v11
	v_sub_i16 v63, v63, v64 clamp
	v_or_b32_sdwa v11, v63, v11 dst_sel:DWORD dst_unused:UNUSED_PAD src0_sel:BYTE_1 src1_sel:DWORD
	v_and_b32_sdwa v63, v9, s31 dst_sel:DWORD dst_unused:UNUSED_PAD src0_sel:WORD_1 src1_sel:DWORD
	v_sub_i16 v10, v63, v10 clamp
	v_lshlrev_b16_sdwa v9, v52, v9 dst_sel:DWORD dst_unused:UNUSED_PAD src0_sel:DWORD src1_sel:WORD_1
	v_lshlrev_b16_e32 v63, 8, v70
	v_and_b32_e32 v10, 0xffffff00, v10
	v_sub_i16 v9, v9, v63 clamp
	v_or_b32_sdwa v9, v9, v10 dst_sel:WORD_1 dst_unused:UNUSED_PAD src0_sel:BYTE_1 src1_sel:DWORD
	v_lshlrev_b16_e32 v10, 7, v66
	v_or_b32_sdwa v9, v11, v9 dst_sel:DWORD dst_unused:UNUSED_PAD src0_sel:WORD_0 src1_sel:DWORD
	v_dot4c_i32_i8_e32 v67, v9, v6
	v_lshrrev_b16_e32 v6, 8, v66
	v_bfe_u32 v63, v6, 3, 1
	v_lshlrev_b32_e32 v9, 5, v6
	v_lshrrev_b32_e32 v11, 1, v6
	v_cmp_ne_u16_e32 vcc, 0, v63
	v_bfe_i32 v11, v11, 0, 1
	v_lshrrev_b16_e32 v9, 7, v9
	v_cndmask_b32_e64 v63, 0, -1, vcc
	v_ashrrev_i16_e32 v10, 15, v10
	v_bfe_i32 v9, v9, 0, 1
	v_lshlrev_b16_e32 v11, 8, v11
	v_lshlrev_b16_e32 v63, 8, v63
	v_or_b32_sdwa v64, v10, v11 dst_sel:DWORD dst_unused:UNUSED_PAD src0_sel:BYTE_0 src1_sel:DWORD
	v_or_b32_sdwa v65, v9, v63 dst_sel:WORD_1 dst_unused:UNUSED_PAD src0_sel:BYTE_0 src1_sel:DWORD
	v_bfe_i32 v66, v6, 4, 1
	v_or_b32_sdwa v64, v64, v65 dst_sel:DWORD dst_unused:UNUSED_PAD src0_sel:WORD_0 src1_sel:DWORD
	v_lshlrev_b32_e32 v65, 1, v6
	v_lshrrev_b32_e32 v68, 5, v6
	v_lshrrev_b32_e32 v6, 7, v6
	v_cmp_ne_u16_e32 vcc, 0, v6
	v_bfe_i32 v68, v68, 0, 1
	v_lshrrev_b16_e32 v65, 7, v65
	v_cndmask_b32_e64 v6, 0, -1, vcc
	v_lshlrev_b16_e32 v10, 8, v10
	v_bfe_i32 v65, v65, 0, 1
	v_lshlrev_b16_e32 v68, 8, v68
	v_lshlrev_b16_e32 v6, 8, v6
	v_or_b32_sdwa v69, v66, v68 dst_sel:DWORD dst_unused:UNUSED_PAD src0_sel:BYTE_0 src1_sel:DWORD
	v_or_b32_sdwa v70, v65, v6 dst_sel:WORD_1 dst_unused:UNUSED_PAD src0_sel:BYTE_0 src1_sel:DWORD
	v_lshlrev_b16_e32 v9, 8, v9
	v_or_b32_sdwa v69, v69, v70 dst_sel:DWORD dst_unused:UNUSED_PAD src0_sel:WORD_0 src1_sel:DWORD
	s_waitcnt vmcnt(1)
	v_xor_b32_e32 v4, v4, v64
	v_and_b32_e32 v64, 0xffffff00, v4
	v_sub_i16 v11, v64, v11 clamp
	v_lshlrev_b16_e32 v64, 8, v4
	v_and_b32_e32 v11, 0xffffff00, v11
	v_sub_i16 v10, v64, v10 clamp
	v_or_b32_sdwa v10, v10, v11 dst_sel:DWORD dst_unused:UNUSED_PAD src0_sel:BYTE_1 src1_sel:DWORD
	v_and_b32_sdwa v11, v4, s31 dst_sel:DWORD dst_unused:UNUSED_PAD src0_sel:WORD_1 src1_sel:DWORD
	v_sub_i16 v11, v11, v63 clamp
	v_lshlrev_b16_sdwa v4, v52, v4 dst_sel:DWORD dst_unused:UNUSED_PAD src0_sel:DWORD src1_sel:WORD_1
	v_and_b32_e32 v11, 0xffffff00, v11
	v_sub_i16 v4, v4, v9 clamp
	s_waitcnt vmcnt(0)
	v_xor_b32_e32 v5, v5, v69
	v_or_b32_sdwa v4, v4, v11 dst_sel:WORD_1 dst_unused:UNUSED_PAD src0_sel:BYTE_1 src1_sel:DWORD
	v_and_b32_e32 v9, 0xffffff00, v5
	v_or_b32_sdwa v4, v10, v4 dst_sel:DWORD dst_unused:UNUSED_PAD src0_sel:WORD_0 src1_sel:DWORD
	v_sub_i16 v9, v9, v68 clamp
	v_lshlrev_b16_e32 v10, 8, v5
	v_lshlrev_b16_e32 v11, 8, v66
	v_and_b32_e32 v9, 0xffffff00, v9
	v_sub_i16 v10, v10, v11 clamp
	v_or_b32_sdwa v9, v10, v9 dst_sel:DWORD dst_unused:UNUSED_PAD src0_sel:BYTE_1 src1_sel:DWORD
	v_and_b32_sdwa v10, v5, s31 dst_sel:DWORD dst_unused:UNUSED_PAD src0_sel:WORD_1 src1_sel:DWORD
	v_sub_i16 v6, v10, v6 clamp
	v_lshlrev_b16_sdwa v5, v52, v5 dst_sel:DWORD dst_unused:UNUSED_PAD src0_sel:DWORD src1_sel:WORD_1
	v_lshlrev_b16_e32 v10, 8, v65
	v_and_b32_e32 v6, 0xffffff00, v6
	v_sub_i16 v5, v5, v10 clamp
	v_or_b32_sdwa v5, v5, v6 dst_sel:WORD_1 dst_unused:UNUSED_PAD src0_sel:BYTE_1 src1_sel:DWORD
	v_dot4c_i32_i8_e32 v67, v4, v7
	v_or_b32_sdwa v5, v9, v5 dst_sel:DWORD dst_unused:UNUSED_PAD src0_sel:WORD_0 src1_sel:DWORD
	v_dot4c_i32_i8_e32 v67, v5, v101
	v_mul_lo_u32 v6, v106, v100
	v_cvt_f32_i32_e32 v6, v6
	v_pk_mul_f32 v[4:5], v[8:9], v[48:49] op_sel_hi:[0,1]
	v_mul_lo_u32 v7, v67, v99
	v_cvt_f32_i32_e32 v7, v7
	v_pk_fma_f32 v[2:3], v[4:5], v[6:7], v[2:3]
	scratch_store_dwordx4 off, v[0:3], off
	s_nop 1
	v_add_u32_e32 v0, s22, v51
	v_mad_u64_u32 v[0:1], s[34:35], v0, 36, s[24:25]
	v_mad_u64_u32 v[10:11], s[34:35], v14, 36, v[0:1]
	global_load_dword v8, v[10:11], off offset:32
	global_load_dwordx4 v[0:3], v[10:11], off offset:16
	global_load_dwordx4 v[4:7], v[10:11], off
	global_load_ushort v9, v[42:43], off offset:2
	global_load_ushort v48, v[42:43], off offset:4
	;; [unrolled: 1-line block ×4, first 2 shown]
	global_load_ubyte v66, v[44:45], off offset:66
	global_load_ushort v49, v[46:47], off offset:74
	global_load_ushort v67, v[46:47], off offset:76
	s_waitcnt vmcnt(6)
	v_and_b32_sdwa v10, s29, v9 dst_sel:DWORD dst_unused:UNUSED_PAD src0_sel:DWORD src1_sel:BYTE_0
	v_lshrrev_b16_e32 v9, 8, v9
	s_waitcnt vmcnt(2)
	v_lshlrev_b32_e32 v11, 8, v66
	v_and_or_b32 v10, v11, s30, v10
	v_lshlrev_b32_e32 v10, 2, v10
	global_load_dword v10, v10, s[20:21]
	v_lshlrev_b32_e32 v11, 7, v66
	v_and_or_b32 v9, v11, s30, v9
	v_lshlrev_b32_e32 v9, 2, v9
	global_load_dword v11, v9, s[20:21]
	s_waitcnt vmcnt(3)
	v_and_b32_sdwa v9, s29, v49 dst_sel:DWORD dst_unused:UNUSED_PAD src0_sel:DWORD src1_sel:BYTE_0
	v_bfe_u32 v70, v9, 3, 1
	v_lshlrev_b32_e32 v64, 5, v9
	v_lshrrev_b32_e32 v69, 1, v9
	v_cmp_ne_u16_e32 vcc, 0, v70
	v_and_b32_e32 v68, 1, v49
	v_bfe_i32 v69, v69, 0, 1
	v_lshrrev_b16_e32 v64, 7, v64
	v_cndmask_b32_e64 v70, 0, -1, vcc
	v_sub_u16_e32 v68, 0, v68
	v_bfe_i32 v64, v64, 0, 1
	v_lshlrev_b16_e32 v69, 8, v69
	v_lshlrev_b16_e32 v70, 8, v70
	v_or_b32_sdwa v71, v68, v69 dst_sel:DWORD dst_unused:UNUSED_PAD src0_sel:BYTE_0 src1_sel:DWORD
	v_or_b32_sdwa v72, v64, v70 dst_sel:WORD_1 dst_unused:UNUSED_PAD src0_sel:BYTE_0 src1_sel:DWORD
	v_bfe_i32 v73, v9, 4, 1
	v_or_b32_sdwa v71, v71, v72 dst_sel:DWORD dst_unused:UNUSED_PAD src0_sel:WORD_0 src1_sel:DWORD
	v_lshlrev_b32_e32 v72, 1, v9
	v_lshrrev_b32_e32 v74, 5, v9
	v_lshrrev_b32_e32 v9, 7, v9
	v_cmp_ne_u16_e32 vcc, 0, v9
	v_bfe_i32 v74, v74, 0, 1
	v_lshrrev_b16_e32 v72, 7, v72
	v_cndmask_b32_e64 v9, 0, -1, vcc
	v_bfe_i32 v72, v72, 0, 1
	v_lshlrev_b16_e32 v74, 8, v74
	v_lshlrev_b16_e32 v76, 8, v9
	v_or_b32_sdwa v75, v73, v74 dst_sel:DWORD dst_unused:UNUSED_PAD src0_sel:BYTE_0 src1_sel:DWORD
	v_or_b32_sdwa v9, v72, v76 dst_sel:WORD_1 dst_unused:UNUSED_PAD src0_sel:BYTE_0 src1_sel:DWORD
	v_lshlrev_b16_e32 v68, 8, v68
	v_or_b32_sdwa v75, v75, v9 dst_sel:DWORD dst_unused:UNUSED_PAD src0_sel:WORD_0 src1_sel:DWORD
	v_lshlrev_b16_e32 v64, 8, v64
	v_cvt_f32_f16_e32 v4, v4
	s_waitcnt vmcnt(1)
	v_xor_b32_e32 v9, v10, v71
	v_and_b32_e32 v10, 0xffffff00, v9
	v_sub_i16 v10, v10, v69 clamp
	v_lshlrev_b16_e32 v69, 8, v9
	v_and_b32_e32 v10, 0xffffff00, v10
	v_sub_i16 v68, v69, v68 clamp
	v_or_b32_sdwa v10, v68, v10 dst_sel:DWORD dst_unused:UNUSED_PAD src0_sel:BYTE_1 src1_sel:DWORD
	v_and_b32_sdwa v68, v9, s31 dst_sel:DWORD dst_unused:UNUSED_PAD src0_sel:WORD_1 src1_sel:DWORD
	v_sub_i16 v68, v68, v70 clamp
	v_lshlrev_b16_sdwa v9, v52, v9 dst_sel:DWORD dst_unused:UNUSED_PAD src0_sel:DWORD src1_sel:WORD_1
	v_and_b32_e32 v68, 0xffffff00, v68
	v_sub_i16 v9, v9, v64 clamp
	v_or_b32_sdwa v9, v9, v68 dst_sel:WORD_1 dst_unused:UNUSED_PAD src0_sel:BYTE_1 src1_sel:DWORD
	v_lshlrev_b16_e32 v68, 8, v73
	v_or_b32_sdwa v9, v10, v9 dst_sel:DWORD dst_unused:UNUSED_PAD src0_sel:WORD_0 src1_sel:DWORD
	s_waitcnt vmcnt(0)
	v_xor_b32_e32 v10, v11, v75
	v_and_b32_e32 v11, 0xffffff00, v10
	v_sub_i16 v11, v11, v74 clamp
	v_lshlrev_b16_e32 v64, 8, v10
	v_and_b32_e32 v11, 0xffffff00, v11
	v_sub_i16 v64, v64, v68 clamp
	v_or_b32_sdwa v11, v64, v11 dst_sel:DWORD dst_unused:UNUSED_PAD src0_sel:BYTE_1 src1_sel:DWORD
	v_and_b32_sdwa v64, v10, s31 dst_sel:DWORD dst_unused:UNUSED_PAD src0_sel:WORD_1 src1_sel:DWORD
	v_sub_i16 v64, v64, v76 clamp
	v_lshlrev_b16_sdwa v10, v52, v10 dst_sel:DWORD dst_unused:UNUSED_PAD src0_sel:DWORD src1_sel:WORD_1
	v_lshlrev_b16_e32 v68, 8, v72
	v_and_b32_e32 v64, 0xffffff00, v64
	v_sub_i16 v10, v10, v68 clamp
	v_or_b32_sdwa v10, v10, v64 dst_sel:WORD_1 dst_unused:UNUSED_PAD src0_sel:BYTE_1 src1_sel:DWORD
	v_and_b32_sdwa v64, s29, v48 dst_sel:DWORD dst_unused:UNUSED_PAD src0_sel:DWORD src1_sel:BYTE_0
	v_lshlrev_b32_e32 v68, 6, v66
	v_and_or_b32 v64, v68, s30, v64
	v_lshlrev_b32_e32 v64, 2, v64
	global_load_dword v64, v64, s[20:21]
	v_lshrrev_b16_e32 v48, 8, v48
	v_lshlrev_b32_e32 v68, 5, v66
	v_and_or_b32 v48, v68, s30, v48
	v_lshlrev_b32_e32 v48, 2, v48
	global_load_dword v68, v48, s[20:21]
	v_lshrrev_b16_e32 v48, 8, v49
	v_bfe_u32 v71, v48, 3, 1
	v_lshlrev_b32_e32 v69, 5, v48
	v_lshrrev_b32_e32 v70, 1, v48
	v_cmp_ne_u16_e32 vcc, 0, v71
	v_lshlrev_b16_e32 v49, 7, v49
	v_bfe_i32 v70, v70, 0, 1
	v_lshrrev_b16_e32 v69, 7, v69
	v_cndmask_b32_e64 v71, 0, -1, vcc
	v_ashrrev_i16_e32 v49, 15, v49
	v_bfe_i32 v69, v69, 0, 1
	v_lshlrev_b16_e32 v70, 8, v70
	v_lshlrev_b16_e32 v71, 8, v71
	v_or_b32_sdwa v72, v49, v70 dst_sel:DWORD dst_unused:UNUSED_PAD src0_sel:BYTE_0 src1_sel:DWORD
	v_or_b32_sdwa v73, v69, v71 dst_sel:WORD_1 dst_unused:UNUSED_PAD src0_sel:BYTE_0 src1_sel:DWORD
	v_bfe_i32 v74, v48, 4, 1
	v_or_b32_sdwa v72, v72, v73 dst_sel:DWORD dst_unused:UNUSED_PAD src0_sel:WORD_0 src1_sel:DWORD
	v_lshlrev_b32_e32 v73, 1, v48
	v_lshrrev_b32_e32 v75, 5, v48
	v_lshrrev_b32_e32 v48, 7, v48
	v_cmp_ne_u16_e32 vcc, 0, v48
	v_bfe_i32 v75, v75, 0, 1
	v_lshrrev_b16_e32 v73, 7, v73
	v_cndmask_b32_e64 v48, 0, -1, vcc
	v_bfe_i32 v73, v73, 0, 1
	v_lshlrev_b16_e32 v75, 8, v75
	v_lshlrev_b16_e32 v77, 8, v48
	v_or_b32_sdwa v76, v74, v75 dst_sel:DWORD dst_unused:UNUSED_PAD src0_sel:BYTE_0 src1_sel:DWORD
	v_or_b32_sdwa v48, v73, v77 dst_sel:WORD_1 dst_unused:UNUSED_PAD src0_sel:BYTE_0 src1_sel:DWORD
	v_lshlrev_b16_e32 v49, 8, v49
	v_or_b32_sdwa v76, v76, v48 dst_sel:DWORD dst_unused:UNUSED_PAD src0_sel:WORD_0 src1_sel:DWORD
	v_lshlrev_b16_e32 v69, 8, v69
	v_or_b32_sdwa v10, v11, v10 dst_sel:DWORD dst_unused:UNUSED_PAD src0_sel:WORD_0 src1_sel:DWORD
	v_mov_b32_e32 v11, 0
	v_dot4c_i32_i8_e32 v11, v9, v5
	v_dot4c_i32_i8_e32 v11, v10, v6
	s_waitcnt vmcnt(1)
	v_xor_b32_e32 v48, v64, v72
	v_and_b32_e32 v64, 0xffffff00, v48
	v_sub_i16 v64, v64, v70 clamp
	v_lshlrev_b16_e32 v70, 8, v48
	v_and_b32_e32 v64, 0xffffff00, v64
	v_sub_i16 v49, v70, v49 clamp
	v_or_b32_sdwa v49, v49, v64 dst_sel:DWORD dst_unused:UNUSED_PAD src0_sel:BYTE_1 src1_sel:DWORD
	v_and_b32_sdwa v64, v48, s31 dst_sel:DWORD dst_unused:UNUSED_PAD src0_sel:WORD_1 src1_sel:DWORD
	v_sub_i16 v64, v64, v71 clamp
	v_lshlrev_b16_sdwa v48, v52, v48 dst_sel:DWORD dst_unused:UNUSED_PAD src0_sel:DWORD src1_sel:WORD_1
	v_and_b32_e32 v64, 0xffffff00, v64
	v_sub_i16 v48, v48, v69 clamp
	v_or_b32_sdwa v48, v48, v64 dst_sel:WORD_1 dst_unused:UNUSED_PAD src0_sel:BYTE_1 src1_sel:DWORD
	v_lshlrev_b16_e32 v69, 8, v74
	v_or_b32_sdwa v48, v49, v48 dst_sel:DWORD dst_unused:UNUSED_PAD src0_sel:WORD_0 src1_sel:DWORD
	s_waitcnt vmcnt(0)
	v_xor_b32_e32 v49, v68, v76
	v_and_b32_e32 v64, 0xffffff00, v49
	v_sub_i16 v64, v64, v75 clamp
	v_lshlrev_b16_e32 v68, 8, v49
	v_and_b32_e32 v64, 0xffffff00, v64
	v_sub_i16 v68, v68, v69 clamp
	v_or_b32_sdwa v64, v68, v64 dst_sel:DWORD dst_unused:UNUSED_PAD src0_sel:BYTE_1 src1_sel:DWORD
	v_and_b32_sdwa v68, v49, s31 dst_sel:DWORD dst_unused:UNUSED_PAD src0_sel:WORD_1 src1_sel:DWORD
	v_sub_i16 v68, v68, v77 clamp
	v_lshlrev_b16_sdwa v49, v52, v49 dst_sel:DWORD dst_unused:UNUSED_PAD src0_sel:DWORD src1_sel:WORD_1
	v_lshlrev_b16_e32 v69, 8, v73
	v_and_b32_e32 v68, 0xffffff00, v68
	v_sub_i16 v49, v49, v69 clamp
	v_or_b32_sdwa v49, v49, v68 dst_sel:WORD_1 dst_unused:UNUSED_PAD src0_sel:BYTE_1 src1_sel:DWORD
	v_lshlrev_b32_e32 v68, 4, v66
	v_or_b32_sdwa v49, v64, v49 dst_sel:DWORD dst_unused:UNUSED_PAD src0_sel:WORD_0 src1_sel:DWORD
	v_and_b32_sdwa v64, s29, v63 dst_sel:DWORD dst_unused:UNUSED_PAD src0_sel:DWORD src1_sel:BYTE_0
	v_and_or_b32 v64, v68, s30, v64
	v_lshlrev_b32_e32 v64, 2, v64
	global_load_dword v64, v64, s[20:21]
	v_lshrrev_b16_e32 v63, 8, v63
	v_lshlrev_b32_e32 v68, 3, v66
	v_and_or_b32 v63, v68, s30, v63
	v_lshlrev_b32_e32 v63, 2, v63
	global_load_dword v68, v63, s[20:21]
	v_and_b32_sdwa v63, s29, v67 dst_sel:DWORD dst_unused:UNUSED_PAD src0_sel:DWORD src1_sel:BYTE_0
	v_bfe_u32 v72, v63, 3, 1
	v_lshlrev_b32_e32 v69, 5, v63
	v_lshrrev_b32_e32 v71, 1, v63
	v_cmp_ne_u16_e32 vcc, 0, v72
	v_and_b32_e32 v70, 1, v67
	v_bfe_i32 v71, v71, 0, 1
	v_lshrrev_b16_e32 v69, 7, v69
	v_cndmask_b32_e64 v72, 0, -1, vcc
	v_sub_u16_e32 v70, 0, v70
	v_bfe_i32 v69, v69, 0, 1
	v_lshlrev_b16_e32 v71, 8, v71
	v_lshlrev_b16_e32 v72, 8, v72
	v_or_b32_sdwa v73, v70, v71 dst_sel:DWORD dst_unused:UNUSED_PAD src0_sel:BYTE_0 src1_sel:DWORD
	v_or_b32_sdwa v74, v69, v72 dst_sel:WORD_1 dst_unused:UNUSED_PAD src0_sel:BYTE_0 src1_sel:DWORD
	v_bfe_i32 v75, v63, 4, 1
	v_or_b32_sdwa v73, v73, v74 dst_sel:DWORD dst_unused:UNUSED_PAD src0_sel:WORD_0 src1_sel:DWORD
	v_lshlrev_b32_e32 v74, 1, v63
	v_lshrrev_b32_e32 v76, 5, v63
	v_lshrrev_b32_e32 v63, 7, v63
	v_cmp_ne_u16_e32 vcc, 0, v63
	v_bfe_i32 v76, v76, 0, 1
	v_lshrrev_b16_e32 v74, 7, v74
	v_cndmask_b32_e64 v63, 0, -1, vcc
	v_bfe_i32 v74, v74, 0, 1
	v_lshlrev_b16_e32 v76, 8, v76
	v_lshlrev_b16_e32 v78, 8, v63
	v_or_b32_sdwa v77, v75, v76 dst_sel:DWORD dst_unused:UNUSED_PAD src0_sel:BYTE_0 src1_sel:DWORD
	v_or_b32_sdwa v63, v74, v78 dst_sel:WORD_1 dst_unused:UNUSED_PAD src0_sel:BYTE_0 src1_sel:DWORD
	v_lshlrev_b16_e32 v70, 8, v70
	v_or_b32_sdwa v77, v77, v63 dst_sel:DWORD dst_unused:UNUSED_PAD src0_sel:WORD_0 src1_sel:DWORD
	v_lshlrev_b16_e32 v69, 8, v69
	v_dot4c_i32_i8_e32 v11, v48, v7
	v_dot4c_i32_i8_e32 v11, v49, v0
	s_waitcnt vmcnt(1)
	v_xor_b32_e32 v63, v64, v73
	v_and_b32_e32 v64, 0xffffff00, v63
	v_sub_i16 v64, v64, v71 clamp
	v_lshlrev_b16_e32 v71, 8, v63
	v_and_b32_e32 v64, 0xffffff00, v64
	v_sub_i16 v70, v71, v70 clamp
	v_or_b32_sdwa v64, v70, v64 dst_sel:DWORD dst_unused:UNUSED_PAD src0_sel:BYTE_1 src1_sel:DWORD
	v_and_b32_sdwa v70, v63, s31 dst_sel:DWORD dst_unused:UNUSED_PAD src0_sel:WORD_1 src1_sel:DWORD
	v_sub_i16 v70, v70, v72 clamp
	v_lshlrev_b16_sdwa v63, v52, v63 dst_sel:DWORD dst_unused:UNUSED_PAD src0_sel:DWORD src1_sel:WORD_1
	v_and_b32_e32 v70, 0xffffff00, v70
	v_sub_i16 v63, v63, v69 clamp
	v_or_b32_sdwa v63, v63, v70 dst_sel:WORD_1 dst_unused:UNUSED_PAD src0_sel:BYTE_1 src1_sel:DWORD
	v_lshlrev_b16_e32 v70, 8, v75
	v_or_b32_sdwa v63, v64, v63 dst_sel:DWORD dst_unused:UNUSED_PAD src0_sel:WORD_0 src1_sel:DWORD
	s_waitcnt vmcnt(0)
	v_xor_b32_e32 v64, v68, v77
	v_and_b32_e32 v68, 0xffffff00, v64
	v_sub_i16 v68, v68, v76 clamp
	v_lshlrev_b16_e32 v69, 8, v64
	v_and_b32_e32 v68, 0xffffff00, v68
	v_sub_i16 v69, v69, v70 clamp
	v_or_b32_sdwa v68, v69, v68 dst_sel:DWORD dst_unused:UNUSED_PAD src0_sel:BYTE_1 src1_sel:DWORD
	v_and_b32_sdwa v69, v64, s31 dst_sel:DWORD dst_unused:UNUSED_PAD src0_sel:WORD_1 src1_sel:DWORD
	v_sub_i16 v69, v69, v78 clamp
	v_lshlrev_b16_sdwa v64, v52, v64 dst_sel:DWORD dst_unused:UNUSED_PAD src0_sel:DWORD src1_sel:WORD_1
	v_lshlrev_b16_e32 v70, 8, v74
	v_and_b32_e32 v69, 0xffffff00, v69
	v_sub_i16 v64, v64, v70 clamp
	v_or_b32_sdwa v64, v64, v69 dst_sel:WORD_1 dst_unused:UNUSED_PAD src0_sel:BYTE_1 src1_sel:DWORD
	v_lshlrev_b32_e32 v69, 2, v66
	v_or_b32_sdwa v64, v68, v64 dst_sel:DWORD dst_unused:UNUSED_PAD src0_sel:WORD_0 src1_sel:DWORD
	v_and_b32_sdwa v68, s29, v65 dst_sel:DWORD dst_unused:UNUSED_PAD src0_sel:DWORD src1_sel:BYTE_0
	v_and_or_b32 v68, v69, s30, v68
	v_lshlrev_b32_e32 v68, 2, v68
	global_load_dword v68, v68, s[20:21]
	v_lshrrev_b16_e32 v65, 8, v65
	v_lshlrev_b32_e32 v66, 1, v66
	v_and_or_b32 v65, v66, s30, v65
	v_lshlrev_b32_e32 v65, 2, v65
	global_load_dword v66, v65, s[20:21]
	v_lshrrev_b16_e32 v65, 8, v67
	v_bfe_u32 v71, v65, 3, 1
	v_lshlrev_b32_e32 v69, 5, v65
	v_lshrrev_b32_e32 v70, 1, v65
	v_cmp_ne_u16_e32 vcc, 0, v71
	v_lshlrev_b16_e32 v67, 7, v67
	v_bfe_i32 v70, v70, 0, 1
	v_lshrrev_b16_e32 v69, 7, v69
	v_cndmask_b32_e64 v71, 0, -1, vcc
	v_ashrrev_i16_e32 v67, 15, v67
	v_bfe_i32 v69, v69, 0, 1
	v_lshlrev_b16_e32 v70, 8, v70
	v_lshlrev_b16_e32 v71, 8, v71
	v_or_b32_sdwa v72, v67, v70 dst_sel:DWORD dst_unused:UNUSED_PAD src0_sel:BYTE_0 src1_sel:DWORD
	v_or_b32_sdwa v73, v69, v71 dst_sel:WORD_1 dst_unused:UNUSED_PAD src0_sel:BYTE_0 src1_sel:DWORD
	v_bfe_i32 v74, v65, 4, 1
	v_or_b32_sdwa v72, v72, v73 dst_sel:DWORD dst_unused:UNUSED_PAD src0_sel:WORD_0 src1_sel:DWORD
	v_lshlrev_b32_e32 v73, 1, v65
	v_lshrrev_b32_e32 v75, 5, v65
	v_lshrrev_b32_e32 v65, 7, v65
	v_cmp_ne_u16_e32 vcc, 0, v65
	v_bfe_i32 v75, v75, 0, 1
	v_lshrrev_b16_e32 v73, 7, v73
	v_cndmask_b32_e64 v65, 0, -1, vcc
	v_bfe_i32 v73, v73, 0, 1
	v_lshlrev_b16_e32 v75, 8, v75
	v_lshlrev_b16_e32 v77, 8, v65
	v_or_b32_sdwa v76, v74, v75 dst_sel:DWORD dst_unused:UNUSED_PAD src0_sel:BYTE_0 src1_sel:DWORD
	v_or_b32_sdwa v65, v73, v77 dst_sel:WORD_1 dst_unused:UNUSED_PAD src0_sel:BYTE_0 src1_sel:DWORD
	v_lshlrev_b16_e32 v67, 8, v67
	v_or_b32_sdwa v76, v76, v65 dst_sel:DWORD dst_unused:UNUSED_PAD src0_sel:WORD_0 src1_sel:DWORD
	v_lshlrev_b16_e32 v69, 8, v69
	v_dot4c_i32_i8_e32 v11, v63, v1
	v_dot4c_i32_i8_e32 v11, v64, v2
	s_waitcnt vmcnt(1)
	v_xor_b32_e32 v65, v68, v72
	v_and_b32_e32 v68, 0xffffff00, v65
	v_sub_i16 v68, v68, v70 clamp
	v_lshlrev_b16_e32 v70, 8, v65
	v_and_b32_e32 v68, 0xffffff00, v68
	v_sub_i16 v67, v70, v67 clamp
	v_or_b32_sdwa v67, v67, v68 dst_sel:DWORD dst_unused:UNUSED_PAD src0_sel:BYTE_1 src1_sel:DWORD
	v_and_b32_sdwa v68, v65, s31 dst_sel:DWORD dst_unused:UNUSED_PAD src0_sel:WORD_1 src1_sel:DWORD
	v_sub_i16 v68, v68, v71 clamp
	v_lshlrev_b16_sdwa v65, v52, v65 dst_sel:DWORD dst_unused:UNUSED_PAD src0_sel:DWORD src1_sel:WORD_1
	v_and_b32_e32 v68, 0xffffff00, v68
	v_sub_i16 v65, v65, v69 clamp
	v_or_b32_sdwa v65, v65, v68 dst_sel:WORD_1 dst_unused:UNUSED_PAD src0_sel:BYTE_1 src1_sel:DWORD
	s_waitcnt vmcnt(0)
	v_xor_b32_e32 v66, v66, v76
	v_or_b32_sdwa v65, v67, v65 dst_sel:DWORD dst_unused:UNUSED_PAD src0_sel:WORD_0 src1_sel:DWORD
	v_and_b32_e32 v67, 0xffffff00, v66
	v_sub_i16 v67, v67, v75 clamp
	v_lshlrev_b16_e32 v68, 8, v66
	v_lshlrev_b16_e32 v69, 8, v74
	v_and_b32_e32 v67, 0xffffff00, v67
	v_sub_i16 v68, v68, v69 clamp
	v_or_b32_sdwa v67, v68, v67 dst_sel:DWORD dst_unused:UNUSED_PAD src0_sel:BYTE_1 src1_sel:DWORD
	v_and_b32_sdwa v68, v66, s31 dst_sel:DWORD dst_unused:UNUSED_PAD src0_sel:WORD_1 src1_sel:DWORD
	v_sub_i16 v68, v68, v77 clamp
	v_lshlrev_b16_sdwa v66, v52, v66 dst_sel:DWORD dst_unused:UNUSED_PAD src0_sel:DWORD src1_sel:WORD_1
	v_lshlrev_b16_e32 v69, 8, v73
	v_and_b32_e32 v68, 0xffffff00, v68
	v_sub_i16 v66, v66, v69 clamp
	v_or_b32_sdwa v66, v66, v68 dst_sel:WORD_1 dst_unused:UNUSED_PAD src0_sel:BYTE_1 src1_sel:DWORD
	v_dot4c_i32_i8_e32 v11, v65, v3
	v_or_b32_sdwa v66, v67, v66 dst_sel:DWORD dst_unused:UNUSED_PAD src0_sel:WORD_0 src1_sel:DWORD
	global_load_ushort v67, v[34:35], off
	global_load_ushort v68, v[36:37], off offset:2
	global_load_ushort v69, v[36:37], off offset:4
	;; [unrolled: 1-line block ×4, first 2 shown]
	global_load_ubyte v72, v[38:39], off offset:66
	global_load_ushort v73, v[40:41], off offset:74
	global_load_ushort v74, v[40:41], off offset:76
	v_dot4c_i32_i8_e32 v11, v66, v8
	s_waitcnt vmcnt(6)
	v_and_b32_sdwa v75, s29, v68 dst_sel:DWORD dst_unused:UNUSED_PAD src0_sel:DWORD src1_sel:BYTE_0
	v_lshrrev_b16_e32 v68, 8, v68
	s_waitcnt vmcnt(2)
	v_lshlrev_b32_e32 v76, 8, v72
	v_and_or_b32 v75, v76, s30, v75
	v_lshlrev_b32_e32 v75, 2, v75
	global_load_dword v75, v75, s[20:21]
	v_lshlrev_b32_e32 v76, 7, v72
	v_and_or_b32 v68, v76, s30, v68
	v_lshlrev_b32_e32 v68, 2, v68
	global_load_dword v68, v68, s[20:21]
	s_waitcnt vmcnt(3)
	v_and_b32_sdwa v76, s29, v73 dst_sel:DWORD dst_unused:UNUSED_PAD src0_sel:DWORD src1_sel:BYTE_0
	v_bfe_u32 v80, v76, 3, 1
	v_lshlrev_b32_e32 v77, 5, v76
	v_lshrrev_b32_e32 v79, 1, v76
	v_cmp_ne_u16_e32 vcc, 0, v80
	v_and_b32_e32 v78, 1, v73
	v_bfe_i32 v79, v79, 0, 1
	v_lshrrev_b16_e32 v77, 7, v77
	v_cndmask_b32_e64 v80, 0, -1, vcc
	v_sub_u16_e32 v78, 0, v78
	v_bfe_i32 v77, v77, 0, 1
	v_lshlrev_b16_e32 v79, 8, v79
	v_lshlrev_b16_e32 v80, 8, v80
	v_or_b32_sdwa v81, v78, v79 dst_sel:DWORD dst_unused:UNUSED_PAD src0_sel:BYTE_0 src1_sel:DWORD
	v_or_b32_sdwa v82, v77, v80 dst_sel:WORD_1 dst_unused:UNUSED_PAD src0_sel:BYTE_0 src1_sel:DWORD
	v_bfe_i32 v83, v76, 4, 1
	v_or_b32_sdwa v81, v81, v82 dst_sel:DWORD dst_unused:UNUSED_PAD src0_sel:WORD_0 src1_sel:DWORD
	v_lshlrev_b32_e32 v82, 1, v76
	v_lshrrev_b32_e32 v84, 5, v76
	v_lshrrev_b32_e32 v76, 7, v76
	v_cmp_ne_u16_e32 vcc, 0, v76
	v_lshlrev_b16_e32 v78, 8, v78
	v_bfe_i32 v84, v84, 0, 1
	v_lshrrev_b16_e32 v82, 7, v82
	v_cndmask_b32_e64 v76, 0, -1, vcc
	v_bfe_i32 v82, v82, 0, 1
	v_lshlrev_b16_e32 v84, 8, v84
	v_lshlrev_b16_e32 v76, 8, v76
	v_or_b32_sdwa v85, v83, v84 dst_sel:DWORD dst_unused:UNUSED_PAD src0_sel:BYTE_0 src1_sel:DWORD
	v_or_b32_sdwa v86, v82, v76 dst_sel:WORD_1 dst_unused:UNUSED_PAD src0_sel:BYTE_0 src1_sel:DWORD
	v_lshlrev_b16_e32 v77, 8, v77
	v_or_b32_sdwa v85, v85, v86 dst_sel:DWORD dst_unused:UNUSED_PAD src0_sel:WORD_0 src1_sel:DWORD
	s_waitcnt vmcnt(1)
	v_xor_b32_e32 v75, v75, v81
	v_and_b32_e32 v81, 0xffffff00, v75
	v_sub_i16 v79, v81, v79 clamp
	v_lshlrev_b16_e32 v81, 8, v75
	v_and_b32_e32 v79, 0xffffff00, v79
	v_sub_i16 v78, v81, v78 clamp
	v_or_b32_sdwa v78, v78, v79 dst_sel:DWORD dst_unused:UNUSED_PAD src0_sel:BYTE_1 src1_sel:DWORD
	v_and_b32_sdwa v79, v75, s31 dst_sel:DWORD dst_unused:UNUSED_PAD src0_sel:WORD_1 src1_sel:DWORD
	v_sub_i16 v79, v79, v80 clamp
	v_lshlrev_b16_sdwa v75, v52, v75 dst_sel:DWORD dst_unused:UNUSED_PAD src0_sel:DWORD src1_sel:WORD_1
	v_and_b32_e32 v79, 0xffffff00, v79
	v_sub_i16 v75, v75, v77 clamp
	v_or_b32_sdwa v75, v75, v79 dst_sel:WORD_1 dst_unused:UNUSED_PAD src0_sel:BYTE_1 src1_sel:DWORD
	s_waitcnt vmcnt(0)
	v_xor_b32_e32 v68, v68, v85
	v_or_b32_sdwa v77, v78, v75 dst_sel:DWORD dst_unused:UNUSED_PAD src0_sel:WORD_0 src1_sel:DWORD
	v_and_b32_e32 v75, 0xffffff00, v68
	v_sub_i16 v75, v75, v84 clamp
	v_lshlrev_b16_e32 v78, 8, v68
	v_lshlrev_b16_e32 v79, 8, v83
	v_and_b32_e32 v75, 0xffffff00, v75
	v_sub_i16 v78, v78, v79 clamp
	v_or_b32_sdwa v75, v78, v75 dst_sel:DWORD dst_unused:UNUSED_PAD src0_sel:BYTE_1 src1_sel:DWORD
	v_and_b32_sdwa v78, v68, s31 dst_sel:DWORD dst_unused:UNUSED_PAD src0_sel:WORD_1 src1_sel:DWORD
	v_sub_i16 v76, v78, v76 clamp
	v_lshlrev_b16_sdwa v68, v52, v68 dst_sel:DWORD dst_unused:UNUSED_PAD src0_sel:DWORD src1_sel:WORD_1
	v_lshlrev_b16_e32 v78, 8, v82
	v_and_b32_e32 v76, 0xffffff00, v76
	v_sub_i16 v68, v68, v78 clamp
	v_or_b32_sdwa v68, v68, v76 dst_sel:WORD_1 dst_unused:UNUSED_PAD src0_sel:BYTE_1 src1_sel:DWORD
	s_nop 0
	v_or_b32_sdwa v76, v75, v68 dst_sel:DWORD dst_unused:UNUSED_PAD src0_sel:WORD_0 src1_sel:DWORD
	v_mov_b32_e32 v68, 0
	v_dot4c_i32_i8_e32 v68, v77, v5
	v_dot4c_i32_i8_e32 v68, v76, v6
	v_and_b32_sdwa v5, s29, v69 dst_sel:DWORD dst_unused:UNUSED_PAD src0_sel:DWORD src1_sel:BYTE_0
	v_lshlrev_b32_e32 v6, 6, v72
	v_and_or_b32 v5, v6, s30, v5
	v_lshlrev_b32_e32 v5, 2, v5
	global_load_dword v5, v5, s[20:21]
	v_lshrrev_b16_e32 v6, 8, v69
	v_lshlrev_b32_e32 v69, 5, v72
	v_and_or_b32 v6, v69, s30, v6
	v_lshlrev_b32_e32 v6, 2, v6
	global_load_dword v6, v6, s[20:21]
	v_lshrrev_b16_e32 v69, 8, v73
	v_bfe_u32 v79, v69, 3, 1
	v_lshlrev_b32_e32 v75, 5, v69
	v_lshrrev_b32_e32 v78, 1, v69
	v_cmp_ne_u16_e32 vcc, 0, v79
	v_lshlrev_b16_e32 v73, 7, v73
	v_bfe_i32 v78, v78, 0, 1
	v_lshrrev_b16_e32 v75, 7, v75
	v_cndmask_b32_e64 v79, 0, -1, vcc
	v_ashrrev_i16_e32 v73, 15, v73
	v_bfe_i32 v75, v75, 0, 1
	v_lshlrev_b16_e32 v78, 8, v78
	v_lshlrev_b16_e32 v79, 8, v79
	v_or_b32_sdwa v80, v73, v78 dst_sel:DWORD dst_unused:UNUSED_PAD src0_sel:BYTE_0 src1_sel:DWORD
	v_or_b32_sdwa v81, v75, v79 dst_sel:WORD_1 dst_unused:UNUSED_PAD src0_sel:BYTE_0 src1_sel:DWORD
	v_bfe_i32 v82, v69, 4, 1
	v_or_b32_sdwa v80, v80, v81 dst_sel:DWORD dst_unused:UNUSED_PAD src0_sel:WORD_0 src1_sel:DWORD
	v_lshlrev_b32_e32 v81, 1, v69
	v_lshrrev_b32_e32 v83, 5, v69
	v_lshrrev_b32_e32 v69, 7, v69
	v_lshlrev_b16_e32 v73, 8, v73
	v_cmp_ne_u16_e32 vcc, 0, v69
	v_bfe_i32 v83, v83, 0, 1
	v_lshrrev_b16_e32 v81, 7, v81
	v_cndmask_b32_e64 v69, 0, -1, vcc
	v_bfe_i32 v81, v81, 0, 1
	v_lshlrev_b16_e32 v83, 8, v83
	v_lshlrev_b16_e32 v69, 8, v69
	;; [unrolled: 1-line block ×3, first 2 shown]
	v_or_b32_sdwa v84, v82, v83 dst_sel:DWORD dst_unused:UNUSED_PAD src0_sel:BYTE_0 src1_sel:DWORD
	v_or_b32_sdwa v85, v81, v69 dst_sel:WORD_1 dst_unused:UNUSED_PAD src0_sel:BYTE_0 src1_sel:DWORD
	s_waitcnt vmcnt(1)
	v_xor_b32_e32 v5, v5, v80
	v_and_b32_e32 v80, 0xffffff00, v5
	v_sub_i16 v78, v80, v78 clamp
	v_lshlrev_b16_e32 v80, 8, v5
	v_and_b32_e32 v78, 0xffffff00, v78
	v_sub_i16 v73, v80, v73 clamp
	v_or_b32_sdwa v73, v73, v78 dst_sel:DWORD dst_unused:UNUSED_PAD src0_sel:BYTE_1 src1_sel:DWORD
	v_and_b32_sdwa v78, v5, s31 dst_sel:DWORD dst_unused:UNUSED_PAD src0_sel:WORD_1 src1_sel:DWORD
	v_sub_i16 v78, v78, v79 clamp
	v_lshlrev_b16_sdwa v5, v52, v5 dst_sel:DWORD dst_unused:UNUSED_PAD src0_sel:DWORD src1_sel:WORD_1
	v_and_b32_e32 v78, 0xffffff00, v78
	v_sub_i16 v5, v5, v75 clamp
	v_or_b32_sdwa v84, v84, v85 dst_sel:DWORD dst_unused:UNUSED_PAD src0_sel:WORD_0 src1_sel:DWORD
	v_or_b32_sdwa v5, v5, v78 dst_sel:WORD_1 dst_unused:UNUSED_PAD src0_sel:BYTE_1 src1_sel:DWORD
	v_lshlrev_b16_e32 v75, 8, v82
	v_or_b32_sdwa v78, v73, v5 dst_sel:DWORD dst_unused:UNUSED_PAD src0_sel:WORD_0 src1_sel:DWORD
	s_waitcnt vmcnt(0)
	v_xor_b32_e32 v5, v6, v84
	v_and_b32_e32 v6, 0xffffff00, v5
	v_sub_i16 v6, v6, v83 clamp
	v_lshlrev_b16_e32 v73, 8, v5
	v_and_b32_e32 v6, 0xffffff00, v6
	v_sub_i16 v73, v73, v75 clamp
	v_or_b32_sdwa v6, v73, v6 dst_sel:DWORD dst_unused:UNUSED_PAD src0_sel:BYTE_1 src1_sel:DWORD
	v_and_b32_sdwa v73, v5, s31 dst_sel:DWORD dst_unused:UNUSED_PAD src0_sel:WORD_1 src1_sel:DWORD
	v_sub_i16 v69, v73, v69 clamp
	v_lshlrev_b16_sdwa v5, v52, v5 dst_sel:DWORD dst_unused:UNUSED_PAD src0_sel:DWORD src1_sel:WORD_1
	v_lshlrev_b16_e32 v73, 8, v81
	v_and_b32_e32 v69, 0xffffff00, v69
	v_sub_i16 v5, v5, v73 clamp
	v_or_b32_sdwa v5, v5, v69 dst_sel:WORD_1 dst_unused:UNUSED_PAD src0_sel:BYTE_1 src1_sel:DWORD
	v_dot4c_i32_i8_e32 v68, v78, v7
	v_or_b32_sdwa v79, v6, v5 dst_sel:DWORD dst_unused:UNUSED_PAD src0_sel:WORD_0 src1_sel:DWORD
	v_dot4c_i32_i8_e32 v68, v79, v0
	v_and_b32_sdwa v0, s29, v70 dst_sel:DWORD dst_unused:UNUSED_PAD src0_sel:DWORD src1_sel:BYTE_0
	v_lshlrev_b32_e32 v5, 4, v72
	v_and_or_b32 v0, v5, s30, v0
	v_lshlrev_b32_e32 v0, 2, v0
	global_load_dword v0, v0, s[20:21]
	v_lshrrev_b16_e32 v5, 8, v70
	v_lshlrev_b32_e32 v6, 3, v72
	v_and_or_b32 v5, v6, s30, v5
	v_lshlrev_b32_e32 v5, 2, v5
	global_load_dword v5, v5, s[20:21]
	v_and_b32_sdwa v6, s29, v74 dst_sel:DWORD dst_unused:UNUSED_PAD src0_sel:DWORD src1_sel:BYTE_0
	v_bfe_u32 v73, v6, 3, 1
	v_lshlrev_b32_e32 v7, 5, v6
	v_lshrrev_b32_e32 v70, 1, v6
	v_cmp_ne_u16_e32 vcc, 0, v73
	v_and_b32_e32 v69, 1, v74
	v_bfe_i32 v70, v70, 0, 1
	v_lshrrev_b16_e32 v7, 7, v7
	v_cndmask_b32_e64 v73, 0, -1, vcc
	v_sub_u16_e32 v69, 0, v69
	v_bfe_i32 v7, v7, 0, 1
	v_lshlrev_b16_e32 v70, 8, v70
	v_lshlrev_b16_e32 v73, 8, v73
	v_or_b32_sdwa v75, v69, v70 dst_sel:DWORD dst_unused:UNUSED_PAD src0_sel:BYTE_0 src1_sel:DWORD
	v_or_b32_sdwa v80, v7, v73 dst_sel:WORD_1 dst_unused:UNUSED_PAD src0_sel:BYTE_0 src1_sel:DWORD
	v_bfe_i32 v81, v6, 4, 1
	v_or_b32_sdwa v75, v75, v80 dst_sel:DWORD dst_unused:UNUSED_PAD src0_sel:WORD_0 src1_sel:DWORD
	v_lshlrev_b32_e32 v80, 1, v6
	v_lshrrev_b32_e32 v82, 5, v6
	v_lshrrev_b32_e32 v6, 7, v6
	v_lshlrev_b16_e32 v69, 8, v69
	v_cmp_ne_u16_e32 vcc, 0, v6
	v_bfe_i32 v82, v82, 0, 1
	v_lshrrev_b16_e32 v80, 7, v80
	v_cndmask_b32_e64 v6, 0, -1, vcc
	v_bfe_i32 v80, v80, 0, 1
	v_lshlrev_b16_e32 v82, 8, v82
	v_lshlrev_b16_e32 v6, 8, v6
	;; [unrolled: 1-line block ×3, first 2 shown]
	v_or_b32_sdwa v83, v81, v82 dst_sel:DWORD dst_unused:UNUSED_PAD src0_sel:BYTE_0 src1_sel:DWORD
	v_or_b32_sdwa v84, v80, v6 dst_sel:WORD_1 dst_unused:UNUSED_PAD src0_sel:BYTE_0 src1_sel:DWORD
	s_waitcnt vmcnt(1)
	v_xor_b32_e32 v0, v0, v75
	v_and_b32_e32 v75, 0xffffff00, v0
	v_sub_i16 v70, v75, v70 clamp
	v_lshlrev_b16_e32 v75, 8, v0
	v_and_b32_e32 v70, 0xffffff00, v70
	v_sub_i16 v69, v75, v69 clamp
	v_or_b32_sdwa v69, v69, v70 dst_sel:DWORD dst_unused:UNUSED_PAD src0_sel:BYTE_1 src1_sel:DWORD
	v_and_b32_sdwa v70, v0, s31 dst_sel:DWORD dst_unused:UNUSED_PAD src0_sel:WORD_1 src1_sel:DWORD
	v_sub_i16 v70, v70, v73 clamp
	v_lshlrev_b16_sdwa v0, v52, v0 dst_sel:DWORD dst_unused:UNUSED_PAD src0_sel:DWORD src1_sel:WORD_1
	v_and_b32_e32 v70, 0xffffff00, v70
	v_sub_i16 v0, v0, v7 clamp
	v_or_b32_sdwa v83, v83, v84 dst_sel:DWORD dst_unused:UNUSED_PAD src0_sel:WORD_0 src1_sel:DWORD
	v_or_b32_sdwa v0, v0, v70 dst_sel:WORD_1 dst_unused:UNUSED_PAD src0_sel:BYTE_1 src1_sel:DWORD
	s_nop 0
	v_or_b32_sdwa v84, v69, v0 dst_sel:DWORD dst_unused:UNUSED_PAD src0_sel:WORD_0 src1_sel:DWORD
	s_waitcnt vmcnt(0)
	v_xor_b32_e32 v0, v5, v83
	v_and_b32_e32 v5, 0xffffff00, v0
	v_sub_i16 v5, v5, v82 clamp
	v_lshlrev_b16_e32 v7, 8, v0
	v_lshlrev_b16_e32 v69, 8, v81
	v_and_b32_e32 v5, 0xffffff00, v5
	v_sub_i16 v7, v7, v69 clamp
	v_or_b32_sdwa v5, v7, v5 dst_sel:DWORD dst_unused:UNUSED_PAD src0_sel:BYTE_1 src1_sel:DWORD
	v_and_b32_sdwa v7, v0, s31 dst_sel:DWORD dst_unused:UNUSED_PAD src0_sel:WORD_1 src1_sel:DWORD
	v_sub_i16 v6, v7, v6 clamp
	v_lshlrev_b16_sdwa v0, v52, v0 dst_sel:DWORD dst_unused:UNUSED_PAD src0_sel:DWORD src1_sel:WORD_1
	v_lshlrev_b16_e32 v7, 8, v80
	v_and_b32_e32 v6, 0xffffff00, v6
	v_sub_i16 v0, v0, v7 clamp
	v_or_b32_sdwa v0, v0, v6 dst_sel:WORD_1 dst_unused:UNUSED_PAD src0_sel:BYTE_1 src1_sel:DWORD
	v_dot4c_i32_i8_e32 v68, v84, v1
	v_or_b32_sdwa v80, v5, v0 dst_sel:DWORD dst_unused:UNUSED_PAD src0_sel:WORD_0 src1_sel:DWORD
	v_and_b32_sdwa v0, s29, v71 dst_sel:DWORD dst_unused:UNUSED_PAD src0_sel:DWORD src1_sel:BYTE_0
	v_lshlrev_b32_e32 v1, 2, v72
	v_and_or_b32 v0, v1, s30, v0
	v_lshlrev_b32_e32 v0, 2, v0
	global_load_dword v0, v0, s[20:21]
	v_dot4c_i32_i8_e32 v68, v80, v2
	v_lshrrev_b16_e32 v1, 8, v71
	v_lshlrev_b32_e32 v2, 1, v72
	v_and_or_b32 v1, v2, s30, v1
	v_lshlrev_b32_e32 v1, 2, v1
	global_load_dword v1, v1, s[20:21]
	v_lshrrev_b16_e32 v2, 8, v74
	v_bfe_u32 v69, v2, 3, 1
	v_lshlrev_b32_e32 v5, 5, v2
	v_lshrrev_b32_e32 v7, 1, v2
	v_cmp_ne_u16_e32 vcc, 0, v69
	v_lshlrev_b16_e32 v6, 7, v74
	v_bfe_i32 v7, v7, 0, 1
	v_lshrrev_b16_e32 v5, 7, v5
	v_cndmask_b32_e64 v69, 0, -1, vcc
	v_ashrrev_i16_e32 v6, 15, v6
	v_bfe_i32 v5, v5, 0, 1
	v_lshlrev_b16_e32 v7, 8, v7
	v_lshlrev_b16_e32 v69, 8, v69
	v_or_b32_sdwa v70, v6, v7 dst_sel:DWORD dst_unused:UNUSED_PAD src0_sel:BYTE_0 src1_sel:DWORD
	v_or_b32_sdwa v71, v5, v69 dst_sel:WORD_1 dst_unused:UNUSED_PAD src0_sel:BYTE_0 src1_sel:DWORD
	v_bfe_i32 v72, v2, 4, 1
	v_or_b32_sdwa v70, v70, v71 dst_sel:DWORD dst_unused:UNUSED_PAD src0_sel:WORD_0 src1_sel:DWORD
	v_lshlrev_b32_e32 v71, 1, v2
	v_lshrrev_b32_e32 v73, 5, v2
	v_lshrrev_b32_e32 v2, 7, v2
	v_lshlrev_b16_e32 v6, 8, v6
	v_cmp_ne_u16_e32 vcc, 0, v2
	v_bfe_i32 v73, v73, 0, 1
	v_lshrrev_b16_e32 v71, 7, v71
	v_cndmask_b32_e64 v2, 0, -1, vcc
	v_bfe_i32 v71, v71, 0, 1
	v_lshlrev_b16_e32 v73, 8, v73
	v_lshlrev_b16_e32 v2, 8, v2
	v_lshlrev_b16_e32 v5, 8, v5
	v_or_b32_sdwa v74, v72, v73 dst_sel:DWORD dst_unused:UNUSED_PAD src0_sel:BYTE_0 src1_sel:DWORD
	v_or_b32_sdwa v75, v71, v2 dst_sel:WORD_1 dst_unused:UNUSED_PAD src0_sel:BYTE_0 src1_sel:DWORD
	s_waitcnt vmcnt(1)
	v_xor_b32_e32 v0, v0, v70
	v_and_b32_e32 v70, 0xffffff00, v0
	v_sub_i16 v7, v70, v7 clamp
	v_lshlrev_b16_e32 v70, 8, v0
	v_and_b32_e32 v7, 0xffffff00, v7
	v_sub_i16 v6, v70, v6 clamp
	v_or_b32_sdwa v6, v6, v7 dst_sel:DWORD dst_unused:UNUSED_PAD src0_sel:BYTE_1 src1_sel:DWORD
	v_and_b32_sdwa v7, v0, s31 dst_sel:DWORD dst_unused:UNUSED_PAD src0_sel:WORD_1 src1_sel:DWORD
	v_sub_i16 v7, v7, v69 clamp
	v_lshlrev_b16_sdwa v0, v52, v0 dst_sel:DWORD dst_unused:UNUSED_PAD src0_sel:DWORD src1_sel:WORD_1
	v_and_b32_e32 v7, 0xffffff00, v7
	v_sub_i16 v0, v0, v5 clamp
	v_or_b32_sdwa v74, v74, v75 dst_sel:DWORD dst_unused:UNUSED_PAD src0_sel:WORD_0 src1_sel:DWORD
	v_or_b32_sdwa v0, v0, v7 dst_sel:WORD_1 dst_unused:UNUSED_PAD src0_sel:BYTE_1 src1_sel:DWORD
	s_nop 0
	v_or_b32_sdwa v81, v6, v0 dst_sel:DWORD dst_unused:UNUSED_PAD src0_sel:WORD_0 src1_sel:DWORD
	s_waitcnt vmcnt(0)
	v_xor_b32_e32 v0, v1, v74
	v_and_b32_e32 v1, 0xffffff00, v0
	v_sub_i16 v1, v1, v73 clamp
	v_lshlrev_b16_e32 v5, 8, v0
	v_lshlrev_b16_e32 v6, 8, v72
	v_and_b32_e32 v1, 0xffffff00, v1
	v_sub_i16 v5, v5, v6 clamp
	v_or_b32_sdwa v1, v5, v1 dst_sel:DWORD dst_unused:UNUSED_PAD src0_sel:BYTE_1 src1_sel:DWORD
	v_and_b32_sdwa v5, v0, s31 dst_sel:DWORD dst_unused:UNUSED_PAD src0_sel:WORD_1 src1_sel:DWORD
	v_sub_i16 v2, v5, v2 clamp
	v_lshlrev_b16_sdwa v0, v52, v0 dst_sel:DWORD dst_unused:UNUSED_PAD src0_sel:DWORD src1_sel:WORD_1
	v_lshlrev_b16_e32 v5, 8, v71
	v_and_b32_e32 v2, 0xffffff00, v2
	v_sub_i16 v0, v0, v5 clamp
	v_or_b32_sdwa v0, v0, v2 dst_sel:WORD_1 dst_unused:UNUSED_PAD src0_sel:BYTE_1 src1_sel:DWORD
	v_dot4c_i32_i8_e32 v68, v81, v3
	v_or_b32_sdwa v82, v1, v0 dst_sel:DWORD dst_unused:UNUSED_PAD src0_sel:WORD_0 src1_sel:DWORD
	global_load_ushort v0, v[30:31], off
	global_load_ubyte v1, v[28:29], off offset:106
	global_load_ubyte v2, v[32:33], off offset:106
	v_dot4c_i32_i8_e32 v68, v82, v8
	v_cvt_f32_f16_e32 v72, v67
	v_mov_b32_e32 v67, 0
	s_waitcnt vmcnt(2)
	v_cvt_f32_f16_e32 v73, v0
	s_waitcnt vmcnt(1)
	v_lshrrev_b32_e32 v1, v18, v1
	s_waitcnt vmcnt(0)
	v_lshrrev_b32_e32 v2, v13, v2
	v_lshlrev_b32_e32 v1, 1, v1
	v_lshlrev_b32_e32 v2, 1, v2
	v_and_or_b32 v83, v2, 30, 1
	v_and_or_b32 v85, v1, 30, 1
	v_mul_lo_u32 v1, v11, v85
	v_mul_lo_u32 v2, v68, v83
	v_cvt_f32_i32_e32 v7, v2
	v_cvt_f32_i32_e32 v6, v1
	scratch_load_dwordx4 v[0:3], off, off offset:16
	v_pk_mul_f32 v[4:5], v[4:5], v[72:73] op_sel_hi:[0,1]
	s_waitcnt vmcnt(0)
	v_pk_fma_f32 v[0:1], v[4:5], v[6:7], v[0:1]
	v_add_u32_e32 v4, s27, v51
	v_mad_u64_u32 v[4:5], s[34:35], v4, 36, s[24:25]
	v_mad_u64_u32 v[74:75], s[34:35], v14, 36, v[4:5]
	global_load_dword v11, v[74:75], off offset:32
	global_load_dwordx4 v[4:7], v[74:75], off offset:16
	global_load_dwordx4 v[68:71], v[74:75], off
	s_waitcnt vmcnt(0)
	v_dot4c_i32_i8_e32 v67, v9, v69
	v_mov_b32_e32 v9, 0
	v_dot4c_i32_i8_e32 v9, v77, v69
	v_dot4c_i32_i8_e32 v67, v10, v70
	;; [unrolled: 1-line block ×15, first 2 shown]
	v_cvt_f32_f16_e32 v8, v68
	s_nop 0
	v_mul_lo_u32 v6, v67, v85
	v_mul_lo_u32 v7, v9, v83
	v_cvt_f32_i32_e32 v7, v7
	v_cvt_f32_i32_e32 v6, v6
	v_pk_mul_f32 v[4:5], v[8:9], v[72:73] op_sel_hi:[0,1]
	v_pk_fma_f32 v[2:3], v[4:5], v[6:7], v[2:3]
	scratch_store_dwordx4 off, v[0:3], off offset:16
	s_nop 1
	v_add_u32_e32 v0, s26, v51
	v_mad_u64_u32 v[0:1], s[34:35], v0, 36, s[24:25]
	v_mad_u64_u32 v[10:11], s[34:35], v14, 36, v[0:1]
	global_load_dword v8, v[10:11], off offset:32
	global_load_dwordx4 v[0:3], v[10:11], off offset:16
	global_load_dwordx4 v[4:7], v[10:11], off
	global_load_ushort v9, v[42:43], off offset:2
	global_load_ushort v48, v[42:43], off offset:4
	;; [unrolled: 1-line block ×4, first 2 shown]
	global_load_ubyte v64, v[44:45], off offset:66
	global_load_ushort v65, v[46:47], off offset:74
	global_load_ushort v66, v[46:47], off offset:76
	s_waitcnt vmcnt(6)
	v_and_b32_sdwa v10, s29, v9 dst_sel:DWORD dst_unused:UNUSED_PAD src0_sel:DWORD src1_sel:BYTE_0
	v_lshrrev_b16_e32 v9, 8, v9
	s_waitcnt vmcnt(2)
	v_lshlrev_b32_e32 v11, 8, v64
	v_and_or_b32 v10, v11, s30, v10
	v_lshlrev_b32_e32 v10, 2, v10
	global_load_dword v10, v10, s[20:21]
	v_lshlrev_b32_e32 v11, 7, v64
	v_and_or_b32 v9, v11, s30, v9
	v_lshlrev_b32_e32 v9, 2, v9
	global_load_dword v11, v9, s[20:21]
	s_waitcnt vmcnt(3)
	v_and_b32_sdwa v9, s29, v65 dst_sel:DWORD dst_unused:UNUSED_PAD src0_sel:DWORD src1_sel:BYTE_0
	v_bfe_u32 v70, v9, 3, 1
	v_lshlrev_b32_e32 v67, 5, v9
	v_lshrrev_b32_e32 v69, 1, v9
	v_cmp_ne_u16_e32 vcc, 0, v70
	v_and_b32_e32 v68, 1, v65
	v_bfe_i32 v69, v69, 0, 1
	v_lshrrev_b16_e32 v67, 7, v67
	v_cndmask_b32_e64 v70, 0, -1, vcc
	v_sub_u16_e32 v68, 0, v68
	v_bfe_i32 v67, v67, 0, 1
	v_lshlrev_b16_e32 v69, 8, v69
	v_lshlrev_b16_e32 v70, 8, v70
	v_or_b32_sdwa v71, v68, v69 dst_sel:DWORD dst_unused:UNUSED_PAD src0_sel:BYTE_0 src1_sel:DWORD
	v_or_b32_sdwa v72, v67, v70 dst_sel:WORD_1 dst_unused:UNUSED_PAD src0_sel:BYTE_0 src1_sel:DWORD
	v_bfe_i32 v73, v9, 4, 1
	v_or_b32_sdwa v71, v71, v72 dst_sel:DWORD dst_unused:UNUSED_PAD src0_sel:WORD_0 src1_sel:DWORD
	v_lshlrev_b32_e32 v72, 1, v9
	v_lshrrev_b32_e32 v74, 5, v9
	v_lshrrev_b32_e32 v9, 7, v9
	v_cmp_ne_u16_e32 vcc, 0, v9
	v_bfe_i32 v74, v74, 0, 1
	v_lshrrev_b16_e32 v72, 7, v72
	v_cndmask_b32_e64 v9, 0, -1, vcc
	v_bfe_i32 v72, v72, 0, 1
	v_lshlrev_b16_e32 v74, 8, v74
	v_lshlrev_b16_e32 v76, 8, v9
	v_or_b32_sdwa v75, v73, v74 dst_sel:DWORD dst_unused:UNUSED_PAD src0_sel:BYTE_0 src1_sel:DWORD
	v_or_b32_sdwa v9, v72, v76 dst_sel:WORD_1 dst_unused:UNUSED_PAD src0_sel:BYTE_0 src1_sel:DWORD
	v_lshlrev_b16_e32 v68, 8, v68
	v_or_b32_sdwa v75, v75, v9 dst_sel:DWORD dst_unused:UNUSED_PAD src0_sel:WORD_0 src1_sel:DWORD
	v_lshlrev_b16_e32 v67, 8, v67
	v_cvt_f32_f16_e32 v4, v4
	s_waitcnt vmcnt(1)
	v_xor_b32_e32 v9, v10, v71
	v_and_b32_e32 v10, 0xffffff00, v9
	v_sub_i16 v10, v10, v69 clamp
	v_lshlrev_b16_e32 v69, 8, v9
	v_and_b32_e32 v10, 0xffffff00, v10
	v_sub_i16 v68, v69, v68 clamp
	v_or_b32_sdwa v10, v68, v10 dst_sel:DWORD dst_unused:UNUSED_PAD src0_sel:BYTE_1 src1_sel:DWORD
	v_and_b32_sdwa v68, v9, s31 dst_sel:DWORD dst_unused:UNUSED_PAD src0_sel:WORD_1 src1_sel:DWORD
	v_sub_i16 v68, v68, v70 clamp
	v_lshlrev_b16_sdwa v9, v52, v9 dst_sel:DWORD dst_unused:UNUSED_PAD src0_sel:DWORD src1_sel:WORD_1
	v_and_b32_e32 v68, 0xffffff00, v68
	v_sub_i16 v9, v9, v67 clamp
	v_or_b32_sdwa v9, v9, v68 dst_sel:WORD_1 dst_unused:UNUSED_PAD src0_sel:BYTE_1 src1_sel:DWORD
	v_lshlrev_b16_e32 v68, 8, v73
	v_or_b32_sdwa v9, v10, v9 dst_sel:DWORD dst_unused:UNUSED_PAD src0_sel:WORD_0 src1_sel:DWORD
	s_waitcnt vmcnt(0)
	v_xor_b32_e32 v10, v11, v75
	v_and_b32_e32 v11, 0xffffff00, v10
	v_sub_i16 v11, v11, v74 clamp
	v_lshlrev_b16_e32 v67, 8, v10
	v_and_b32_e32 v11, 0xffffff00, v11
	v_sub_i16 v67, v67, v68 clamp
	v_or_b32_sdwa v11, v67, v11 dst_sel:DWORD dst_unused:UNUSED_PAD src0_sel:BYTE_1 src1_sel:DWORD
	v_and_b32_sdwa v67, v10, s31 dst_sel:DWORD dst_unused:UNUSED_PAD src0_sel:WORD_1 src1_sel:DWORD
	v_sub_i16 v67, v67, v76 clamp
	v_lshlrev_b16_sdwa v10, v52, v10 dst_sel:DWORD dst_unused:UNUSED_PAD src0_sel:DWORD src1_sel:WORD_1
	v_lshlrev_b16_e32 v68, 8, v72
	v_and_b32_e32 v67, 0xffffff00, v67
	v_sub_i16 v10, v10, v68 clamp
	v_or_b32_sdwa v10, v10, v67 dst_sel:WORD_1 dst_unused:UNUSED_PAD src0_sel:BYTE_1 src1_sel:DWORD
	v_and_b32_sdwa v67, s29, v48 dst_sel:DWORD dst_unused:UNUSED_PAD src0_sel:DWORD src1_sel:BYTE_0
	v_lshlrev_b32_e32 v68, 6, v64
	v_and_or_b32 v67, v68, s30, v67
	v_lshlrev_b32_e32 v67, 2, v67
	global_load_dword v67, v67, s[20:21]
	v_lshrrev_b16_e32 v48, 8, v48
	v_lshlrev_b32_e32 v68, 5, v64
	v_and_or_b32 v48, v68, s30, v48
	v_lshlrev_b32_e32 v48, 2, v48
	global_load_dword v48, v48, s[20:21]
	v_lshrrev_b16_e32 v68, 8, v65
	v_bfe_u32 v71, v68, 3, 1
	v_lshlrev_b32_e32 v69, 5, v68
	v_lshrrev_b32_e32 v70, 1, v68
	v_cmp_ne_u16_e32 vcc, 0, v71
	v_lshlrev_b16_e32 v65, 7, v65
	v_bfe_i32 v70, v70, 0, 1
	v_lshrrev_b16_e32 v69, 7, v69
	v_cndmask_b32_e64 v71, 0, -1, vcc
	v_ashrrev_i16_e32 v65, 15, v65
	v_bfe_i32 v69, v69, 0, 1
	v_lshlrev_b16_e32 v70, 8, v70
	v_lshlrev_b16_e32 v71, 8, v71
	v_or_b32_sdwa v72, v65, v70 dst_sel:DWORD dst_unused:UNUSED_PAD src0_sel:BYTE_0 src1_sel:DWORD
	v_or_b32_sdwa v73, v69, v71 dst_sel:WORD_1 dst_unused:UNUSED_PAD src0_sel:BYTE_0 src1_sel:DWORD
	v_bfe_i32 v74, v68, 4, 1
	v_or_b32_sdwa v72, v72, v73 dst_sel:DWORD dst_unused:UNUSED_PAD src0_sel:WORD_0 src1_sel:DWORD
	v_lshlrev_b32_e32 v73, 1, v68
	v_lshrrev_b32_e32 v75, 5, v68
	v_lshrrev_b32_e32 v68, 7, v68
	v_cmp_ne_u16_e32 vcc, 0, v68
	v_lshlrev_b16_e32 v65, 8, v65
	v_bfe_i32 v75, v75, 0, 1
	v_lshrrev_b16_e32 v73, 7, v73
	v_cndmask_b32_e64 v68, 0, -1, vcc
	v_bfe_i32 v73, v73, 0, 1
	v_lshlrev_b16_e32 v75, 8, v75
	v_lshlrev_b16_e32 v68, 8, v68
	v_or_b32_sdwa v76, v74, v75 dst_sel:DWORD dst_unused:UNUSED_PAD src0_sel:BYTE_0 src1_sel:DWORD
	v_or_b32_sdwa v77, v73, v68 dst_sel:WORD_1 dst_unused:UNUSED_PAD src0_sel:BYTE_0 src1_sel:DWORD
	v_lshlrev_b16_e32 v69, 8, v69
	v_or_b32_sdwa v76, v76, v77 dst_sel:DWORD dst_unused:UNUSED_PAD src0_sel:WORD_0 src1_sel:DWORD
	v_or_b32_sdwa v10, v11, v10 dst_sel:DWORD dst_unused:UNUSED_PAD src0_sel:WORD_0 src1_sel:DWORD
	v_mov_b32_e32 v11, 0
	v_dot4c_i32_i8_e32 v11, v9, v5
	v_dot4c_i32_i8_e32 v11, v10, v6
	s_waitcnt vmcnt(1)
	v_xor_b32_e32 v67, v67, v72
	v_and_b32_e32 v72, 0xffffff00, v67
	v_sub_i16 v70, v72, v70 clamp
	v_lshlrev_b16_e32 v72, 8, v67
	v_and_b32_e32 v70, 0xffffff00, v70
	v_sub_i16 v65, v72, v65 clamp
	v_or_b32_sdwa v65, v65, v70 dst_sel:DWORD dst_unused:UNUSED_PAD src0_sel:BYTE_1 src1_sel:DWORD
	v_and_b32_sdwa v70, v67, s31 dst_sel:DWORD dst_unused:UNUSED_PAD src0_sel:WORD_1 src1_sel:DWORD
	v_sub_i16 v70, v70, v71 clamp
	v_lshlrev_b16_sdwa v67, v52, v67 dst_sel:DWORD dst_unused:UNUSED_PAD src0_sel:DWORD src1_sel:WORD_1
	v_and_b32_e32 v70, 0xffffff00, v70
	v_sub_i16 v67, v67, v69 clamp
	v_or_b32_sdwa v67, v67, v70 dst_sel:WORD_1 dst_unused:UNUSED_PAD src0_sel:BYTE_1 src1_sel:DWORD
	s_waitcnt vmcnt(0)
	v_xor_b32_e32 v48, v48, v76
	v_or_b32_sdwa v70, v65, v67 dst_sel:DWORD dst_unused:UNUSED_PAD src0_sel:WORD_0 src1_sel:DWORD
	v_and_b32_e32 v65, 0xffffff00, v48
	v_sub_i16 v65, v65, v75 clamp
	v_lshlrev_b16_e32 v67, 8, v48
	v_lshlrev_b16_e32 v69, 8, v74
	v_and_b32_e32 v65, 0xffffff00, v65
	v_sub_i16 v67, v67, v69 clamp
	v_or_b32_sdwa v65, v67, v65 dst_sel:DWORD dst_unused:UNUSED_PAD src0_sel:BYTE_1 src1_sel:DWORD
	v_and_b32_sdwa v67, v48, s31 dst_sel:DWORD dst_unused:UNUSED_PAD src0_sel:WORD_1 src1_sel:DWORD
	v_sub_i16 v67, v67, v68 clamp
	v_lshlrev_b16_sdwa v48, v52, v48 dst_sel:DWORD dst_unused:UNUSED_PAD src0_sel:DWORD src1_sel:WORD_1
	v_lshlrev_b16_e32 v68, 8, v73
	v_and_b32_e32 v67, 0xffffff00, v67
	v_sub_i16 v48, v48, v68 clamp
	v_or_b32_sdwa v48, v48, v67 dst_sel:WORD_1 dst_unused:UNUSED_PAD src0_sel:BYTE_1 src1_sel:DWORD
	v_and_b32_e32 v68, 1, v66
	v_or_b32_sdwa v71, v65, v48 dst_sel:DWORD dst_unused:UNUSED_PAD src0_sel:WORD_0 src1_sel:DWORD
	v_and_b32_sdwa v48, s29, v49 dst_sel:DWORD dst_unused:UNUSED_PAD src0_sel:DWORD src1_sel:BYTE_0
	v_lshlrev_b32_e32 v65, 4, v64
	v_and_or_b32 v48, v65, s30, v48
	v_lshlrev_b32_e32 v48, 2, v48
	global_load_dword v48, v48, s[20:21]
	v_lshrrev_b16_e32 v49, 8, v49
	v_lshlrev_b32_e32 v65, 3, v64
	v_and_or_b32 v49, v65, s30, v49
	v_lshlrev_b32_e32 v49, 2, v49
	global_load_dword v49, v49, s[20:21]
	v_and_b32_sdwa v65, s29, v66 dst_sel:DWORD dst_unused:UNUSED_PAD src0_sel:DWORD src1_sel:BYTE_0
	v_bfe_u32 v72, v65, 3, 1
	v_lshlrev_b32_e32 v67, 5, v65
	v_lshrrev_b32_e32 v69, 1, v65
	v_cmp_ne_u16_e32 vcc, 0, v72
	v_bfe_i32 v69, v69, 0, 1
	v_lshrrev_b16_e32 v67, 7, v67
	v_cndmask_b32_e64 v72, 0, -1, vcc
	v_sub_u16_e32 v68, 0, v68
	v_bfe_i32 v67, v67, 0, 1
	v_lshlrev_b16_e32 v69, 8, v69
	v_lshlrev_b16_e32 v72, 8, v72
	v_or_b32_sdwa v73, v68, v69 dst_sel:DWORD dst_unused:UNUSED_PAD src0_sel:BYTE_0 src1_sel:DWORD
	v_or_b32_sdwa v74, v67, v72 dst_sel:WORD_1 dst_unused:UNUSED_PAD src0_sel:BYTE_0 src1_sel:DWORD
	v_bfe_i32 v75, v65, 4, 1
	v_or_b32_sdwa v73, v73, v74 dst_sel:DWORD dst_unused:UNUSED_PAD src0_sel:WORD_0 src1_sel:DWORD
	v_lshlrev_b32_e32 v74, 1, v65
	v_lshrrev_b32_e32 v76, 5, v65
	v_lshrrev_b32_e32 v65, 7, v65
	v_lshlrev_b16_e32 v68, 8, v68
	v_cmp_ne_u16_e32 vcc, 0, v65
	v_bfe_i32 v76, v76, 0, 1
	v_lshrrev_b16_e32 v74, 7, v74
	v_cndmask_b32_e64 v65, 0, -1, vcc
	v_bfe_i32 v74, v74, 0, 1
	v_lshlrev_b16_e32 v76, 8, v76
	v_lshlrev_b16_e32 v65, 8, v65
	v_lshlrev_b16_e32 v67, 8, v67
	v_or_b32_sdwa v77, v75, v76 dst_sel:DWORD dst_unused:UNUSED_PAD src0_sel:BYTE_0 src1_sel:DWORD
	v_or_b32_sdwa v78, v74, v65 dst_sel:WORD_1 dst_unused:UNUSED_PAD src0_sel:BYTE_0 src1_sel:DWORD
	v_dot4c_i32_i8_e32 v11, v70, v7
	v_or_b32_sdwa v77, v77, v78 dst_sel:DWORD dst_unused:UNUSED_PAD src0_sel:WORD_0 src1_sel:DWORD
	v_dot4c_i32_i8_e32 v11, v71, v0
	s_waitcnt vmcnt(1)
	v_xor_b32_e32 v48, v48, v73
	v_and_b32_e32 v73, 0xffffff00, v48
	v_sub_i16 v69, v73, v69 clamp
	v_lshlrev_b16_e32 v73, 8, v48
	v_and_b32_e32 v69, 0xffffff00, v69
	v_sub_i16 v68, v73, v68 clamp
	v_or_b32_sdwa v68, v68, v69 dst_sel:DWORD dst_unused:UNUSED_PAD src0_sel:BYTE_1 src1_sel:DWORD
	v_and_b32_sdwa v69, v48, s31 dst_sel:DWORD dst_unused:UNUSED_PAD src0_sel:WORD_1 src1_sel:DWORD
	v_sub_i16 v69, v69, v72 clamp
	v_lshlrev_b16_sdwa v48, v52, v48 dst_sel:DWORD dst_unused:UNUSED_PAD src0_sel:DWORD src1_sel:WORD_1
	v_and_b32_e32 v69, 0xffffff00, v69
	v_sub_i16 v48, v48, v67 clamp
	v_or_b32_sdwa v48, v48, v69 dst_sel:WORD_1 dst_unused:UNUSED_PAD src0_sel:BYTE_1 src1_sel:DWORD
	s_nop 0
	v_or_b32_sdwa v72, v68, v48 dst_sel:DWORD dst_unused:UNUSED_PAD src0_sel:WORD_0 src1_sel:DWORD
	s_waitcnt vmcnt(0)
	v_xor_b32_e32 v48, v49, v77
	v_and_b32_e32 v49, 0xffffff00, v48
	v_sub_i16 v49, v49, v76 clamp
	v_lshlrev_b16_e32 v67, 8, v48
	v_lshlrev_b16_e32 v68, 8, v75
	v_and_b32_e32 v49, 0xffffff00, v49
	v_sub_i16 v67, v67, v68 clamp
	v_or_b32_sdwa v49, v67, v49 dst_sel:DWORD dst_unused:UNUSED_PAD src0_sel:BYTE_1 src1_sel:DWORD
	v_and_b32_sdwa v67, v48, s31 dst_sel:DWORD dst_unused:UNUSED_PAD src0_sel:WORD_1 src1_sel:DWORD
	v_sub_i16 v65, v67, v65 clamp
	v_lshlrev_b16_sdwa v48, v52, v48 dst_sel:DWORD dst_unused:UNUSED_PAD src0_sel:DWORD src1_sel:WORD_1
	v_lshlrev_b16_e32 v67, 8, v74
	v_and_b32_e32 v65, 0xffffff00, v65
	v_sub_i16 v48, v48, v67 clamp
	v_or_b32_sdwa v48, v48, v65 dst_sel:WORD_1 dst_unused:UNUSED_PAD src0_sel:BYTE_1 src1_sel:DWORD
	v_lshlrev_b16_e32 v65, 7, v66
	v_or_b32_sdwa v73, v49, v48 dst_sel:DWORD dst_unused:UNUSED_PAD src0_sel:WORD_0 src1_sel:DWORD
	v_and_b32_sdwa v48, s29, v63 dst_sel:DWORD dst_unused:UNUSED_PAD src0_sel:DWORD src1_sel:BYTE_0
	v_lshlrev_b32_e32 v49, 2, v64
	v_and_or_b32 v48, v49, s30, v48
	v_lshlrev_b32_e32 v48, 2, v48
	global_load_dword v48, v48, s[20:21]
	v_lshrrev_b16_e32 v49, 8, v63
	v_lshlrev_b32_e32 v63, 1, v64
	v_and_or_b32 v49, v63, s30, v49
	v_lshlrev_b32_e32 v49, 2, v49
	global_load_dword v49, v49, s[20:21]
	v_lshrrev_b16_e32 v63, 8, v66
	v_bfe_u32 v67, v63, 3, 1
	v_lshlrev_b32_e32 v64, 5, v63
	v_lshrrev_b32_e32 v66, 1, v63
	v_cmp_ne_u16_e32 vcc, 0, v67
	v_bfe_i32 v66, v66, 0, 1
	v_lshrrev_b16_e32 v64, 7, v64
	v_cndmask_b32_e64 v67, 0, -1, vcc
	v_ashrrev_i16_e32 v65, 15, v65
	v_bfe_i32 v64, v64, 0, 1
	v_lshlrev_b16_e32 v66, 8, v66
	v_lshlrev_b16_e32 v67, 8, v67
	v_or_b32_sdwa v68, v65, v66 dst_sel:DWORD dst_unused:UNUSED_PAD src0_sel:BYTE_0 src1_sel:DWORD
	v_or_b32_sdwa v69, v64, v67 dst_sel:WORD_1 dst_unused:UNUSED_PAD src0_sel:BYTE_0 src1_sel:DWORD
	v_bfe_i32 v74, v63, 4, 1
	v_or_b32_sdwa v68, v68, v69 dst_sel:DWORD dst_unused:UNUSED_PAD src0_sel:WORD_0 src1_sel:DWORD
	v_lshlrev_b32_e32 v69, 1, v63
	v_lshrrev_b32_e32 v75, 5, v63
	v_lshrrev_b32_e32 v63, 7, v63
	v_lshlrev_b16_e32 v65, 8, v65
	v_cmp_ne_u16_e32 vcc, 0, v63
	v_bfe_i32 v75, v75, 0, 1
	v_lshrrev_b16_e32 v69, 7, v69
	v_cndmask_b32_e64 v63, 0, -1, vcc
	v_bfe_i32 v69, v69, 0, 1
	v_lshlrev_b16_e32 v75, 8, v75
	v_lshlrev_b16_e32 v63, 8, v63
	;; [unrolled: 1-line block ×3, first 2 shown]
	v_or_b32_sdwa v76, v74, v75 dst_sel:DWORD dst_unused:UNUSED_PAD src0_sel:BYTE_0 src1_sel:DWORD
	v_or_b32_sdwa v77, v69, v63 dst_sel:WORD_1 dst_unused:UNUSED_PAD src0_sel:BYTE_0 src1_sel:DWORD
	v_dot4c_i32_i8_e32 v11, v72, v1
	v_or_b32_sdwa v76, v76, v77 dst_sel:DWORD dst_unused:UNUSED_PAD src0_sel:WORD_0 src1_sel:DWORD
	v_dot4c_i32_i8_e32 v11, v73, v2
	s_waitcnt vmcnt(1)
	v_xor_b32_e32 v48, v48, v68
	v_and_b32_e32 v68, 0xffffff00, v48
	v_sub_i16 v66, v68, v66 clamp
	v_lshlrev_b16_e32 v68, 8, v48
	v_and_b32_e32 v66, 0xffffff00, v66
	v_sub_i16 v65, v68, v65 clamp
	v_or_b32_sdwa v65, v65, v66 dst_sel:DWORD dst_unused:UNUSED_PAD src0_sel:BYTE_1 src1_sel:DWORD
	v_and_b32_sdwa v66, v48, s31 dst_sel:DWORD dst_unused:UNUSED_PAD src0_sel:WORD_1 src1_sel:DWORD
	v_sub_i16 v66, v66, v67 clamp
	v_lshlrev_b16_sdwa v48, v52, v48 dst_sel:DWORD dst_unused:UNUSED_PAD src0_sel:DWORD src1_sel:WORD_1
	v_and_b32_e32 v66, 0xffffff00, v66
	v_sub_i16 v48, v48, v64 clamp
	v_or_b32_sdwa v48, v48, v66 dst_sel:WORD_1 dst_unused:UNUSED_PAD src0_sel:BYTE_1 src1_sel:DWORD
	s_nop 0
	v_or_b32_sdwa v77, v65, v48 dst_sel:DWORD dst_unused:UNUSED_PAD src0_sel:WORD_0 src1_sel:DWORD
	s_waitcnt vmcnt(0)
	v_xor_b32_e32 v48, v49, v76
	v_and_b32_e32 v49, 0xffffff00, v48
	v_sub_i16 v49, v49, v75 clamp
	v_lshlrev_b16_e32 v64, 8, v48
	v_lshlrev_b16_e32 v65, 8, v74
	v_and_b32_e32 v49, 0xffffff00, v49
	v_sub_i16 v64, v64, v65 clamp
	v_or_b32_sdwa v49, v64, v49 dst_sel:DWORD dst_unused:UNUSED_PAD src0_sel:BYTE_1 src1_sel:DWORD
	v_and_b32_sdwa v64, v48, s31 dst_sel:DWORD dst_unused:UNUSED_PAD src0_sel:WORD_1 src1_sel:DWORD
	v_sub_i16 v63, v64, v63 clamp
	v_lshlrev_b16_sdwa v48, v52, v48 dst_sel:DWORD dst_unused:UNUSED_PAD src0_sel:DWORD src1_sel:WORD_1
	v_lshlrev_b16_e32 v64, 8, v69
	v_and_b32_e32 v63, 0xffffff00, v63
	v_sub_i16 v48, v48, v64 clamp
	v_or_b32_sdwa v48, v48, v63 dst_sel:WORD_1 dst_unused:UNUSED_PAD src0_sel:BYTE_1 src1_sel:DWORD
	v_dot4c_i32_i8_e32 v11, v77, v3
	v_or_b32_sdwa v63, v49, v48 dst_sel:DWORD dst_unused:UNUSED_PAD src0_sel:WORD_0 src1_sel:DWORD
	global_load_ushort v48, v[34:35], off
	global_load_ushort v49, v[36:37], off offset:2
	global_load_ushort v64, v[36:37], off offset:4
	;; [unrolled: 1-line block ×4, first 2 shown]
	global_load_ubyte v67, v[38:39], off offset:66
	global_load_ushort v68, v[40:41], off offset:74
	global_load_ushort v69, v[40:41], off offset:76
	v_dot4c_i32_i8_e32 v11, v63, v8
	s_waitcnt vmcnt(7)
	v_cvt_f32_f16_e32 v48, v48
	s_waitcnt vmcnt(6)
	v_and_b32_sdwa v74, s29, v49 dst_sel:DWORD dst_unused:UNUSED_PAD src0_sel:DWORD src1_sel:BYTE_0
	v_lshrrev_b16_e32 v49, 8, v49
	s_waitcnt vmcnt(2)
	v_lshlrev_b32_e32 v75, 8, v67
	v_and_or_b32 v74, v75, s30, v74
	v_lshlrev_b32_e32 v74, 2, v74
	global_load_dword v74, v74, s[20:21]
	v_lshlrev_b32_e32 v75, 7, v67
	v_and_or_b32 v49, v75, s30, v49
	v_lshlrev_b32_e32 v49, 2, v49
	global_load_dword v49, v49, s[20:21]
	s_waitcnt vmcnt(3)
	v_and_b32_sdwa v75, s29, v68 dst_sel:DWORD dst_unused:UNUSED_PAD src0_sel:DWORD src1_sel:BYTE_0
	v_bfe_u32 v80, v75, 3, 1
	v_lshlrev_b32_e32 v76, 5, v75
	v_lshrrev_b32_e32 v79, 1, v75
	v_cmp_ne_u16_e32 vcc, 0, v80
	v_and_b32_e32 v78, 1, v68
	v_bfe_i32 v79, v79, 0, 1
	v_lshrrev_b16_e32 v76, 7, v76
	v_cndmask_b32_e64 v80, 0, -1, vcc
	v_sub_u16_e32 v78, 0, v78
	v_bfe_i32 v76, v76, 0, 1
	v_lshlrev_b16_e32 v79, 8, v79
	v_lshlrev_b16_e32 v80, 8, v80
	v_or_b32_sdwa v81, v78, v79 dst_sel:DWORD dst_unused:UNUSED_PAD src0_sel:BYTE_0 src1_sel:DWORD
	v_or_b32_sdwa v82, v76, v80 dst_sel:WORD_1 dst_unused:UNUSED_PAD src0_sel:BYTE_0 src1_sel:DWORD
	v_bfe_i32 v83, v75, 4, 1
	v_or_b32_sdwa v81, v81, v82 dst_sel:DWORD dst_unused:UNUSED_PAD src0_sel:WORD_0 src1_sel:DWORD
	v_lshlrev_b32_e32 v82, 1, v75
	v_lshrrev_b32_e32 v84, 5, v75
	v_lshrrev_b32_e32 v75, 7, v75
	v_cmp_ne_u16_e32 vcc, 0, v75
	v_bfe_i32 v84, v84, 0, 1
	v_lshrrev_b16_e32 v82, 7, v82
	v_cndmask_b32_e64 v75, 0, -1, vcc
	v_lshlrev_b16_e32 v78, 8, v78
	v_bfe_i32 v82, v82, 0, 1
	v_lshlrev_b16_e32 v84, 8, v84
	v_lshlrev_b16_e32 v75, 8, v75
	v_or_b32_sdwa v85, v83, v84 dst_sel:DWORD dst_unused:UNUSED_PAD src0_sel:BYTE_0 src1_sel:DWORD
	v_or_b32_sdwa v86, v82, v75 dst_sel:WORD_1 dst_unused:UNUSED_PAD src0_sel:BYTE_0 src1_sel:DWORD
	v_lshlrev_b16_e32 v76, 8, v76
	v_or_b32_sdwa v85, v85, v86 dst_sel:DWORD dst_unused:UNUSED_PAD src0_sel:WORD_0 src1_sel:DWORD
	s_waitcnt vmcnt(1)
	v_xor_b32_e32 v74, v74, v81
	v_and_b32_e32 v81, 0xffffff00, v74
	v_sub_i16 v79, v81, v79 clamp
	v_lshlrev_b16_e32 v81, 8, v74
	v_and_b32_e32 v79, 0xffffff00, v79
	v_sub_i16 v78, v81, v78 clamp
	v_or_b32_sdwa v78, v78, v79 dst_sel:DWORD dst_unused:UNUSED_PAD src0_sel:BYTE_1 src1_sel:DWORD
	v_and_b32_sdwa v79, v74, s31 dst_sel:DWORD dst_unused:UNUSED_PAD src0_sel:WORD_1 src1_sel:DWORD
	v_sub_i16 v79, v79, v80 clamp
	v_lshlrev_b16_sdwa v74, v52, v74 dst_sel:DWORD dst_unused:UNUSED_PAD src0_sel:DWORD src1_sel:WORD_1
	v_and_b32_e32 v79, 0xffffff00, v79
	v_sub_i16 v74, v74, v76 clamp
	s_waitcnt vmcnt(0)
	v_xor_b32_e32 v49, v49, v85
	v_or_b32_sdwa v74, v74, v79 dst_sel:WORD_1 dst_unused:UNUSED_PAD src0_sel:BYTE_1 src1_sel:DWORD
	v_and_b32_e32 v76, 0xffffff00, v49
	v_or_b32_sdwa v74, v78, v74 dst_sel:DWORD dst_unused:UNUSED_PAD src0_sel:WORD_0 src1_sel:DWORD
	v_sub_i16 v76, v76, v84 clamp
	v_lshlrev_b16_e32 v78, 8, v49
	v_lshlrev_b16_e32 v79, 8, v83
	v_and_b32_e32 v76, 0xffffff00, v76
	v_sub_i16 v78, v78, v79 clamp
	v_or_b32_sdwa v76, v78, v76 dst_sel:DWORD dst_unused:UNUSED_PAD src0_sel:BYTE_1 src1_sel:DWORD
	v_and_b32_sdwa v78, v49, s31 dst_sel:DWORD dst_unused:UNUSED_PAD src0_sel:WORD_1 src1_sel:DWORD
	v_sub_i16 v75, v78, v75 clamp
	v_lshlrev_b16_sdwa v49, v52, v49 dst_sel:DWORD dst_unused:UNUSED_PAD src0_sel:DWORD src1_sel:WORD_1
	v_lshlrev_b16_e32 v78, 8, v82
	v_and_b32_e32 v75, 0xffffff00, v75
	v_sub_i16 v49, v49, v78 clamp
	v_or_b32_sdwa v49, v49, v75 dst_sel:WORD_1 dst_unused:UNUSED_PAD src0_sel:BYTE_1 src1_sel:DWORD
	s_nop 0
	v_or_b32_sdwa v75, v76, v49 dst_sel:DWORD dst_unused:UNUSED_PAD src0_sel:WORD_0 src1_sel:DWORD
	v_mov_b32_e32 v49, 0
	v_dot4c_i32_i8_e32 v49, v74, v5
	v_dot4c_i32_i8_e32 v49, v75, v6
	v_and_b32_sdwa v5, s29, v64 dst_sel:DWORD dst_unused:UNUSED_PAD src0_sel:DWORD src1_sel:BYTE_0
	v_lshlrev_b32_e32 v6, 6, v67
	v_and_or_b32 v5, v6, s30, v5
	v_lshlrev_b32_e32 v5, 2, v5
	global_load_dword v5, v5, s[20:21]
	v_lshrrev_b16_e32 v6, 8, v64
	v_lshlrev_b32_e32 v64, 5, v67
	v_and_or_b32 v6, v64, s30, v6
	v_lshlrev_b32_e32 v6, 2, v6
	global_load_dword v6, v6, s[20:21]
	v_lshrrev_b16_e32 v64, 8, v68
	v_bfe_u32 v79, v64, 3, 1
	v_lshlrev_b32_e32 v76, 5, v64
	v_lshrrev_b32_e32 v78, 1, v64
	v_cmp_ne_u16_e32 vcc, 0, v79
	v_lshlrev_b16_e32 v68, 7, v68
	v_bfe_i32 v78, v78, 0, 1
	v_lshrrev_b16_e32 v76, 7, v76
	v_cndmask_b32_e64 v79, 0, -1, vcc
	v_ashrrev_i16_e32 v68, 15, v68
	v_bfe_i32 v76, v76, 0, 1
	v_lshlrev_b16_e32 v78, 8, v78
	v_lshlrev_b16_e32 v79, 8, v79
	v_or_b32_sdwa v80, v68, v78 dst_sel:DWORD dst_unused:UNUSED_PAD src0_sel:BYTE_0 src1_sel:DWORD
	v_or_b32_sdwa v81, v76, v79 dst_sel:WORD_1 dst_unused:UNUSED_PAD src0_sel:BYTE_0 src1_sel:DWORD
	v_bfe_i32 v82, v64, 4, 1
	v_or_b32_sdwa v80, v80, v81 dst_sel:DWORD dst_unused:UNUSED_PAD src0_sel:WORD_0 src1_sel:DWORD
	v_lshlrev_b32_e32 v81, 1, v64
	v_lshrrev_b32_e32 v83, 5, v64
	v_lshrrev_b32_e32 v64, 7, v64
	v_lshlrev_b16_e32 v68, 8, v68
	v_cmp_ne_u16_e32 vcc, 0, v64
	v_bfe_i32 v83, v83, 0, 1
	v_lshrrev_b16_e32 v81, 7, v81
	v_cndmask_b32_e64 v64, 0, -1, vcc
	v_bfe_i32 v81, v81, 0, 1
	v_lshlrev_b16_e32 v83, 8, v83
	v_lshlrev_b16_e32 v64, 8, v64
	;; [unrolled: 1-line block ×3, first 2 shown]
	v_or_b32_sdwa v84, v82, v83 dst_sel:DWORD dst_unused:UNUSED_PAD src0_sel:BYTE_0 src1_sel:DWORD
	v_or_b32_sdwa v85, v81, v64 dst_sel:WORD_1 dst_unused:UNUSED_PAD src0_sel:BYTE_0 src1_sel:DWORD
	s_waitcnt vmcnt(1)
	v_xor_b32_e32 v5, v5, v80
	v_and_b32_e32 v80, 0xffffff00, v5
	v_sub_i16 v78, v80, v78 clamp
	v_lshlrev_b16_e32 v80, 8, v5
	v_and_b32_e32 v78, 0xffffff00, v78
	v_sub_i16 v68, v80, v68 clamp
	v_or_b32_sdwa v68, v68, v78 dst_sel:DWORD dst_unused:UNUSED_PAD src0_sel:BYTE_1 src1_sel:DWORD
	v_and_b32_sdwa v78, v5, s31 dst_sel:DWORD dst_unused:UNUSED_PAD src0_sel:WORD_1 src1_sel:DWORD
	v_sub_i16 v78, v78, v79 clamp
	v_lshlrev_b16_sdwa v5, v52, v5 dst_sel:DWORD dst_unused:UNUSED_PAD src0_sel:DWORD src1_sel:WORD_1
	v_and_b32_e32 v78, 0xffffff00, v78
	v_sub_i16 v5, v5, v76 clamp
	v_or_b32_sdwa v84, v84, v85 dst_sel:DWORD dst_unused:UNUSED_PAD src0_sel:WORD_0 src1_sel:DWORD
	v_or_b32_sdwa v5, v5, v78 dst_sel:WORD_1 dst_unused:UNUSED_PAD src0_sel:BYTE_1 src1_sel:DWORD
	v_lshlrev_b16_e32 v78, 8, v82
	v_or_b32_sdwa v76, v68, v5 dst_sel:DWORD dst_unused:UNUSED_PAD src0_sel:WORD_0 src1_sel:DWORD
	s_waitcnt vmcnt(0)
	v_xor_b32_e32 v5, v6, v84
	v_and_b32_e32 v6, 0xffffff00, v5
	v_sub_i16 v6, v6, v83 clamp
	v_lshlrev_b16_e32 v68, 8, v5
	v_and_b32_e32 v6, 0xffffff00, v6
	v_sub_i16 v68, v68, v78 clamp
	v_or_b32_sdwa v6, v68, v6 dst_sel:DWORD dst_unused:UNUSED_PAD src0_sel:BYTE_1 src1_sel:DWORD
	v_and_b32_sdwa v68, v5, s31 dst_sel:DWORD dst_unused:UNUSED_PAD src0_sel:WORD_1 src1_sel:DWORD
	v_sub_i16 v64, v68, v64 clamp
	v_lshlrev_b16_sdwa v5, v52, v5 dst_sel:DWORD dst_unused:UNUSED_PAD src0_sel:DWORD src1_sel:WORD_1
	v_lshlrev_b16_e32 v68, 8, v81
	v_and_b32_e32 v64, 0xffffff00, v64
	v_sub_i16 v5, v5, v68 clamp
	v_or_b32_sdwa v5, v5, v64 dst_sel:WORD_1 dst_unused:UNUSED_PAD src0_sel:BYTE_1 src1_sel:DWORD
	v_dot4c_i32_i8_e32 v49, v76, v7
	v_or_b32_sdwa v78, v6, v5 dst_sel:DWORD dst_unused:UNUSED_PAD src0_sel:WORD_0 src1_sel:DWORD
	v_dot4c_i32_i8_e32 v49, v78, v0
	v_and_b32_sdwa v0, s29, v65 dst_sel:DWORD dst_unused:UNUSED_PAD src0_sel:DWORD src1_sel:BYTE_0
	v_lshlrev_b32_e32 v5, 4, v67
	v_and_or_b32 v0, v5, s30, v0
	v_lshlrev_b32_e32 v0, 2, v0
	global_load_dword v0, v0, s[20:21]
	v_lshrrev_b16_e32 v5, 8, v65
	v_lshlrev_b32_e32 v6, 3, v67
	v_and_or_b32 v5, v6, s30, v5
	v_lshlrev_b32_e32 v5, 2, v5
	global_load_dword v5, v5, s[20:21]
	v_and_b32_sdwa v6, s29, v69 dst_sel:DWORD dst_unused:UNUSED_PAD src0_sel:DWORD src1_sel:BYTE_0
	v_bfe_u32 v68, v6, 3, 1
	v_lshlrev_b32_e32 v7, 5, v6
	v_lshrrev_b32_e32 v65, 1, v6
	v_cmp_ne_u16_e32 vcc, 0, v68
	v_and_b32_e32 v64, 1, v69
	v_bfe_i32 v65, v65, 0, 1
	v_lshrrev_b16_e32 v7, 7, v7
	v_cndmask_b32_e64 v68, 0, -1, vcc
	v_sub_u16_e32 v64, 0, v64
	v_bfe_i32 v7, v7, 0, 1
	v_lshlrev_b16_e32 v65, 8, v65
	v_lshlrev_b16_e32 v68, 8, v68
	v_or_b32_sdwa v79, v64, v65 dst_sel:DWORD dst_unused:UNUSED_PAD src0_sel:BYTE_0 src1_sel:DWORD
	v_or_b32_sdwa v80, v7, v68 dst_sel:WORD_1 dst_unused:UNUSED_PAD src0_sel:BYTE_0 src1_sel:DWORD
	v_bfe_i32 v81, v6, 4, 1
	v_or_b32_sdwa v79, v79, v80 dst_sel:DWORD dst_unused:UNUSED_PAD src0_sel:WORD_0 src1_sel:DWORD
	v_lshlrev_b32_e32 v80, 1, v6
	v_lshrrev_b32_e32 v82, 5, v6
	v_lshrrev_b32_e32 v6, 7, v6
	v_lshlrev_b16_e32 v64, 8, v64
	v_cmp_ne_u16_e32 vcc, 0, v6
	v_bfe_i32 v82, v82, 0, 1
	v_lshrrev_b16_e32 v80, 7, v80
	v_cndmask_b32_e64 v6, 0, -1, vcc
	v_bfe_i32 v80, v80, 0, 1
	v_lshlrev_b16_e32 v82, 8, v82
	v_lshlrev_b16_e32 v6, 8, v6
	;; [unrolled: 1-line block ×3, first 2 shown]
	v_or_b32_sdwa v83, v81, v82 dst_sel:DWORD dst_unused:UNUSED_PAD src0_sel:BYTE_0 src1_sel:DWORD
	v_or_b32_sdwa v84, v80, v6 dst_sel:WORD_1 dst_unused:UNUSED_PAD src0_sel:BYTE_0 src1_sel:DWORD
	s_waitcnt vmcnt(1)
	v_xor_b32_e32 v0, v0, v79
	v_and_b32_e32 v79, 0xffffff00, v0
	v_sub_i16 v65, v79, v65 clamp
	v_lshlrev_b16_e32 v79, 8, v0
	v_and_b32_e32 v65, 0xffffff00, v65
	v_sub_i16 v64, v79, v64 clamp
	v_or_b32_sdwa v64, v64, v65 dst_sel:DWORD dst_unused:UNUSED_PAD src0_sel:BYTE_1 src1_sel:DWORD
	v_and_b32_sdwa v65, v0, s31 dst_sel:DWORD dst_unused:UNUSED_PAD src0_sel:WORD_1 src1_sel:DWORD
	v_sub_i16 v65, v65, v68 clamp
	v_lshlrev_b16_sdwa v0, v52, v0 dst_sel:DWORD dst_unused:UNUSED_PAD src0_sel:DWORD src1_sel:WORD_1
	v_and_b32_e32 v65, 0xffffff00, v65
	v_sub_i16 v0, v0, v7 clamp
	v_or_b32_sdwa v83, v83, v84 dst_sel:DWORD dst_unused:UNUSED_PAD src0_sel:WORD_0 src1_sel:DWORD
	v_or_b32_sdwa v0, v0, v65 dst_sel:WORD_1 dst_unused:UNUSED_PAD src0_sel:BYTE_1 src1_sel:DWORD
	s_nop 0
	v_or_b32_sdwa v79, v64, v0 dst_sel:DWORD dst_unused:UNUSED_PAD src0_sel:WORD_0 src1_sel:DWORD
	s_waitcnt vmcnt(0)
	v_xor_b32_e32 v0, v5, v83
	v_and_b32_e32 v5, 0xffffff00, v0
	v_sub_i16 v5, v5, v82 clamp
	v_lshlrev_b16_e32 v7, 8, v0
	v_lshlrev_b16_e32 v64, 8, v81
	v_and_b32_e32 v5, 0xffffff00, v5
	v_sub_i16 v7, v7, v64 clamp
	v_or_b32_sdwa v5, v7, v5 dst_sel:DWORD dst_unused:UNUSED_PAD src0_sel:BYTE_1 src1_sel:DWORD
	v_and_b32_sdwa v7, v0, s31 dst_sel:DWORD dst_unused:UNUSED_PAD src0_sel:WORD_1 src1_sel:DWORD
	v_sub_i16 v6, v7, v6 clamp
	v_lshlrev_b16_sdwa v0, v52, v0 dst_sel:DWORD dst_unused:UNUSED_PAD src0_sel:DWORD src1_sel:WORD_1
	v_lshlrev_b16_e32 v7, 8, v80
	v_and_b32_e32 v6, 0xffffff00, v6
	v_sub_i16 v0, v0, v7 clamp
	v_or_b32_sdwa v0, v0, v6 dst_sel:WORD_1 dst_unused:UNUSED_PAD src0_sel:BYTE_1 src1_sel:DWORD
	v_dot4c_i32_i8_e32 v49, v79, v1
	v_or_b32_sdwa v80, v5, v0 dst_sel:DWORD dst_unused:UNUSED_PAD src0_sel:WORD_0 src1_sel:DWORD
	v_and_b32_sdwa v0, s29, v66 dst_sel:DWORD dst_unused:UNUSED_PAD src0_sel:DWORD src1_sel:BYTE_0
	v_lshlrev_b32_e32 v1, 2, v67
	v_and_or_b32 v0, v1, s30, v0
	v_lshlrev_b32_e32 v0, 2, v0
	global_load_dword v0, v0, s[20:21]
	v_dot4c_i32_i8_e32 v49, v80, v2
	v_lshrrev_b16_e32 v1, 8, v66
	v_lshlrev_b32_e32 v2, 1, v67
	v_and_or_b32 v1, v2, s30, v1
	v_lshlrev_b32_e32 v1, 2, v1
	global_load_dword v1, v1, s[20:21]
	v_lshrrev_b16_e32 v2, 8, v69
	v_bfe_u32 v64, v2, 3, 1
	v_lshlrev_b32_e32 v5, 5, v2
	v_lshrrev_b32_e32 v7, 1, v2
	v_cmp_ne_u16_e32 vcc, 0, v64
	v_lshlrev_b16_e32 v6, 7, v69
	v_bfe_i32 v7, v7, 0, 1
	v_lshrrev_b16_e32 v5, 7, v5
	v_cndmask_b32_e64 v64, 0, -1, vcc
	v_ashrrev_i16_e32 v6, 15, v6
	v_bfe_i32 v5, v5, 0, 1
	v_lshlrev_b16_e32 v7, 8, v7
	v_lshlrev_b16_e32 v64, 8, v64
	v_or_b32_sdwa v65, v6, v7 dst_sel:DWORD dst_unused:UNUSED_PAD src0_sel:BYTE_0 src1_sel:DWORD
	v_or_b32_sdwa v66, v5, v64 dst_sel:WORD_1 dst_unused:UNUSED_PAD src0_sel:BYTE_0 src1_sel:DWORD
	v_bfe_i32 v67, v2, 4, 1
	v_or_b32_sdwa v65, v65, v66 dst_sel:DWORD dst_unused:UNUSED_PAD src0_sel:WORD_0 src1_sel:DWORD
	v_lshlrev_b32_e32 v66, 1, v2
	v_lshrrev_b32_e32 v68, 5, v2
	v_lshrrev_b32_e32 v2, 7, v2
	v_lshlrev_b16_e32 v6, 8, v6
	v_cmp_ne_u16_e32 vcc, 0, v2
	v_bfe_i32 v68, v68, 0, 1
	v_lshrrev_b16_e32 v66, 7, v66
	v_cndmask_b32_e64 v2, 0, -1, vcc
	v_bfe_i32 v66, v66, 0, 1
	v_lshlrev_b16_e32 v68, 8, v68
	v_lshlrev_b16_e32 v2, 8, v2
	;; [unrolled: 1-line block ×3, first 2 shown]
	v_or_b32_sdwa v69, v67, v68 dst_sel:DWORD dst_unused:UNUSED_PAD src0_sel:BYTE_0 src1_sel:DWORD
	v_or_b32_sdwa v81, v66, v2 dst_sel:WORD_1 dst_unused:UNUSED_PAD src0_sel:BYTE_0 src1_sel:DWORD
	s_waitcnt vmcnt(1)
	v_xor_b32_e32 v0, v0, v65
	v_and_b32_e32 v65, 0xffffff00, v0
	v_sub_i16 v7, v65, v7 clamp
	v_lshlrev_b16_e32 v65, 8, v0
	v_and_b32_e32 v7, 0xffffff00, v7
	v_sub_i16 v6, v65, v6 clamp
	v_or_b32_sdwa v6, v6, v7 dst_sel:DWORD dst_unused:UNUSED_PAD src0_sel:BYTE_1 src1_sel:DWORD
	v_and_b32_sdwa v7, v0, s31 dst_sel:DWORD dst_unused:UNUSED_PAD src0_sel:WORD_1 src1_sel:DWORD
	v_sub_i16 v7, v7, v64 clamp
	v_lshlrev_b16_sdwa v0, v52, v0 dst_sel:DWORD dst_unused:UNUSED_PAD src0_sel:DWORD src1_sel:WORD_1
	v_and_b32_e32 v7, 0xffffff00, v7
	v_sub_i16 v0, v0, v5 clamp
	v_or_b32_sdwa v69, v69, v81 dst_sel:DWORD dst_unused:UNUSED_PAD src0_sel:WORD_0 src1_sel:DWORD
	v_or_b32_sdwa v0, v0, v7 dst_sel:WORD_1 dst_unused:UNUSED_PAD src0_sel:BYTE_1 src1_sel:DWORD
	s_nop 0
	v_or_b32_sdwa v81, v6, v0 dst_sel:DWORD dst_unused:UNUSED_PAD src0_sel:WORD_0 src1_sel:DWORD
	s_waitcnt vmcnt(0)
	v_xor_b32_e32 v0, v1, v69
	v_and_b32_e32 v1, 0xffffff00, v0
	v_sub_i16 v1, v1, v68 clamp
	v_lshlrev_b16_e32 v5, 8, v0
	v_lshlrev_b16_e32 v6, 8, v67
	v_and_b32_e32 v1, 0xffffff00, v1
	v_sub_i16 v5, v5, v6 clamp
	v_or_b32_sdwa v1, v5, v1 dst_sel:DWORD dst_unused:UNUSED_PAD src0_sel:BYTE_1 src1_sel:DWORD
	v_and_b32_sdwa v5, v0, s31 dst_sel:DWORD dst_unused:UNUSED_PAD src0_sel:WORD_1 src1_sel:DWORD
	v_sub_i16 v2, v5, v2 clamp
	v_lshlrev_b16_sdwa v0, v52, v0 dst_sel:DWORD dst_unused:UNUSED_PAD src0_sel:DWORD src1_sel:WORD_1
	v_lshlrev_b16_e32 v5, 8, v66
	v_and_b32_e32 v2, 0xffffff00, v2
	v_sub_i16 v0, v0, v5 clamp
	v_or_b32_sdwa v0, v0, v2 dst_sel:WORD_1 dst_unused:UNUSED_PAD src0_sel:BYTE_1 src1_sel:DWORD
	v_dot4c_i32_i8_e32 v49, v81, v3
	v_or_b32_sdwa v82, v1, v0 dst_sel:DWORD dst_unused:UNUSED_PAD src0_sel:WORD_0 src1_sel:DWORD
	global_load_ushort v0, v[30:31], off
	global_load_ubyte v1, v[28:29], off offset:106
	global_load_ubyte v2, v[32:33], off offset:106
	v_dot4c_i32_i8_e32 v49, v82, v8
	s_waitcnt vmcnt(1)
	v_lshrrev_b32_e32 v1, v18, v1
	s_waitcnt vmcnt(0)
	v_lshrrev_b32_e32 v2, v13, v2
	v_lshlrev_b32_e32 v1, 1, v1
	v_lshlrev_b32_e32 v2, 1, v2
	v_and_or_b32 v83, v2, 30, 1
	v_and_or_b32 v84, v1, 30, 1
	v_mul_lo_u32 v1, v11, v84
	v_mul_lo_u32 v2, v49, v83
	v_cvt_f32_f16_e32 v49, v0
	v_cvt_f32_i32_e32 v7, v2
	v_cvt_f32_i32_e32 v6, v1
	scratch_load_dwordx4 v[0:3], off, off offset:32
	v_pk_mul_f32 v[4:5], v[4:5], v[48:49] op_sel_hi:[0,1]
	s_waitcnt vmcnt(0)
	v_pk_fma_f32 v[0:1], v[4:5], v[6:7], v[0:1]
	v_add_u32_e32 v4, s19, v51
	v_mad_u64_u32 v[4:5], s[34:35], v4, 36, s[24:25]
	v_mad_u64_u32 v[68:69], s[34:35], v14, 36, v[4:5]
	global_load_dword v11, v[68:69], off offset:32
	global_load_dwordx4 v[4:7], v[68:69], off offset:16
	global_load_dwordx4 v[64:67], v[68:69], off
	s_waitcnt vmcnt(0)
	v_cvt_f32_f16_e32 v8, v64
	v_mov_b32_e32 v64, 0
	v_dot4c_i32_i8_e32 v64, v9, v65
	v_mov_b32_e32 v9, 0
	v_dot4c_i32_i8_e32 v9, v74, v65
	v_dot4c_i32_i8_e32 v64, v10, v66
	;; [unrolled: 1-line block ×15, first 2 shown]
	v_bfe_u32 v63, v61, 5, 3
	v_bfe_i32 v63, v63, 0, 1
	v_mul_lo_u32 v6, v64, v84
	v_mul_lo_u32 v7, v9, v83
	v_cvt_f32_i32_e32 v7, v7
	v_cvt_f32_i32_e32 v6, v6
	v_pk_mul_f32 v[4:5], v[8:9], v[48:49] op_sel_hi:[0,1]
	v_bfe_u32 v64, v61, 7, 1
	v_lshlrev_b16_e32 v63, 8, v63
	v_pk_fma_f32 v[2:3], v[4:5], v[6:7], v[2:3]
	scratch_store_dwordx4 off, v[0:3], off offset:32
	s_nop 1
	v_add_u32_e32 v0, s15, v51
	v_mad_u64_u32 v[0:1], s[34:35], v0, 36, s[24:25]
	v_mad_u64_u32 v[10:11], s[34:35], v14, 36, v[0:1]
	global_load_dword v9, v[10:11], off offset:32
	global_load_dwordx4 v[0:3], v[10:11], off offset:16
	global_load_dwordx4 v[4:7], v[10:11], off
	global_load_ushort v8, v[42:43], off offset:8
	s_nop 0
	global_load_ubyte v11, v[44:45], off offset:66
	global_load_ushort v48, v[46:47], off offset:76
	v_and_b32_e32 v10, 0xff, v62
	v_bfe_u32 v46, v61, 3, 1
	v_bfe_u32 v45, v61, 1, 7
	v_cmp_ne_u16_e32 vcc, 0, v46
	v_and_b32_e32 v44, 1, v61
	v_bfe_i32 v45, v45, 0, 1
	v_cndmask_b32_e64 v46, 0, -1, vcc
	v_sub_u16_e32 v44, 0, v44
	v_lshlrev_b16_e32 v45, 8, v45
	v_lshlrev_b16_e32 v46, 8, v46
	v_or_b32_sdwa v47, v44, v45 dst_sel:DWORD dst_unused:UNUSED_PAD src0_sel:BYTE_0 src1_sel:DWORD
	v_lshlrev_b16_e32 v44, 8, v44
	v_cmp_ne_u16_e32 vcc, 0, v64
	v_add_u32_e32 v51, 64, v51
	s_waitcnt vmcnt(1)
	v_lshlrev_b32_e32 v42, 8, v11
	v_and_or_b32 v10, v42, s30, v10
	v_lshlrev_b32_e32 v10, 2, v10
	global_load_dword v10, v10, s[20:21]
	v_lshrrev_b16_e32 v42, 8, v62
	v_lshlrev_b32_e32 v43, 7, v11
	v_and_or_b32 v42, v43, s30, v42
	v_lshlrev_b32_e32 v42, 2, v42
	global_load_dword v42, v42, s[20:21]
	v_lshlrev_b32_sdwa v43, v53, v61 dst_sel:DWORD dst_unused:UNUSED_PAD src0_sel:DWORD src1_sel:BYTE_0
	v_lshrrev_b16_e32 v43, 7, v43
	v_bfe_i32 v43, v43, 0, 1
	v_or_b32_sdwa v49, v43, v46 dst_sel:WORD_1 dst_unused:UNUSED_PAD src0_sel:BYTE_0 src1_sel:DWORD
	v_cndmask_b32_e64 v64, 0, -1, vcc
	v_or_b32_sdwa v47, v47, v49 dst_sel:DWORD dst_unused:UNUSED_PAD src0_sel:WORD_0 src1_sel:DWORD
	v_lshlrev_b32_sdwa v49, v54, v61 dst_sel:DWORD dst_unused:UNUSED_PAD src0_sel:DWORD src1_sel:BYTE_0
	v_lshrrev_b16_e32 v49, 7, v49
	v_bfe_i32 v62, v61, 4, 1
	v_bfe_i32 v49, v49, 0, 1
	v_lshlrev_b16_e32 v64, 8, v64
	v_lshlrev_b16_e32 v43, 8, v43
	v_or_b32_sdwa v65, v62, v63 dst_sel:DWORD dst_unused:UNUSED_PAD src0_sel:BYTE_0 src1_sel:DWORD
	v_or_b32_sdwa v66, v49, v64 dst_sel:WORD_1 dst_unused:UNUSED_PAD src0_sel:BYTE_0 src1_sel:DWORD
	v_cvt_f32_f16_e32 v4, v4
	v_or_b32_sdwa v65, v65, v66 dst_sel:DWORD dst_unused:UNUSED_PAD src0_sel:WORD_0 src1_sel:DWORD
	s_waitcnt vmcnt(1)
	v_xor_b32_e32 v10, v10, v47
	v_and_b32_e32 v47, 0xffffff00, v10
	v_sub_i16 v45, v47, v45 clamp
	v_lshlrev_b16_e32 v47, 8, v10
	v_and_b32_e32 v45, 0xffffff00, v45
	v_sub_i16 v44, v47, v44 clamp
	v_or_b32_sdwa v44, v44, v45 dst_sel:DWORD dst_unused:UNUSED_PAD src0_sel:BYTE_1 src1_sel:DWORD
	v_and_b32_sdwa v45, v10, s31 dst_sel:DWORD dst_unused:UNUSED_PAD src0_sel:WORD_1 src1_sel:DWORD
	v_sub_i16 v45, v45, v46 clamp
	v_lshlrev_b16_sdwa v10, v52, v10 dst_sel:DWORD dst_unused:UNUSED_PAD src0_sel:DWORD src1_sel:WORD_1
	v_and_b32_e32 v45, 0xffffff00, v45
	v_sub_i16 v10, v10, v43 clamp
	v_or_b32_sdwa v10, v10, v45 dst_sel:WORD_1 dst_unused:UNUSED_PAD src0_sel:BYTE_1 src1_sel:DWORD
	v_lshlrev_b16_e32 v45, 8, v62
	v_or_b32_sdwa v43, v44, v10 dst_sel:DWORD dst_unused:UNUSED_PAD src0_sel:WORD_0 src1_sel:DWORD
	s_waitcnt vmcnt(0)
	v_xor_b32_e32 v10, v42, v65
	v_and_b32_e32 v42, 0xffffff00, v10
	v_sub_i16 v42, v42, v63 clamp
	v_lshlrev_b16_e32 v44, 8, v10
	v_and_b32_e32 v42, 0xffffff00, v42
	v_sub_i16 v44, v44, v45 clamp
	v_or_b32_sdwa v42, v44, v42 dst_sel:DWORD dst_unused:UNUSED_PAD src0_sel:BYTE_1 src1_sel:DWORD
	v_and_b32_sdwa v44, v10, s31 dst_sel:DWORD dst_unused:UNUSED_PAD src0_sel:WORD_1 src1_sel:DWORD
	v_sub_i16 v44, v44, v64 clamp
	v_lshlrev_b16_sdwa v10, v52, v10 dst_sel:DWORD dst_unused:UNUSED_PAD src0_sel:DWORD src1_sel:WORD_1
	v_lshlrev_b16_e32 v45, 8, v49
	v_and_b32_e32 v44, 0xffffff00, v44
	v_sub_i16 v10, v10, v45 clamp
	v_or_b32_sdwa v10, v10, v44 dst_sel:WORD_1 dst_unused:UNUSED_PAD src0_sel:BYTE_1 src1_sel:DWORD
	v_lshlrev_b32_e32 v44, 5, v11
	v_or_b32_sdwa v42, v42, v10 dst_sel:DWORD dst_unused:UNUSED_PAD src0_sel:WORD_0 src1_sel:DWORD
	v_mov_b32_e32 v10, 0
	v_dot4c_i32_i8_e32 v10, v43, v5
	v_dot4c_i32_i8_e32 v10, v42, v6
	v_and_b32_e32 v42, 0xff, v60
	v_lshlrev_b32_e32 v43, 6, v11
	v_and_or_b32 v42, v43, s30, v42
	v_lshlrev_b32_e32 v42, 2, v42
	global_load_dword v42, v42, s[20:21]
	v_lshrrev_b16_e32 v43, 8, v60
	v_and_or_b32 v43, v44, s30, v43
	v_lshlrev_b32_e32 v43, 2, v43
	global_load_dword v43, v43, s[20:21]
	v_lshrrev_b16_e32 v44, 8, v61
	v_bfe_u32 v49, v44, 3, 1
	v_lshlrev_b32_e32 v45, 5, v44
	v_lshrrev_b32_e32 v47, 1, v44
	v_cmp_ne_u16_e32 vcc, 0, v49
	v_lshlrev_b16_e32 v46, 7, v61
	v_bfe_i32 v47, v47, 0, 1
	v_lshrrev_b16_e32 v45, 7, v45
	v_cndmask_b32_e64 v49, 0, -1, vcc
	v_ashrrev_i16_e32 v46, 15, v46
	v_bfe_i32 v45, v45, 0, 1
	v_lshlrev_b16_e32 v47, 8, v47
	v_lshlrev_b16_e32 v49, 8, v49
	v_or_b32_sdwa v60, v46, v47 dst_sel:DWORD dst_unused:UNUSED_PAD src0_sel:BYTE_0 src1_sel:DWORD
	v_or_b32_sdwa v61, v45, v49 dst_sel:WORD_1 dst_unused:UNUSED_PAD src0_sel:BYTE_0 src1_sel:DWORD
	v_bfe_i32 v62, v44, 4, 1
	v_or_b32_sdwa v60, v60, v61 dst_sel:DWORD dst_unused:UNUSED_PAD src0_sel:WORD_0 src1_sel:DWORD
	v_lshlrev_b32_e32 v61, 1, v44
	v_lshrrev_b32_e32 v63, 5, v44
	v_lshrrev_b32_e32 v44, 7, v44
	v_cmp_ne_u16_e32 vcc, 0, v44
	v_bfe_i32 v63, v63, 0, 1
	v_lshrrev_b16_e32 v61, 7, v61
	v_cndmask_b32_e64 v44, 0, -1, vcc
	v_lshlrev_b16_e32 v46, 8, v46
	v_bfe_i32 v61, v61, 0, 1
	v_lshlrev_b16_e32 v63, 8, v63
	v_lshlrev_b16_e32 v44, 8, v44
	v_or_b32_sdwa v64, v62, v63 dst_sel:DWORD dst_unused:UNUSED_PAD src0_sel:BYTE_0 src1_sel:DWORD
	v_or_b32_sdwa v65, v61, v44 dst_sel:WORD_1 dst_unused:UNUSED_PAD src0_sel:BYTE_0 src1_sel:DWORD
	v_lshlrev_b16_e32 v45, 8, v45
	v_or_b32_sdwa v64, v64, v65 dst_sel:DWORD dst_unused:UNUSED_PAD src0_sel:WORD_0 src1_sel:DWORD
	s_waitcnt vmcnt(1)
	v_xor_b32_e32 v42, v42, v60
	v_and_b32_e32 v60, 0xffffff00, v42
	v_sub_i16 v47, v60, v47 clamp
	v_lshlrev_b16_e32 v60, 8, v42
	v_and_b32_e32 v47, 0xffffff00, v47
	v_sub_i16 v46, v60, v46 clamp
	v_or_b32_sdwa v46, v46, v47 dst_sel:DWORD dst_unused:UNUSED_PAD src0_sel:BYTE_1 src1_sel:DWORD
	v_and_b32_sdwa v47, v42, s31 dst_sel:DWORD dst_unused:UNUSED_PAD src0_sel:WORD_1 src1_sel:DWORD
	v_sub_i16 v47, v47, v49 clamp
	v_lshlrev_b16_sdwa v42, v52, v42 dst_sel:DWORD dst_unused:UNUSED_PAD src0_sel:DWORD src1_sel:WORD_1
	v_and_b32_e32 v47, 0xffffff00, v47
	v_sub_i16 v42, v42, v45 clamp
	s_waitcnt vmcnt(0)
	v_xor_b32_e32 v43, v43, v64
	v_or_b32_sdwa v42, v42, v47 dst_sel:WORD_1 dst_unused:UNUSED_PAD src0_sel:BYTE_1 src1_sel:DWORD
	v_and_b32_e32 v45, 0xffffff00, v43
	v_or_b32_sdwa v42, v46, v42 dst_sel:DWORD dst_unused:UNUSED_PAD src0_sel:WORD_0 src1_sel:DWORD
	v_sub_i16 v45, v45, v63 clamp
	v_lshlrev_b16_e32 v46, 8, v43
	v_lshlrev_b16_e32 v47, 8, v62
	v_and_b32_e32 v45, 0xffffff00, v45
	v_sub_i16 v46, v46, v47 clamp
	v_or_b32_sdwa v45, v46, v45 dst_sel:DWORD dst_unused:UNUSED_PAD src0_sel:BYTE_1 src1_sel:DWORD
	v_and_b32_sdwa v46, v43, s31 dst_sel:DWORD dst_unused:UNUSED_PAD src0_sel:WORD_1 src1_sel:DWORD
	v_sub_i16 v44, v46, v44 clamp
	v_lshlrev_b16_sdwa v43, v52, v43 dst_sel:DWORD dst_unused:UNUSED_PAD src0_sel:DWORD src1_sel:WORD_1
	v_lshlrev_b16_e32 v46, 8, v61
	v_and_b32_e32 v44, 0xffffff00, v44
	v_sub_i16 v43, v43, v46 clamp
	v_or_b32_sdwa v43, v43, v44 dst_sel:WORD_1 dst_unused:UNUSED_PAD src0_sel:BYTE_1 src1_sel:DWORD
	v_dot4c_i32_i8_e32 v10, v42, v7
	v_or_b32_sdwa v43, v45, v43 dst_sel:DWORD dst_unused:UNUSED_PAD src0_sel:WORD_0 src1_sel:DWORD
	v_dot4c_i32_i8_e32 v10, v43, v0
	v_and_b32_e32 v42, 0xff, v59
	v_lshlrev_b32_e32 v43, 4, v11
	v_and_or_b32 v42, v43, s30, v42
	v_lshlrev_b32_e32 v42, 2, v42
	global_load_dword v42, v42, s[20:21]
	v_lshrrev_b16_e32 v43, 8, v59
	v_lshlrev_b32_e32 v44, 3, v11
	v_and_or_b32 v43, v44, s30, v43
	v_lshlrev_b32_e32 v43, 2, v43
	global_load_dword v43, v43, s[20:21]
	v_and_b32_sdwa v44, s29, v48 dst_sel:DWORD dst_unused:UNUSED_PAD src0_sel:DWORD src1_sel:BYTE_0
	v_bfe_u32 v49, v44, 3, 1
	v_lshlrev_b32_e32 v45, 5, v44
	v_lshrrev_b32_e32 v47, 1, v44
	v_cmp_ne_u16_e32 vcc, 0, v49
	v_and_b32_e32 v46, 1, v48
	v_bfe_i32 v47, v47, 0, 1
	v_lshrrev_b16_e32 v45, 7, v45
	v_cndmask_b32_e64 v49, 0, -1, vcc
	v_sub_u16_e32 v46, 0, v46
	v_bfe_i32 v45, v45, 0, 1
	v_lshlrev_b16_e32 v47, 8, v47
	v_lshlrev_b16_e32 v49, 8, v49
	v_or_b32_sdwa v59, v46, v47 dst_sel:DWORD dst_unused:UNUSED_PAD src0_sel:BYTE_0 src1_sel:DWORD
	v_or_b32_sdwa v60, v45, v49 dst_sel:WORD_1 dst_unused:UNUSED_PAD src0_sel:BYTE_0 src1_sel:DWORD
	v_bfe_i32 v61, v44, 4, 1
	v_or_b32_sdwa v59, v59, v60 dst_sel:DWORD dst_unused:UNUSED_PAD src0_sel:WORD_0 src1_sel:DWORD
	v_lshlrev_b32_e32 v60, 1, v44
	v_lshrrev_b32_e32 v62, 5, v44
	v_lshrrev_b32_e32 v44, 7, v44
	v_cmp_ne_u16_e32 vcc, 0, v44
	v_bfe_i32 v62, v62, 0, 1
	v_lshrrev_b16_e32 v60, 7, v60
	v_cndmask_b32_e64 v44, 0, -1, vcc
	v_lshlrev_b16_e32 v46, 8, v46
	v_bfe_i32 v60, v60, 0, 1
	v_lshlrev_b16_e32 v62, 8, v62
	v_lshlrev_b16_e32 v44, 8, v44
	v_or_b32_sdwa v63, v61, v62 dst_sel:DWORD dst_unused:UNUSED_PAD src0_sel:BYTE_0 src1_sel:DWORD
	v_or_b32_sdwa v64, v60, v44 dst_sel:WORD_1 dst_unused:UNUSED_PAD src0_sel:BYTE_0 src1_sel:DWORD
	v_lshlrev_b16_e32 v45, 8, v45
	v_or_b32_sdwa v63, v63, v64 dst_sel:DWORD dst_unused:UNUSED_PAD src0_sel:WORD_0 src1_sel:DWORD
	s_waitcnt vmcnt(1)
	v_xor_b32_e32 v42, v42, v59
	v_and_b32_e32 v59, 0xffffff00, v42
	v_sub_i16 v47, v59, v47 clamp
	v_lshlrev_b16_e32 v59, 8, v42
	v_and_b32_e32 v47, 0xffffff00, v47
	v_sub_i16 v46, v59, v46 clamp
	v_or_b32_sdwa v46, v46, v47 dst_sel:DWORD dst_unused:UNUSED_PAD src0_sel:BYTE_1 src1_sel:DWORD
	v_and_b32_sdwa v47, v42, s31 dst_sel:DWORD dst_unused:UNUSED_PAD src0_sel:WORD_1 src1_sel:DWORD
	v_sub_i16 v47, v47, v49 clamp
	v_lshlrev_b16_sdwa v42, v52, v42 dst_sel:DWORD dst_unused:UNUSED_PAD src0_sel:DWORD src1_sel:WORD_1
	v_and_b32_e32 v47, 0xffffff00, v47
	v_sub_i16 v42, v42, v45 clamp
	s_waitcnt vmcnt(0)
	v_xor_b32_e32 v43, v43, v63
	v_or_b32_sdwa v42, v42, v47 dst_sel:WORD_1 dst_unused:UNUSED_PAD src0_sel:BYTE_1 src1_sel:DWORD
	v_and_b32_e32 v45, 0xffffff00, v43
	v_or_b32_sdwa v42, v46, v42 dst_sel:DWORD dst_unused:UNUSED_PAD src0_sel:WORD_0 src1_sel:DWORD
	v_sub_i16 v45, v45, v62 clamp
	v_lshlrev_b16_e32 v46, 8, v43
	v_lshlrev_b16_e32 v47, 8, v61
	v_and_b32_e32 v45, 0xffffff00, v45
	v_sub_i16 v46, v46, v47 clamp
	v_or_b32_sdwa v45, v46, v45 dst_sel:DWORD dst_unused:UNUSED_PAD src0_sel:BYTE_1 src1_sel:DWORD
	v_and_b32_sdwa v46, v43, s31 dst_sel:DWORD dst_unused:UNUSED_PAD src0_sel:WORD_1 src1_sel:DWORD
	v_sub_i16 v44, v46, v44 clamp
	v_lshlrev_b16_sdwa v43, v52, v43 dst_sel:DWORD dst_unused:UNUSED_PAD src0_sel:DWORD src1_sel:WORD_1
	v_lshlrev_b16_e32 v46, 8, v60
	v_and_b32_e32 v44, 0xffffff00, v44
	v_sub_i16 v43, v43, v46 clamp
	v_or_b32_sdwa v43, v43, v44 dst_sel:WORD_1 dst_unused:UNUSED_PAD src0_sel:BYTE_1 src1_sel:DWORD
	v_dot4c_i32_i8_e32 v10, v42, v1
	v_or_b32_sdwa v43, v45, v43 dst_sel:DWORD dst_unused:UNUSED_PAD src0_sel:WORD_0 src1_sel:DWORD
	v_dot4c_i32_i8_e32 v10, v43, v2
	v_and_b32_sdwa v42, s29, v8 dst_sel:DWORD dst_unused:UNUSED_PAD src0_sel:DWORD src1_sel:BYTE_0
	v_lshlrev_b32_e32 v43, 2, v11
	v_and_or_b32 v42, v43, s30, v42
	v_lshlrev_b32_e32 v42, 2, v42
	global_load_dword v42, v42, s[20:21]
	v_lshrrev_b16_e32 v8, 8, v8
	v_lshlrev_b32_e32 v11, 1, v11
	v_and_or_b32 v8, v11, s30, v8
	v_lshlrev_b32_e32 v8, 2, v8
	global_load_dword v8, v8, s[20:21]
	v_lshrrev_b16_e32 v11, 8, v48
	v_bfe_u32 v46, v11, 3, 1
	v_lshlrev_b32_e32 v43, 5, v11
	v_lshrrev_b32_e32 v45, 1, v11
	v_cmp_ne_u16_e32 vcc, 0, v46
	v_lshlrev_b16_e32 v44, 7, v48
	v_bfe_i32 v45, v45, 0, 1
	v_lshrrev_b16_e32 v43, 7, v43
	v_cndmask_b32_e64 v46, 0, -1, vcc
	v_ashrrev_i16_e32 v44, 15, v44
	v_bfe_i32 v43, v43, 0, 1
	v_lshlrev_b16_e32 v45, 8, v45
	v_lshlrev_b16_e32 v46, 8, v46
	v_or_b32_sdwa v47, v44, v45 dst_sel:DWORD dst_unused:UNUSED_PAD src0_sel:BYTE_0 src1_sel:DWORD
	v_or_b32_sdwa v48, v43, v46 dst_sel:WORD_1 dst_unused:UNUSED_PAD src0_sel:BYTE_0 src1_sel:DWORD
	v_bfe_i32 v49, v11, 4, 1
	v_or_b32_sdwa v47, v47, v48 dst_sel:DWORD dst_unused:UNUSED_PAD src0_sel:WORD_0 src1_sel:DWORD
	v_lshlrev_b32_e32 v48, 1, v11
	v_lshrrev_b32_e32 v59, 5, v11
	v_lshrrev_b32_e32 v11, 7, v11
	v_cmp_ne_u16_e32 vcc, 0, v11
	v_bfe_i32 v59, v59, 0, 1
	v_lshrrev_b16_e32 v48, 7, v48
	v_cndmask_b32_e64 v11, 0, -1, vcc
	v_lshlrev_b16_e32 v44, 8, v44
	v_bfe_i32 v48, v48, 0, 1
	v_lshlrev_b16_e32 v59, 8, v59
	v_lshlrev_b16_e32 v11, 8, v11
	v_or_b32_sdwa v60, v49, v59 dst_sel:DWORD dst_unused:UNUSED_PAD src0_sel:BYTE_0 src1_sel:DWORD
	v_or_b32_sdwa v61, v48, v11 dst_sel:WORD_1 dst_unused:UNUSED_PAD src0_sel:BYTE_0 src1_sel:DWORD
	v_lshlrev_b16_e32 v43, 8, v43
	v_or_b32_sdwa v60, v60, v61 dst_sel:DWORD dst_unused:UNUSED_PAD src0_sel:WORD_0 src1_sel:DWORD
	s_waitcnt vmcnt(1)
	v_xor_b32_e32 v42, v42, v47
	v_and_b32_e32 v47, 0xffffff00, v42
	v_sub_i16 v45, v47, v45 clamp
	v_lshlrev_b16_e32 v47, 8, v42
	v_and_b32_e32 v45, 0xffffff00, v45
	v_sub_i16 v44, v47, v44 clamp
	v_or_b32_sdwa v44, v44, v45 dst_sel:DWORD dst_unused:UNUSED_PAD src0_sel:BYTE_1 src1_sel:DWORD
	v_and_b32_sdwa v45, v42, s31 dst_sel:DWORD dst_unused:UNUSED_PAD src0_sel:WORD_1 src1_sel:DWORD
	v_sub_i16 v45, v45, v46 clamp
	v_lshlrev_b16_sdwa v42, v52, v42 dst_sel:DWORD dst_unused:UNUSED_PAD src0_sel:DWORD src1_sel:WORD_1
	v_and_b32_e32 v45, 0xffffff00, v45
	v_sub_i16 v42, v42, v43 clamp
	s_waitcnt vmcnt(0)
	v_xor_b32_e32 v8, v8, v60
	v_or_b32_sdwa v42, v42, v45 dst_sel:WORD_1 dst_unused:UNUSED_PAD src0_sel:BYTE_1 src1_sel:DWORD
	v_and_b32_e32 v43, 0xffffff00, v8
	v_or_b32_sdwa v42, v44, v42 dst_sel:DWORD dst_unused:UNUSED_PAD src0_sel:WORD_0 src1_sel:DWORD
	v_sub_i16 v43, v43, v59 clamp
	v_lshlrev_b16_e32 v44, 8, v8
	v_lshlrev_b16_e32 v45, 8, v49
	v_and_b32_e32 v43, 0xffffff00, v43
	v_sub_i16 v44, v44, v45 clamp
	v_or_b32_sdwa v43, v44, v43 dst_sel:DWORD dst_unused:UNUSED_PAD src0_sel:BYTE_1 src1_sel:DWORD
	v_and_b32_sdwa v44, v8, s31 dst_sel:DWORD dst_unused:UNUSED_PAD src0_sel:WORD_1 src1_sel:DWORD
	v_sub_i16 v11, v44, v11 clamp
	v_lshlrev_b16_sdwa v8, v52, v8 dst_sel:DWORD dst_unused:UNUSED_PAD src0_sel:DWORD src1_sel:WORD_1
	v_lshlrev_b16_e32 v44, 8, v48
	v_and_b32_e32 v11, 0xffffff00, v11
	v_sub_i16 v8, v8, v44 clamp
	v_or_b32_sdwa v8, v8, v11 dst_sel:WORD_1 dst_unused:UNUSED_PAD src0_sel:BYTE_1 src1_sel:DWORD
	v_dot4c_i32_i8_e32 v10, v42, v3
	v_or_b32_sdwa v8, v43, v8 dst_sel:DWORD dst_unused:UNUSED_PAD src0_sel:WORD_0 src1_sel:DWORD
	v_dot4c_i32_i8_e32 v10, v8, v9
	global_load_ushort v8, v[34:35], off
	global_load_ushort v11, v[36:37], off offset:8
	global_load_ubyte v43, v[38:39], off offset:66
	global_load_ushort v42, v[40:41], off offset:76
	v_and_b32_e32 v34, 0xff, v58
	v_bfe_u32 v39, v57, 3, 1
	v_bfe_u32 v38, v57, 1, 7
	v_cmp_ne_u16_e32 vcc, 0, v39
	v_and_b32_e32 v37, 1, v57
	v_bfe_i32 v38, v38, 0, 1
	v_cndmask_b32_e64 v39, 0, -1, vcc
	v_sub_u16_e32 v37, 0, v37
	v_lshlrev_b16_e32 v38, 8, v38
	v_lshlrev_b16_e32 v39, 8, v39
	v_or_b32_sdwa v40, v37, v38 dst_sel:DWORD dst_unused:UNUSED_PAD src0_sel:BYTE_0 src1_sel:DWORD
	v_bfe_u32 v46, v57, 7, 1
	v_lshlrev_b16_e32 v37, 8, v37
	v_bfe_u32 v45, v57, 5, 3
	v_cmp_ne_u16_e32 vcc, 0, v46
	v_bfe_i32 v45, v45, 0, 1
	v_bfe_i32 v44, v57, 4, 1
	v_cndmask_b32_e64 v46, 0, -1, vcc
	v_lshlrev_b16_e32 v45, 8, v45
	v_lshlrev_b16_e32 v46, 8, v46
	v_or_b32_sdwa v47, v44, v45 dst_sel:DWORD dst_unused:UNUSED_PAD src0_sel:BYTE_0 src1_sel:DWORD
	s_waitcnt vmcnt(1)
	v_lshlrev_b32_e32 v35, 8, v43
	v_and_or_b32 v34, v35, s30, v34
	v_lshlrev_b32_e32 v34, 2, v34
	global_load_dword v34, v34, s[20:21]
	v_lshrrev_b16_e32 v35, 8, v58
	v_lshlrev_b32_e32 v36, 7, v43
	v_and_or_b32 v35, v36, s30, v35
	v_lshlrev_b32_e32 v35, 2, v35
	global_load_dword v35, v35, s[20:21]
	v_lshlrev_b32_sdwa v36, v53, v57 dst_sel:DWORD dst_unused:UNUSED_PAD src0_sel:DWORD src1_sel:BYTE_0
	v_lshrrev_b16_e32 v36, 7, v36
	v_bfe_i32 v36, v36, 0, 1
	v_or_b32_sdwa v41, v36, v39 dst_sel:WORD_1 dst_unused:UNUSED_PAD src0_sel:BYTE_0 src1_sel:DWORD
	v_lshlrev_b16_e32 v36, 8, v36
	v_or_b32_sdwa v40, v40, v41 dst_sel:DWORD dst_unused:UNUSED_PAD src0_sel:WORD_0 src1_sel:DWORD
	v_lshlrev_b32_sdwa v41, v54, v57 dst_sel:DWORD dst_unused:UNUSED_PAD src0_sel:DWORD src1_sel:BYTE_0
	v_lshrrev_b16_e32 v41, 7, v41
	v_bfe_i32 v41, v41, 0, 1
	v_or_b32_sdwa v48, v41, v46 dst_sel:WORD_1 dst_unused:UNUSED_PAD src0_sel:BYTE_0 src1_sel:DWORD
	s_waitcnt vmcnt(1)
	v_xor_b32_e32 v34, v34, v40
	v_and_b32_e32 v40, 0xffffff00, v34
	v_sub_i16 v38, v40, v38 clamp
	v_lshlrev_b16_e32 v40, 8, v34
	v_and_b32_e32 v38, 0xffffff00, v38
	v_sub_i16 v37, v40, v37 clamp
	v_or_b32_sdwa v37, v37, v38 dst_sel:DWORD dst_unused:UNUSED_PAD src0_sel:BYTE_1 src1_sel:DWORD
	v_and_b32_sdwa v38, v34, s31 dst_sel:DWORD dst_unused:UNUSED_PAD src0_sel:WORD_1 src1_sel:DWORD
	v_sub_i16 v38, v38, v39 clamp
	v_lshlrev_b16_sdwa v34, v52, v34 dst_sel:DWORD dst_unused:UNUSED_PAD src0_sel:DWORD src1_sel:WORD_1
	v_and_b32_e32 v38, 0xffffff00, v38
	v_sub_i16 v34, v34, v36 clamp
	v_or_b32_sdwa v47, v47, v48 dst_sel:DWORD dst_unused:UNUSED_PAD src0_sel:WORD_0 src1_sel:DWORD
	v_or_b32_sdwa v34, v34, v38 dst_sel:WORD_1 dst_unused:UNUSED_PAD src0_sel:BYTE_1 src1_sel:DWORD
	v_lshlrev_b16_e32 v38, 8, v44
	v_or_b32_sdwa v36, v37, v34 dst_sel:DWORD dst_unused:UNUSED_PAD src0_sel:WORD_0 src1_sel:DWORD
	s_waitcnt vmcnt(0)
	v_xor_b32_e32 v34, v35, v47
	v_and_b32_e32 v35, 0xffffff00, v34
	v_sub_i16 v35, v35, v45 clamp
	v_lshlrev_b16_e32 v37, 8, v34
	v_and_b32_e32 v35, 0xffffff00, v35
	v_sub_i16 v37, v37, v38 clamp
	v_or_b32_sdwa v35, v37, v35 dst_sel:DWORD dst_unused:UNUSED_PAD src0_sel:BYTE_1 src1_sel:DWORD
	v_and_b32_sdwa v37, v34, s31 dst_sel:DWORD dst_unused:UNUSED_PAD src0_sel:WORD_1 src1_sel:DWORD
	v_sub_i16 v37, v37, v46 clamp
	v_lshlrev_b16_sdwa v34, v52, v34 dst_sel:DWORD dst_unused:UNUSED_PAD src0_sel:DWORD src1_sel:WORD_1
	v_lshlrev_b16_e32 v38, 8, v41
	v_and_b32_e32 v37, 0xffffff00, v37
	v_sub_i16 v34, v34, v38 clamp
	v_or_b32_sdwa v34, v34, v37 dst_sel:WORD_1 dst_unused:UNUSED_PAD src0_sel:BYTE_1 src1_sel:DWORD
	v_lshlrev_b16_e32 v37, 7, v57
	v_or_b32_sdwa v35, v35, v34 dst_sel:DWORD dst_unused:UNUSED_PAD src0_sel:WORD_0 src1_sel:DWORD
	v_mov_b32_e32 v34, 0
	v_dot4c_i32_i8_e32 v34, v36, v5
	v_dot4c_i32_i8_e32 v34, v35, v6
	v_and_b32_e32 v5, 0xff, v56
	v_lshlrev_b32_e32 v6, 6, v43
	v_and_or_b32 v5, v6, s30, v5
	v_lshlrev_b32_e32 v5, 2, v5
	global_load_dword v5, v5, s[20:21]
	v_lshrrev_b16_e32 v6, 8, v56
	v_lshlrev_b32_e32 v35, 5, v43
	v_and_or_b32 v6, v35, s30, v6
	v_lshlrev_b32_e32 v6, 2, v6
	global_load_dword v6, v6, s[20:21]
	v_lshrrev_b16_e32 v35, 8, v57
	v_bfe_u32 v39, v35, 3, 1
	v_lshlrev_b32_e32 v36, 5, v35
	v_lshrrev_b32_e32 v38, 1, v35
	v_cmp_ne_u16_e32 vcc, 0, v39
	v_bfe_i32 v38, v38, 0, 1
	v_lshrrev_b16_e32 v36, 7, v36
	v_cndmask_b32_e64 v39, 0, -1, vcc
	v_ashrrev_i16_e32 v37, 15, v37
	v_bfe_i32 v36, v36, 0, 1
	v_lshlrev_b16_e32 v38, 8, v38
	v_lshlrev_b16_e32 v39, 8, v39
	v_or_b32_sdwa v40, v37, v38 dst_sel:DWORD dst_unused:UNUSED_PAD src0_sel:BYTE_0 src1_sel:DWORD
	v_or_b32_sdwa v41, v36, v39 dst_sel:WORD_1 dst_unused:UNUSED_PAD src0_sel:BYTE_0 src1_sel:DWORD
	v_bfe_i32 v44, v35, 4, 1
	v_or_b32_sdwa v40, v40, v41 dst_sel:DWORD dst_unused:UNUSED_PAD src0_sel:WORD_0 src1_sel:DWORD
	v_lshlrev_b32_e32 v41, 1, v35
	v_lshrrev_b32_e32 v45, 5, v35
	v_lshrrev_b32_e32 v35, 7, v35
	v_cmp_ne_u16_e32 vcc, 0, v35
	v_bfe_i32 v45, v45, 0, 1
	v_lshrrev_b16_e32 v41, 7, v41
	v_cndmask_b32_e64 v35, 0, -1, vcc
	v_lshlrev_b16_e32 v37, 8, v37
	v_bfe_i32 v41, v41, 0, 1
	v_lshlrev_b16_e32 v45, 8, v45
	v_lshlrev_b16_e32 v35, 8, v35
	v_or_b32_sdwa v46, v44, v45 dst_sel:DWORD dst_unused:UNUSED_PAD src0_sel:BYTE_0 src1_sel:DWORD
	v_or_b32_sdwa v47, v41, v35 dst_sel:WORD_1 dst_unused:UNUSED_PAD src0_sel:BYTE_0 src1_sel:DWORD
	v_lshlrev_b16_e32 v36, 8, v36
	v_or_b32_sdwa v46, v46, v47 dst_sel:DWORD dst_unused:UNUSED_PAD src0_sel:WORD_0 src1_sel:DWORD
	s_waitcnt vmcnt(1)
	v_xor_b32_e32 v5, v5, v40
	v_and_b32_e32 v40, 0xffffff00, v5
	v_sub_i16 v38, v40, v38 clamp
	v_lshlrev_b16_e32 v40, 8, v5
	v_and_b32_e32 v38, 0xffffff00, v38
	v_sub_i16 v37, v40, v37 clamp
	v_or_b32_sdwa v37, v37, v38 dst_sel:DWORD dst_unused:UNUSED_PAD src0_sel:BYTE_1 src1_sel:DWORD
	v_and_b32_sdwa v38, v5, s31 dst_sel:DWORD dst_unused:UNUSED_PAD src0_sel:WORD_1 src1_sel:DWORD
	v_sub_i16 v38, v38, v39 clamp
	v_lshlrev_b16_sdwa v5, v52, v5 dst_sel:DWORD dst_unused:UNUSED_PAD src0_sel:DWORD src1_sel:WORD_1
	v_and_b32_e32 v38, 0xffffff00, v38
	v_sub_i16 v5, v5, v36 clamp
	s_waitcnt vmcnt(0)
	v_xor_b32_e32 v6, v6, v46
	v_or_b32_sdwa v5, v5, v38 dst_sel:WORD_1 dst_unused:UNUSED_PAD src0_sel:BYTE_1 src1_sel:DWORD
	v_and_b32_e32 v36, 0xffffff00, v6
	v_or_b32_sdwa v5, v37, v5 dst_sel:DWORD dst_unused:UNUSED_PAD src0_sel:WORD_0 src1_sel:DWORD
	v_sub_i16 v36, v36, v45 clamp
	v_lshlrev_b16_e32 v37, 8, v6
	v_lshlrev_b16_e32 v38, 8, v44
	v_and_b32_e32 v36, 0xffffff00, v36
	v_sub_i16 v37, v37, v38 clamp
	v_or_b32_sdwa v36, v37, v36 dst_sel:DWORD dst_unused:UNUSED_PAD src0_sel:BYTE_1 src1_sel:DWORD
	v_and_b32_sdwa v37, v6, s31 dst_sel:DWORD dst_unused:UNUSED_PAD src0_sel:WORD_1 src1_sel:DWORD
	v_sub_i16 v35, v37, v35 clamp
	v_lshlrev_b16_sdwa v6, v52, v6 dst_sel:DWORD dst_unused:UNUSED_PAD src0_sel:DWORD src1_sel:WORD_1
	v_lshlrev_b16_e32 v37, 8, v41
	v_and_b32_e32 v35, 0xffffff00, v35
	v_sub_i16 v6, v6, v37 clamp
	v_or_b32_sdwa v6, v6, v35 dst_sel:WORD_1 dst_unused:UNUSED_PAD src0_sel:BYTE_1 src1_sel:DWORD
	v_dot4c_i32_i8_e32 v34, v5, v7
	v_or_b32_sdwa v6, v36, v6 dst_sel:DWORD dst_unused:UNUSED_PAD src0_sel:WORD_0 src1_sel:DWORD
	v_dot4c_i32_i8_e32 v34, v6, v0
	v_and_b32_e32 v0, 0xff, v55
	v_lshlrev_b32_e32 v5, 4, v43
	v_and_or_b32 v0, v5, s30, v0
	v_lshlrev_b32_e32 v0, 2, v0
	global_load_dword v0, v0, s[20:21]
	v_lshrrev_b16_e32 v5, 8, v55
	v_lshlrev_b32_e32 v6, 3, v43
	v_and_or_b32 v5, v6, s30, v5
	v_lshlrev_b32_e32 v5, 2, v5
	global_load_dword v5, v5, s[20:21]
	v_and_b32_sdwa v6, s29, v42 dst_sel:DWORD dst_unused:UNUSED_PAD src0_sel:DWORD src1_sel:BYTE_0
	v_bfe_u32 v37, v6, 3, 1
	v_lshlrev_b32_e32 v7, 5, v6
	v_lshrrev_b32_e32 v36, 1, v6
	v_cmp_ne_u16_e32 vcc, 0, v37
	v_and_b32_e32 v35, 1, v42
	v_bfe_i32 v36, v36, 0, 1
	v_lshrrev_b16_e32 v7, 7, v7
	v_cndmask_b32_e64 v37, 0, -1, vcc
	v_sub_u16_e32 v35, 0, v35
	v_bfe_i32 v7, v7, 0, 1
	v_lshlrev_b16_e32 v36, 8, v36
	v_lshlrev_b16_e32 v37, 8, v37
	v_or_b32_sdwa v38, v35, v36 dst_sel:DWORD dst_unused:UNUSED_PAD src0_sel:BYTE_0 src1_sel:DWORD
	v_or_b32_sdwa v39, v7, v37 dst_sel:WORD_1 dst_unused:UNUSED_PAD src0_sel:BYTE_0 src1_sel:DWORD
	v_bfe_i32 v40, v6, 4, 1
	v_or_b32_sdwa v38, v38, v39 dst_sel:DWORD dst_unused:UNUSED_PAD src0_sel:WORD_0 src1_sel:DWORD
	v_lshlrev_b32_e32 v39, 1, v6
	v_lshrrev_b32_e32 v41, 5, v6
	v_lshrrev_b32_e32 v6, 7, v6
	v_cmp_ne_u16_e32 vcc, 0, v6
	v_bfe_i32 v41, v41, 0, 1
	v_lshrrev_b16_e32 v39, 7, v39
	v_cndmask_b32_e64 v6, 0, -1, vcc
	v_lshlrev_b16_e32 v35, 8, v35
	v_bfe_i32 v39, v39, 0, 1
	v_lshlrev_b16_e32 v41, 8, v41
	v_lshlrev_b16_e32 v6, 8, v6
	v_or_b32_sdwa v44, v40, v41 dst_sel:DWORD dst_unused:UNUSED_PAD src0_sel:BYTE_0 src1_sel:DWORD
	v_or_b32_sdwa v45, v39, v6 dst_sel:WORD_1 dst_unused:UNUSED_PAD src0_sel:BYTE_0 src1_sel:DWORD
	v_lshlrev_b16_e32 v7, 8, v7
	v_or_b32_sdwa v44, v44, v45 dst_sel:DWORD dst_unused:UNUSED_PAD src0_sel:WORD_0 src1_sel:DWORD
	s_waitcnt vmcnt(1)
	v_xor_b32_e32 v0, v0, v38
	v_and_b32_e32 v38, 0xffffff00, v0
	v_sub_i16 v36, v38, v36 clamp
	v_lshlrev_b16_e32 v38, 8, v0
	v_and_b32_e32 v36, 0xffffff00, v36
	v_sub_i16 v35, v38, v35 clamp
	v_or_b32_sdwa v35, v35, v36 dst_sel:DWORD dst_unused:UNUSED_PAD src0_sel:BYTE_1 src1_sel:DWORD
	v_and_b32_sdwa v36, v0, s31 dst_sel:DWORD dst_unused:UNUSED_PAD src0_sel:WORD_1 src1_sel:DWORD
	v_sub_i16 v36, v36, v37 clamp
	v_lshlrev_b16_sdwa v0, v52, v0 dst_sel:DWORD dst_unused:UNUSED_PAD src0_sel:DWORD src1_sel:WORD_1
	v_and_b32_e32 v36, 0xffffff00, v36
	v_sub_i16 v0, v0, v7 clamp
	s_waitcnt vmcnt(0)
	v_xor_b32_e32 v5, v5, v44
	v_or_b32_sdwa v0, v0, v36 dst_sel:WORD_1 dst_unused:UNUSED_PAD src0_sel:BYTE_1 src1_sel:DWORD
	v_and_b32_e32 v7, 0xffffff00, v5
	v_or_b32_sdwa v0, v35, v0 dst_sel:DWORD dst_unused:UNUSED_PAD src0_sel:WORD_0 src1_sel:DWORD
	v_sub_i16 v7, v7, v41 clamp
	v_lshlrev_b16_e32 v35, 8, v5
	v_lshlrev_b16_e32 v36, 8, v40
	v_and_b32_e32 v7, 0xffffff00, v7
	v_sub_i16 v35, v35, v36 clamp
	v_dot4c_i32_i8_e32 v34, v0, v1
	v_and_b32_sdwa v0, s29, v11 dst_sel:DWORD dst_unused:UNUSED_PAD src0_sel:DWORD src1_sel:BYTE_0
	v_lshlrev_b32_e32 v1, 2, v43
	v_or_b32_sdwa v7, v35, v7 dst_sel:DWORD dst_unused:UNUSED_PAD src0_sel:BYTE_1 src1_sel:DWORD
	v_and_b32_sdwa v35, v5, s31 dst_sel:DWORD dst_unused:UNUSED_PAD src0_sel:WORD_1 src1_sel:DWORD
	v_and_or_b32 v0, v1, s30, v0
	v_sub_i16 v6, v35, v6 clamp
	v_lshlrev_b16_sdwa v5, v52, v5 dst_sel:DWORD dst_unused:UNUSED_PAD src0_sel:DWORD src1_sel:WORD_1
	v_lshlrev_b16_e32 v35, 8, v39
	v_lshlrev_b32_e32 v0, 2, v0
	v_and_b32_e32 v6, 0xffffff00, v6
	v_sub_i16 v5, v5, v35 clamp
	global_load_dword v0, v0, s[20:21]
	v_or_b32_sdwa v5, v5, v6 dst_sel:WORD_1 dst_unused:UNUSED_PAD src0_sel:BYTE_1 src1_sel:DWORD
	v_lshrrev_b16_e32 v1, 8, v11
	v_or_b32_sdwa v5, v7, v5 dst_sel:DWORD dst_unused:UNUSED_PAD src0_sel:WORD_0 src1_sel:DWORD
	v_dot4c_i32_i8_e32 v34, v5, v2
	v_lshlrev_b32_e32 v2, 1, v43
	v_and_or_b32 v1, v2, s30, v1
	v_lshlrev_b32_e32 v1, 2, v1
	global_load_dword v1, v1, s[20:21]
	v_lshrrev_b16_e32 v2, 8, v42
	v_bfe_u32 v11, v2, 3, 1
	v_lshlrev_b32_e32 v5, 5, v2
	v_lshrrev_b32_e32 v7, 1, v2
	v_cmp_ne_u16_e32 vcc, 0, v11
	v_lshlrev_b16_e32 v6, 7, v42
	v_bfe_i32 v7, v7, 0, 1
	v_lshrrev_b16_e32 v5, 7, v5
	v_cndmask_b32_e64 v11, 0, -1, vcc
	v_ashrrev_i16_e32 v6, 15, v6
	v_bfe_i32 v5, v5, 0, 1
	v_lshlrev_b16_e32 v7, 8, v7
	v_lshlrev_b16_e32 v11, 8, v11
	v_or_b32_sdwa v35, v6, v7 dst_sel:DWORD dst_unused:UNUSED_PAD src0_sel:BYTE_0 src1_sel:DWORD
	v_or_b32_sdwa v36, v5, v11 dst_sel:WORD_1 dst_unused:UNUSED_PAD src0_sel:BYTE_0 src1_sel:DWORD
	v_bfe_i32 v37, v2, 4, 1
	v_or_b32_sdwa v35, v35, v36 dst_sel:DWORD dst_unused:UNUSED_PAD src0_sel:WORD_0 src1_sel:DWORD
	v_lshlrev_b32_e32 v36, 1, v2
	v_lshrrev_b32_e32 v38, 5, v2
	v_lshrrev_b32_e32 v2, 7, v2
	v_cmp_ne_u16_e32 vcc, 0, v2
	v_bfe_i32 v38, v38, 0, 1
	v_lshrrev_b16_e32 v36, 7, v36
	v_cndmask_b32_e64 v2, 0, -1, vcc
	v_lshlrev_b16_e32 v6, 8, v6
	v_bfe_i32 v36, v36, 0, 1
	v_lshlrev_b16_e32 v38, 8, v38
	v_lshlrev_b16_e32 v2, 8, v2
	v_or_b32_sdwa v39, v37, v38 dst_sel:DWORD dst_unused:UNUSED_PAD src0_sel:BYTE_0 src1_sel:DWORD
	v_or_b32_sdwa v40, v36, v2 dst_sel:WORD_1 dst_unused:UNUSED_PAD src0_sel:BYTE_0 src1_sel:DWORD
	v_lshlrev_b16_e32 v5, 8, v5
	v_or_b32_sdwa v39, v39, v40 dst_sel:DWORD dst_unused:UNUSED_PAD src0_sel:WORD_0 src1_sel:DWORD
	v_cmp_le_u32_e32 vcc, s5, v50
	s_or_b64 s[12:13], vcc, s[12:13]
	s_waitcnt vmcnt(1)
	v_xor_b32_e32 v0, v0, v35
	v_and_b32_e32 v35, 0xffffff00, v0
	v_sub_i16 v7, v35, v7 clamp
	v_lshlrev_b16_e32 v35, 8, v0
	v_and_b32_e32 v7, 0xffffff00, v7
	v_sub_i16 v6, v35, v6 clamp
	v_or_b32_sdwa v6, v6, v7 dst_sel:DWORD dst_unused:UNUSED_PAD src0_sel:BYTE_1 src1_sel:DWORD
	v_and_b32_sdwa v7, v0, s31 dst_sel:DWORD dst_unused:UNUSED_PAD src0_sel:WORD_1 src1_sel:DWORD
	v_sub_i16 v7, v7, v11 clamp
	v_lshlrev_b16_sdwa v0, v52, v0 dst_sel:DWORD dst_unused:UNUSED_PAD src0_sel:DWORD src1_sel:WORD_1
	v_and_b32_e32 v7, 0xffffff00, v7
	v_sub_i16 v0, v0, v5 clamp
	s_waitcnt vmcnt(0)
	v_xor_b32_e32 v1, v1, v39
	v_or_b32_sdwa v0, v0, v7 dst_sel:WORD_1 dst_unused:UNUSED_PAD src0_sel:BYTE_1 src1_sel:DWORD
	v_and_b32_e32 v5, 0xffffff00, v1
	v_or_b32_sdwa v0, v6, v0 dst_sel:DWORD dst_unused:UNUSED_PAD src0_sel:WORD_0 src1_sel:DWORD
	v_sub_i16 v5, v5, v38 clamp
	v_lshlrev_b16_e32 v6, 8, v1
	v_lshlrev_b16_e32 v7, 8, v37
	v_and_b32_e32 v5, 0xffffff00, v5
	v_sub_i16 v6, v6, v7 clamp
	v_or_b32_sdwa v5, v6, v5 dst_sel:DWORD dst_unused:UNUSED_PAD src0_sel:BYTE_1 src1_sel:DWORD
	v_and_b32_sdwa v6, v1, s31 dst_sel:DWORD dst_unused:UNUSED_PAD src0_sel:WORD_1 src1_sel:DWORD
	v_sub_i16 v2, v6, v2 clamp
	v_lshlrev_b16_sdwa v1, v52, v1 dst_sel:DWORD dst_unused:UNUSED_PAD src0_sel:DWORD src1_sel:WORD_1
	v_lshlrev_b16_e32 v6, 8, v36
	v_and_b32_e32 v2, 0xffffff00, v2
	v_sub_i16 v1, v1, v6 clamp
	v_or_b32_sdwa v1, v1, v2 dst_sel:WORD_1 dst_unused:UNUSED_PAD src0_sel:BYTE_1 src1_sel:DWORD
	v_dot4c_i32_i8_e32 v34, v0, v3
	v_or_b32_sdwa v1, v5, v1 dst_sel:DWORD dst_unused:UNUSED_PAD src0_sel:WORD_0 src1_sel:DWORD
	v_dot4c_i32_i8_e32 v34, v1, v9
	global_load_ushort v0, v[30:31], off
	global_load_ubyte v1, v[28:29], off offset:106
	global_load_ubyte v2, v[32:33], off offset:106
	s_waitcnt vmcnt(1)
	v_lshrrev_b32_e32 v1, v18, v1
	s_waitcnt vmcnt(0)
	v_lshrrev_b32_e32 v2, v13, v2
	v_lshlrev_b32_e32 v1, 1, v1
	v_lshlrev_b32_e32 v2, 1, v2
	v_and_or_b32 v1, v1, 30, 1
	v_and_or_b32 v3, v2, 30, 1
	v_mul_lo_u32 v2, v10, v1
	v_cvt_f32_f16_e32 v1, v0
	v_cvt_f32_f16_e32 v0, v8
	v_mul_lo_u32 v3, v34, v3
	v_cvt_f32_i32_e32 v3, v3
	v_cvt_f32_i32_e32 v2, v2
	v_pk_mul_f32 v[0:1], v[4:5], v[0:1] op_sel_hi:[0,1]
	scratch_load_dwordx2 v[4:5], off, off offset:48
	s_waitcnt vmcnt(0)
	v_pk_fma_f32 v[0:1], v[0:1], v[2:3], v[4:5]
	scratch_store_dwordx2 off, v[0:1], off offset:48
	s_andn2_b64 exec, exec, s[12:13]
	s_cbranch_execnz .LBB262_2
.LBB262_3:
	s_or_b64 exec, exec, s[6:7]
	s_mov_b32 s5, 0
	v_cmp_eq_u32_e32 vcc, 0, v19
	s_waitcnt lgkmcnt(0)
	; wave barrier
	s_and_saveexec_b64 s[6:7], vcc
	s_cbranch_execz .LBB262_18
; %bb.4:
	scratch_load_dwordx2 v[2:3], off, off
	v_mbcnt_lo_u32_b32 v0, -1, 0
	v_mbcnt_hi_u32_b32 v13, -1, v0
	s_load_dwordx2 s[6:7], s[0:1], 0x38
	s_mul_i32 s0, s3, s14
	v_or_b32_e32 v1, s2, v12
	v_and_b32_e32 v0, 64, v13
	s_mul_i32 s4, s4, s18
	s_add_i32 s2, s0, s2
	v_cmp_gt_u32_e64 s[0:1], s10, v1
	v_xor_b32_e32 v1, 32, v13
	v_add_u32_e32 v14, 64, v0
	s_add_i32 s4, s2, s4
	v_cmp_lt_i32_e64 s[2:3], v1, v14
	v_cmp_gt_u32_e32 vcc, 2, v12
	s_nop 0
	v_cndmask_b32_e64 v0, v13, v1, s[2:3]
	v_lshlrev_b32_e32 v0, 2, v0
	v_xor_b32_e32 v1, 16, v13
	v_cmp_lt_i32_e64 s[2:3], v1, v14
	s_waitcnt vmcnt(0)
	ds_bpermute_b32 v4, v0, v2
	ds_bpermute_b32 v5, v0, v3
	v_cndmask_b32_e64 v1, v13, v1, s[2:3]
	v_lshlrev_b32_e32 v1, 2, v1
	s_waitcnt lgkmcnt(0)
	v_pk_add_f32 v[4:5], v[2:3], v[4:5]
	ds_bpermute_b32 v6, v1, v4
	ds_bpermute_b32 v7, v1, v5
	v_xor_b32_e32 v2, 8, v13
	v_cmp_lt_i32_e64 s[2:3], v2, v14
	v_xor_b32_e32 v3, 4, v13
	s_waitcnt lgkmcnt(0)
	v_pk_add_f32 v[4:5], v[4:5], v[6:7]
	v_cndmask_b32_e64 v2, v13, v2, s[2:3]
	v_lshlrev_b32_e32 v2, 2, v2
	ds_bpermute_b32 v6, v2, v4
	ds_bpermute_b32 v7, v2, v5
	v_cmp_lt_i32_e64 s[2:3], v3, v14
	s_waitcnt lgkmcnt(0)
	v_pk_add_f32 v[6:7], v[4:5], v[6:7]
	v_cndmask_b32_e64 v3, v13, v3, s[2:3]
	v_lshlrev_b32_e32 v3, 2, v3
	ds_bpermute_b32 v8, v3, v6
	ds_bpermute_b32 v9, v3, v7
	v_xor_b32_e32 v4, 2, v13
	v_cmp_lt_i32_e64 s[2:3], v4, v14
	v_xor_b32_e32 v5, 1, v13
	s_waitcnt lgkmcnt(0)
	v_pk_add_f32 v[8:9], v[6:7], v[8:9]
	v_cndmask_b32_e64 v4, v13, v4, s[2:3]
	v_lshlrev_b32_e32 v4, 2, v4
	ds_bpermute_b32 v10, v4, v8
	ds_bpermute_b32 v11, v4, v9
	v_cmp_lt_i32_e64 s[2:3], v5, v14
	s_waitcnt lgkmcnt(0)
	v_pk_add_f32 v[8:9], v[8:9], v[10:11]
	v_cndmask_b32_e64 v5, v13, v5, s[2:3]
	v_lshlrev_b32_e32 v6, 2, v5
	ds_bpermute_b32 v10, v6, v8
	ds_bpermute_b32 v11, v6, v9
	s_lshl_b64 s[2:3], s[4:5], 2
	s_add_u32 s2, s6, s2
	s_addc_u32 s3, s7, s3
	s_and_b64 s[0:1], vcc, s[0:1]
	s_waitcnt lgkmcnt(0)
	v_pk_add_f32 v[8:9], v[8:9], v[10:11]
	v_lshlrev_b32_e32 v5, 2, v12
	scratch_store_dwordx2 off, v[8:9], off
	s_and_saveexec_b64 s[4:5], s[0:1]
	s_cbranch_execz .LBB262_6
; %bb.5:
	scratch_load_dword v7, v5, off
	s_waitcnt vmcnt(0)
	global_store_dword v5, v7, s[2:3]
.LBB262_6:
	s_or_b64 exec, exec, s[4:5]
	scratch_load_dwordx2 v[8:9], off, off offset:8
	s_waitcnt vmcnt(0)
	ds_bpermute_b32 v10, v0, v8
	ds_bpermute_b32 v11, v0, v9
	s_waitcnt lgkmcnt(0)
	v_pk_add_f32 v[8:9], v[8:9], v[10:11]
	ds_bpermute_b32 v10, v1, v8
	ds_bpermute_b32 v11, v1, v9
	s_waitcnt lgkmcnt(0)
	v_pk_add_f32 v[8:9], v[8:9], v[10:11]
	;; [unrolled: 4-line block ×6, first 2 shown]
	scratch_store_dwordx2 off, v[8:9], off offset:8
	s_and_saveexec_b64 s[4:5], s[0:1]
	s_cbranch_execz .LBB262_8
; %bb.7:
	scratch_load_dword v7, v5, off offset:8
	v_add_u32_e32 v8, s10, v12
	v_mov_b32_e32 v9, 0
	v_lshl_add_u64 v[8:9], v[8:9], 2, s[2:3]
	s_waitcnt vmcnt(0)
	global_store_dword v[8:9], v7, off
.LBB262_8:
	s_or_b64 exec, exec, s[4:5]
	scratch_load_dwordx2 v[8:9], off, off offset:16
	s_waitcnt vmcnt(0)
	ds_bpermute_b32 v10, v0, v8
	ds_bpermute_b32 v11, v0, v9
	s_waitcnt lgkmcnt(0)
	v_pk_add_f32 v[8:9], v[8:9], v[10:11]
	ds_bpermute_b32 v10, v1, v8
	ds_bpermute_b32 v11, v1, v9
	s_waitcnt lgkmcnt(0)
	v_pk_add_f32 v[8:9], v[8:9], v[10:11]
	;; [unrolled: 4-line block ×6, first 2 shown]
	scratch_store_dwordx2 off, v[8:9], off offset:16
	s_and_saveexec_b64 s[4:5], s[0:1]
	s_cbranch_execz .LBB262_10
; %bb.9:
	scratch_load_dword v7, v5, off offset:16
	v_lshl_or_b32 v8, s10, 1, v12
	v_mov_b32_e32 v9, 0
	v_lshl_add_u64 v[8:9], v[8:9], 2, s[2:3]
	s_waitcnt vmcnt(0)
	global_store_dword v[8:9], v7, off
.LBB262_10:
	s_or_b64 exec, exec, s[4:5]
	scratch_load_dwordx2 v[8:9], off, off offset:24
	s_waitcnt vmcnt(0)
	ds_bpermute_b32 v10, v0, v8
	ds_bpermute_b32 v11, v0, v9
	s_waitcnt lgkmcnt(0)
	v_pk_add_f32 v[8:9], v[8:9], v[10:11]
	ds_bpermute_b32 v10, v1, v8
	ds_bpermute_b32 v11, v1, v9
	s_waitcnt lgkmcnt(0)
	v_pk_add_f32 v[8:9], v[8:9], v[10:11]
	;; [unrolled: 4-line block ×6, first 2 shown]
	scratch_store_dwordx2 off, v[8:9], off offset:24
	s_and_saveexec_b64 s[4:5], s[0:1]
	s_cbranch_execz .LBB262_12
; %bb.11:
	scratch_load_dword v7, v5, off offset:24
	v_mad_u64_u32 v[8:9], s[6:7], s10, 3, v[12:13]
	v_mov_b32_e32 v9, 0
	v_lshl_add_u64 v[8:9], v[8:9], 2, s[2:3]
	s_waitcnt vmcnt(0)
	global_store_dword v[8:9], v7, off
.LBB262_12:
	s_or_b64 exec, exec, s[4:5]
	scratch_load_dwordx2 v[8:9], off, off offset:32
	s_waitcnt vmcnt(0)
	ds_bpermute_b32 v10, v0, v8
	ds_bpermute_b32 v11, v0, v9
	s_waitcnt lgkmcnt(0)
	v_pk_add_f32 v[8:9], v[8:9], v[10:11]
	ds_bpermute_b32 v10, v1, v8
	ds_bpermute_b32 v11, v1, v9
	s_waitcnt lgkmcnt(0)
	v_pk_add_f32 v[8:9], v[8:9], v[10:11]
	;; [unrolled: 4-line block ×6, first 2 shown]
	scratch_store_dwordx2 off, v[8:9], off offset:32
	s_and_saveexec_b64 s[4:5], s[0:1]
	s_cbranch_execz .LBB262_14
; %bb.13:
	scratch_load_dword v7, v5, off offset:32
	v_lshl_or_b32 v8, s10, 2, v12
	v_mov_b32_e32 v9, 0
	v_lshl_add_u64 v[8:9], v[8:9], 2, s[2:3]
	s_waitcnt vmcnt(0)
	global_store_dword v[8:9], v7, off
.LBB262_14:
	s_or_b64 exec, exec, s[4:5]
	scratch_load_dwordx2 v[8:9], off, off offset:40
	s_waitcnt vmcnt(0)
	ds_bpermute_b32 v10, v0, v8
	ds_bpermute_b32 v11, v0, v9
	s_waitcnt lgkmcnt(0)
	v_pk_add_f32 v[8:9], v[8:9], v[10:11]
	ds_bpermute_b32 v10, v1, v8
	ds_bpermute_b32 v11, v1, v9
	s_waitcnt lgkmcnt(0)
	v_pk_add_f32 v[8:9], v[8:9], v[10:11]
	;; [unrolled: 4-line block ×6, first 2 shown]
	scratch_store_dwordx2 off, v[8:9], off offset:40
	s_and_saveexec_b64 s[4:5], s[0:1]
	s_cbranch_execz .LBB262_16
; %bb.15:
	scratch_load_dword v7, v5, off offset:40
	v_mad_u64_u32 v[8:9], s[6:7], s10, 5, v[12:13]
	v_mov_b32_e32 v9, 0
	v_lshl_add_u64 v[8:9], v[8:9], 2, s[2:3]
	s_waitcnt vmcnt(0)
	global_store_dword v[8:9], v7, off
.LBB262_16:
	s_or_b64 exec, exec, s[4:5]
	scratch_load_dwordx2 v[8:9], off, off offset:48
	s_waitcnt vmcnt(0)
	ds_bpermute_b32 v10, v0, v8
	ds_bpermute_b32 v11, v0, v9
	s_waitcnt lgkmcnt(0)
	v_pk_add_f32 v[8:9], v[8:9], v[10:11]
	ds_bpermute_b32 v0, v1, v8
	ds_bpermute_b32 v1, v1, v9
	s_waitcnt lgkmcnt(0)
	v_pk_add_f32 v[0:1], v[8:9], v[0:1]
	ds_bpermute_b32 v8, v2, v0
	ds_bpermute_b32 v9, v2, v1
	s_waitcnt lgkmcnt(0)
	v_pk_add_f32 v[0:1], v[0:1], v[8:9]
	ds_bpermute_b32 v2, v3, v0
	ds_bpermute_b32 v3, v3, v1
	s_waitcnt lgkmcnt(0)
	v_pk_add_f32 v[0:1], v[0:1], v[2:3]
	ds_bpermute_b32 v2, v4, v0
	ds_bpermute_b32 v3, v4, v1
	s_waitcnt lgkmcnt(0)
	v_pk_add_f32 v[0:1], v[0:1], v[2:3]
	ds_bpermute_b32 v2, v6, v0
	ds_bpermute_b32 v3, v6, v1
	s_waitcnt lgkmcnt(0)
	v_pk_add_f32 v[0:1], v[0:1], v[2:3]
	scratch_store_dwordx2 off, v[0:1], off offset:48
	s_and_b64 exec, exec, s[0:1]
	s_cbranch_execz .LBB262_18
; %bb.17:
	scratch_load_dword v2, v5, off offset:48
	s_mul_i32 s0, s10, 6
	v_or_b32_e32 v0, s0, v12
	v_mov_b32_e32 v1, 0
	v_lshl_add_u64 v[0:1], v[0:1], 2, s[2:3]
	s_waitcnt vmcnt(0)
	global_store_dword v[0:1], v2, off
.LBB262_18:
	s_endpgm
	.section	.rodata,"a",@progbits
	.p2align	6, 0x0
	.amdhsa_kernel _ZL13mul_mat_vec_qIL9ggml_type21ELi7ELb0ELb0EEvPKvS2_PKi31ggml_cuda_mm_fusion_args_devicePfj15HIP_vector_typeIjLj3EEjjjS8_jjjS8_jjjj
		.amdhsa_group_segment_fixed_size 0
		.amdhsa_private_segment_fixed_size 64
		.amdhsa_kernarg_size 144
		.amdhsa_user_sgpr_count 2
		.amdhsa_user_sgpr_dispatch_ptr 0
		.amdhsa_user_sgpr_queue_ptr 0
		.amdhsa_user_sgpr_kernarg_segment_ptr 1
		.amdhsa_user_sgpr_dispatch_id 0
		.amdhsa_user_sgpr_kernarg_preload_length 0
		.amdhsa_user_sgpr_kernarg_preload_offset 0
		.amdhsa_user_sgpr_private_segment_size 0
		.amdhsa_uses_dynamic_stack 0
		.amdhsa_enable_private_segment 1
		.amdhsa_system_sgpr_workgroup_id_x 1
		.amdhsa_system_sgpr_workgroup_id_y 1
		.amdhsa_system_sgpr_workgroup_id_z 1
		.amdhsa_system_sgpr_workgroup_info 0
		.amdhsa_system_vgpr_workitem_id 1
		.amdhsa_next_free_vgpr 107
		.amdhsa_next_free_sgpr 36
		.amdhsa_accum_offset 108
		.amdhsa_reserve_vcc 1
		.amdhsa_float_round_mode_32 0
		.amdhsa_float_round_mode_16_64 0
		.amdhsa_float_denorm_mode_32 3
		.amdhsa_float_denorm_mode_16_64 3
		.amdhsa_dx10_clamp 1
		.amdhsa_ieee_mode 1
		.amdhsa_fp16_overflow 0
		.amdhsa_tg_split 0
		.amdhsa_exception_fp_ieee_invalid_op 0
		.amdhsa_exception_fp_denorm_src 0
		.amdhsa_exception_fp_ieee_div_zero 0
		.amdhsa_exception_fp_ieee_overflow 0
		.amdhsa_exception_fp_ieee_underflow 0
		.amdhsa_exception_fp_ieee_inexact 0
		.amdhsa_exception_int_div_zero 0
	.end_amdhsa_kernel
	.section	.text._ZL13mul_mat_vec_qIL9ggml_type21ELi7ELb0ELb0EEvPKvS2_PKi31ggml_cuda_mm_fusion_args_devicePfj15HIP_vector_typeIjLj3EEjjjS8_jjjS8_jjjj,"axG",@progbits,_ZL13mul_mat_vec_qIL9ggml_type21ELi7ELb0ELb0EEvPKvS2_PKi31ggml_cuda_mm_fusion_args_devicePfj15HIP_vector_typeIjLj3EEjjjS8_jjjS8_jjjj,comdat
.Lfunc_end262:
	.size	_ZL13mul_mat_vec_qIL9ggml_type21ELi7ELb0ELb0EEvPKvS2_PKi31ggml_cuda_mm_fusion_args_devicePfj15HIP_vector_typeIjLj3EEjjjS8_jjjS8_jjjj, .Lfunc_end262-_ZL13mul_mat_vec_qIL9ggml_type21ELi7ELb0ELb0EEvPKvS2_PKi31ggml_cuda_mm_fusion_args_devicePfj15HIP_vector_typeIjLj3EEjjjS8_jjjS8_jjjj
                                        ; -- End function
	.section	.AMDGPU.csdata,"",@progbits
; Kernel info:
; codeLenInByte = 22136
; NumSgprs: 42
; NumVgprs: 107
; NumAgprs: 0
; TotalNumVgprs: 107
; ScratchSize: 64
; MemoryBound: 0
; FloatMode: 240
; IeeeMode: 1
; LDSByteSize: 0 bytes/workgroup (compile time only)
; SGPRBlocks: 5
; VGPRBlocks: 13
; NumSGPRsForWavesPerEU: 42
; NumVGPRsForWavesPerEU: 107
; AccumOffset: 108
; Occupancy: 4
; WaveLimiterHint : 0
; COMPUTE_PGM_RSRC2:SCRATCH_EN: 1
; COMPUTE_PGM_RSRC2:USER_SGPR: 2
; COMPUTE_PGM_RSRC2:TRAP_HANDLER: 0
; COMPUTE_PGM_RSRC2:TGID_X_EN: 1
; COMPUTE_PGM_RSRC2:TGID_Y_EN: 1
; COMPUTE_PGM_RSRC2:TGID_Z_EN: 1
; COMPUTE_PGM_RSRC2:TIDIG_COMP_CNT: 1
; COMPUTE_PGM_RSRC3_GFX90A:ACCUM_OFFSET: 26
; COMPUTE_PGM_RSRC3_GFX90A:TG_SPLIT: 0
	.section	.text._ZL13mul_mat_vec_qIL9ggml_type21ELi8ELb0ELb0EEvPKvS2_PKi31ggml_cuda_mm_fusion_args_devicePfj15HIP_vector_typeIjLj3EEjjjS8_jjjS8_jjjj,"axG",@progbits,_ZL13mul_mat_vec_qIL9ggml_type21ELi8ELb0ELb0EEvPKvS2_PKi31ggml_cuda_mm_fusion_args_devicePfj15HIP_vector_typeIjLj3EEjjjS8_jjjS8_jjjj,comdat
	.globl	_ZL13mul_mat_vec_qIL9ggml_type21ELi8ELb0ELb0EEvPKvS2_PKi31ggml_cuda_mm_fusion_args_devicePfj15HIP_vector_typeIjLj3EEjjjS8_jjjS8_jjjj ; -- Begin function _ZL13mul_mat_vec_qIL9ggml_type21ELi8ELb0ELb0EEvPKvS2_PKi31ggml_cuda_mm_fusion_args_devicePfj15HIP_vector_typeIjLj3EEjjjS8_jjjS8_jjjj
	.p2align	8
	.type	_ZL13mul_mat_vec_qIL9ggml_type21ELi8ELb0ELb0EEvPKvS2_PKi31ggml_cuda_mm_fusion_args_devicePfj15HIP_vector_typeIjLj3EEjjjS8_jjjS8_jjjj,@function
_ZL13mul_mat_vec_qIL9ggml_type21ELi8ELb0ELb0EEvPKvS2_PKi31ggml_cuda_mm_fusion_args_devicePfj15HIP_vector_typeIjLj3EEjjjS8_jjjS8_jjjj: ; @_ZL13mul_mat_vec_qIL9ggml_type21ELi8ELb0ELb0EEvPKvS2_PKi31ggml_cuda_mm_fusion_args_devicePfj15HIP_vector_typeIjLj3EEjjjS8_jjjS8_jjjj
; %bb.0:
	v_bfe_u32 v19, v0, 10, 10
	v_and_b32_e32 v12, 0x3ff, v0
	s_mov_b32 s20, 0
	s_load_dword s5, s[0:1], 0x40
	s_load_dwordx4 s[8:11], s[0:1], 0x50
	s_load_dword s27, s[0:1], 0x60
	s_load_dwordx4 s[12:15], s[0:1], 0x68
	;; [unrolled: 2-line block ×3, first 2 shown]
	v_lshl_or_b32 v4, v19, 6, v12
	s_mov_b32 s21, s20
	s_waitcnt lgkmcnt(0)
	s_lshr_b32 s5, s5, 8
	s_mov_b32 s22, s20
	s_mov_b32 s23, s20
	v_mov_b64_e32 v[0:1], s[20:21]
	v_lshrrev_b32_e32 v50, 3, v4
	s_lshl_b32 s2, s2, 1
	v_mov_b64_e32 v[2:3], s[22:23]
	v_cmp_gt_u32_e32 vcc, s5, v50
	scratch_store_dwordx4 off, v[0:3], off offset:48
	scratch_store_dwordx4 off, v[0:3], off offset:32
	;; [unrolled: 1-line block ×3, first 2 shown]
	scratch_store_dwordx4 off, v[0:3], off
	s_and_saveexec_b64 s[6:7], vcc
	s_cbranch_execz .LBB263_3
; %bb.1:
	s_load_dwordx4 s[20:23], s[0:1], 0x0
	s_mul_i32 s17, s4, s17
	s_mul_i32 s24, s17, 36
	;; [unrolled: 1-line block ×3, first 2 shown]
	s_mul_hi_u32 s19, s17, 36
	s_waitcnt lgkmcnt(0)
	s_add_u32 s24, s22, s24
	s_addc_u32 s19, s23, s19
	s_mul_i32 s28, s13, 36
	s_mul_hi_u32 s29, s13, 36
	s_add_u32 s24, s24, s28
	s_mul_hi_u32 s11, s11, s3
	s_addc_u32 s25, s19, s29
	s_add_i32 s11, s3, s11
	s_lshr_b32 s11, s11, s27
	s_mul_i32 s11, s11, s12
	s_mul_hi_u32 s12, s15, s4
	s_add_i32 s12, s4, s12
	s_lshr_b32 s12, s12, s26
	s_mul_i32 s12, s12, s16
	s_mul_i32 s13, s2, s8
	s_add_i32 s12, s12, s11
	v_lshlrev_b32_e32 v1, 1, v12
	s_add_i32 s11, s12, s13
	s_add_i32 s13, s2, 1
	v_and_b32_e32 v0, 14, v1
	v_bfe_u32 v16, v1, 2, 2
	s_mul_i32 s8, s8, s13
	v_lshl_add_u32 v1, v19, 6, v12
	s_add_i32 s8, s12, s8
	v_lshrrev_b32_e32 v1, 3, v1
	s_movk_i32 s12, 0x120
	v_mov_b64_e32 v[4:5], s[28:29]
	v_mad_u64_u32 v[4:5], s[12:13], v1, s12, v[4:5]
	v_and_b32_e32 v14, 7, v12
	v_mad_u64_u32 v[4:5], s[12:13], s17, 36, v[4:5]
	v_lshlrev_b32_e32 v2, 1, v0
	v_mad_u64_u32 v[4:5], s[12:13], v14, 36, v[4:5]
	v_mov_b32_e32 v15, 0
	v_and_b32_e32 v18, 4, v2
	v_lshl_add_u64 v[4:5], v[4:5], 0, s[22:23]
	v_mov_b32_e32 v17, v15
	v_mov_b32_e32 v13, v18
	v_lshlrev_b32_e32 v51, 3, v50
	s_mul_i32 s15, s9, 7
	s_mul_i32 s19, s9, 6
	;; [unrolled: 1-line block ×3, first 2 shown]
	s_lshl_b32 s27, s9, 2
	v_lshl_add_u64 v[20:21], v[4:5], 0, 16
	s_lshl_b32 s22, s9, 1
	s_mul_i32 s23, s9, 3
	s_mov_b64 s[12:13], 0
	s_movk_i32 s28, 0x6e
	v_mov_b64_e32 v[22:23], s[20:21]
	v_lshlrev_b32_e32 v24, 1, v2
	v_lshlrev_b32_e32 v26, 1, v0
	s_movk_i32 s29, 0xff
	s_mov_b32 s30, 0xffff
	s_movk_i32 s31, 0x100
	s_movk_i32 s33, 0xff00
	s_mov_b64 s[16:17], 0x900
	v_mov_b32_e32 v25, v15
	v_mov_b32_e32 v27, v15
	;; [unrolled: 1-line block ×5, first 2 shown]
.LBB263_2:                              ; =>This Inner Loop Header: Depth=1
	v_add_u32_e32 v9, s11, v50
	v_mad_i64_i32 v[34:35], s[20:21], v9, s28, v[22:23]
	v_lshl_add_u64 v[42:43], v[34:35], 0, v[24:25]
	v_lshl_add_u64 v[44:45], v[34:35], 0, v[14:15]
	global_load_dword v8, v[20:21], off offset:16
	global_load_dwordx4 v[0:3], v[20:21], off
	global_load_dwordx4 v[4:7], v[20:21], off offset:-16
	global_load_ushort v9, v[42:43], off offset:2
	global_load_dword v62, v[42:43], off offset:2
	global_load_dword v56, v[42:43], off offset:4
	;; [unrolled: 1-line block ×3, first 2 shown]
	global_load_ubyte v29, v[44:45], off offset:66
	v_lshl_add_u64 v[46:47], v[34:35], 0, v[26:27]
	global_load_ushort v30, v[46:47], off offset:74
	global_load_dword v57, v[46:47], off offset:74
	s_getpc_b64 s[20:21]
	s_add_u32 s20, s20, _ZL9iq3s_grid@rel32@lo+4
	s_addc_u32 s21, s21, _ZL9iq3s_grid@rel32@hi+12
	v_lshl_add_u64 v[20:21], v[20:21], 0, s[16:17]
	s_waitcnt vmcnt(7)
	v_cvt_f32_f16_e32 v4, v4
	s_waitcnt vmcnt(6)
	v_and_b32_sdwa v33, s30, v9 dst_sel:DWORD dst_unused:UNUSED_PAD src0_sel:DWORD src1_sel:BYTE_0
	v_lshrrev_b16_e32 v9, 8, v9
	s_waitcnt vmcnt(5)
	v_lshrrev_b32_e32 v10, 16, v62
	s_waitcnt vmcnt(2)
	v_lshlrev_b32_e32 v36, 8, v29
	v_and_or_b32 v33, v36, s31, v33
	v_lshlrev_b32_e32 v33, 2, v33
	global_load_dword v33, v33, s[20:21]
	v_lshlrev_b32_e32 v36, 7, v29
	v_and_or_b32 v9, v36, s31, v9
	v_lshlrev_b32_e32 v9, 2, v9
	global_load_dword v9, v9, s[20:21]
	s_waitcnt vmcnt(3)
	v_and_b32_sdwa v36, s30, v30 dst_sel:DWORD dst_unused:UNUSED_PAD src0_sel:DWORD src1_sel:BYTE_0
	v_bfe_u32 v40, v36, 3, 1
	v_lshlrev_b32_e32 v37, 5, v36
	v_lshrrev_b32_e32 v39, 1, v36
	v_cmp_ne_u16_e32 vcc, 0, v40
	v_and_b32_e32 v38, 1, v30
	v_bfe_i32 v39, v39, 0, 1
	v_lshrrev_b16_e32 v37, 7, v37
	v_cndmask_b32_e64 v40, 0, -1, vcc
	v_sub_u16_e32 v38, 0, v38
	v_bfe_i32 v37, v37, 0, 1
	v_lshlrev_b16_e32 v39, 8, v39
	v_lshlrev_b16_e32 v40, 8, v40
	v_or_b32_sdwa v41, v38, v39 dst_sel:DWORD dst_unused:UNUSED_PAD src0_sel:BYTE_0 src1_sel:DWORD
	v_or_b32_sdwa v48, v37, v40 dst_sel:WORD_1 dst_unused:UNUSED_PAD src0_sel:BYTE_0 src1_sel:DWORD
	v_bfe_i32 v49, v36, 4, 1
	v_or_b32_sdwa v41, v41, v48 dst_sel:DWORD dst_unused:UNUSED_PAD src0_sel:WORD_0 src1_sel:DWORD
	v_lshlrev_b32_e32 v48, 1, v36
	v_lshrrev_b32_e32 v58, 5, v36
	v_lshrrev_b32_e32 v36, 7, v36
	v_cmp_ne_u16_e32 vcc, 0, v36
	v_lshlrev_b16_e32 v38, 8, v38
	v_bfe_i32 v58, v58, 0, 1
	v_lshrrev_b16_e32 v48, 7, v48
	v_cndmask_b32_e64 v36, 0, -1, vcc
	v_bfe_i32 v48, v48, 0, 1
	v_lshlrev_b16_e32 v58, 8, v58
	v_lshlrev_b16_e32 v36, 8, v36
	v_or_b32_sdwa v59, v49, v58 dst_sel:DWORD dst_unused:UNUSED_PAD src0_sel:BYTE_0 src1_sel:DWORD
	v_or_b32_sdwa v60, v48, v36 dst_sel:WORD_1 dst_unused:UNUSED_PAD src0_sel:BYTE_0 src1_sel:DWORD
	v_lshlrev_b16_e32 v37, 8, v37
	v_or_b32_sdwa v59, v59, v60 dst_sel:DWORD dst_unused:UNUSED_PAD src0_sel:WORD_0 src1_sel:DWORD
	v_lshrrev_b32_e32 v11, 16, v56
	s_waitcnt vmcnt(2)
	v_lshrrev_b32_e32 v31, 16, v57
	v_lshrrev_b32_e32 v28, 16, v55
	;; [unrolled: 1-line block ×3, first 2 shown]
	s_waitcnt vmcnt(1)
	v_xor_b32_e32 v33, v33, v41
	v_and_b32_e32 v41, 0xffffff00, v33
	v_sub_i16 v39, v41, v39 clamp
	v_lshlrev_b16_e32 v41, 8, v33
	v_and_b32_e32 v39, 0xffffff00, v39
	v_sub_i16 v38, v41, v38 clamp
	v_or_b32_sdwa v38, v38, v39 dst_sel:DWORD dst_unused:UNUSED_PAD src0_sel:BYTE_1 src1_sel:DWORD
	v_and_b32_sdwa v39, v33, s33 dst_sel:DWORD dst_unused:UNUSED_PAD src0_sel:WORD_1 src1_sel:DWORD
	v_sub_i16 v39, v39, v40 clamp
	v_lshlrev_b16_sdwa v33, v52, v33 dst_sel:DWORD dst_unused:UNUSED_PAD src0_sel:DWORD src1_sel:WORD_1
	v_and_b32_e32 v39, 0xffffff00, v39
	v_sub_i16 v33, v33, v37 clamp
	v_or_b32_sdwa v33, v33, v39 dst_sel:WORD_1 dst_unused:UNUSED_PAD src0_sel:BYTE_1 src1_sel:DWORD
	s_waitcnt vmcnt(0)
	v_xor_b32_e32 v9, v9, v59
	v_or_b32_sdwa v63, v38, v33 dst_sel:DWORD dst_unused:UNUSED_PAD src0_sel:WORD_0 src1_sel:DWORD
	v_and_b32_e32 v33, 0xffffff00, v9
	v_sub_i16 v33, v33, v58 clamp
	v_lshlrev_b16_e32 v37, 8, v9
	v_lshlrev_b16_e32 v38, 8, v49
	v_and_b32_e32 v33, 0xffffff00, v33
	v_sub_i16 v37, v37, v38 clamp
	v_or_b32_sdwa v33, v37, v33 dst_sel:DWORD dst_unused:UNUSED_PAD src0_sel:BYTE_1 src1_sel:DWORD
	v_and_b32_sdwa v37, v9, s33 dst_sel:DWORD dst_unused:UNUSED_PAD src0_sel:WORD_1 src1_sel:DWORD
	v_sub_i16 v36, v37, v36 clamp
	v_lshlrev_b16_sdwa v9, v52, v9 dst_sel:DWORD dst_unused:UNUSED_PAD src0_sel:DWORD src1_sel:WORD_1
	v_lshlrev_b16_e32 v37, 8, v48
	v_and_b32_e32 v36, 0xffffff00, v36
	v_sub_i16 v9, v9, v37 clamp
	v_or_b32_sdwa v9, v9, v36 dst_sel:WORD_1 dst_unused:UNUSED_PAD src0_sel:BYTE_1 src1_sel:DWORD
	v_lshrrev_b16_e32 v36, 8, v30
	v_or_b32_sdwa v64, v33, v9 dst_sel:DWORD dst_unused:UNUSED_PAD src0_sel:WORD_0 src1_sel:DWORD
	v_lshlrev_b32_e32 v33, 6, v29
	v_and_b32_e32 v65, 0x100, v33
	v_and_or_b32 v10, v10, s29, v65
	v_lshlrev_b32_e32 v10, 2, v10
	global_load_dword v10, v10, s[20:21]
	v_bfe_u32 v39, v36, 3, 1
	v_lshlrev_b32_e32 v37, 5, v36
	v_lshrrev_b32_e32 v38, 1, v36
	v_cmp_ne_u16_e32 vcc, 0, v39
	v_lshlrev_b16_e32 v30, 7, v30
	v_bfe_i32 v38, v38, 0, 1
	v_lshrrev_b16_e32 v37, 7, v37
	v_cndmask_b32_e64 v39, 0, -1, vcc
	v_ashrrev_i16_e32 v30, 15, v30
	v_bfe_i32 v37, v37, 0, 1
	v_lshlrev_b16_e32 v69, 8, v38
	v_lshlrev_b16_e32 v67, 8, v39
	v_lshlrev_b32_e32 v33, 5, v29
	v_or_b32_sdwa v38, v30, v69 dst_sel:DWORD dst_unused:UNUSED_PAD src0_sel:BYTE_0 src1_sel:DWORD
	v_or_b32_sdwa v39, v37, v67 dst_sel:WORD_1 dst_unused:UNUSED_PAD src0_sel:BYTE_0 src1_sel:DWORD
	v_and_b32_e32 v66, 0x100, v33
	v_or_b32_sdwa v71, v38, v39 dst_sel:DWORD dst_unused:UNUSED_PAD src0_sel:WORD_0 src1_sel:DWORD
	v_lshlrev_b32_e32 v38, 1, v36
	v_bfe_i32 v39, v36, 4, 1
	v_lshrrev_b32_e32 v40, 5, v36
	v_lshrrev_b32_e32 v36, 7, v36
	v_or_b32_sdwa v33, v66, v62 dst_sel:DWORD dst_unused:UNUSED_PAD src0_sel:DWORD src1_sel:BYTE_3
	v_cmp_ne_u16_e32 vcc, 0, v36
	v_lshlrev_b32_e32 v33, 2, v33
	global_load_dword v33, v33, s[20:21]
	v_bfe_i32 v40, v40, 0, 1
	v_lshrrev_b16_e32 v38, 7, v38
	v_cndmask_b32_e64 v36, 0, -1, vcc
	v_bfe_i32 v38, v38, 0, 1
	v_lshlrev_b16_e32 v70, 8, v40
	v_lshlrev_b16_e32 v68, 8, v36
	v_or_b32_sdwa v40, v39, v70 dst_sel:DWORD dst_unused:UNUSED_PAD src0_sel:BYTE_0 src1_sel:DWORD
	v_or_b32_sdwa v36, v38, v68 dst_sel:WORD_1 dst_unused:UNUSED_PAD src0_sel:BYTE_0 src1_sel:DWORD
	v_lshlrev_b16_e32 v73, 8, v30
	v_or_b32_sdwa v72, v40, v36 dst_sel:DWORD dst_unused:UNUSED_PAD src0_sel:WORD_0 src1_sel:DWORD
	v_lshlrev_b16_e32 v74, 8, v37
	v_mov_b32_e32 v9, 0
	v_dot4c_i32_i8_e32 v9, v63, v5
	v_dot4c_i32_i8_e32 v9, v64, v6
	v_lshlrev_b16_e32 v75, 8, v39
	v_lshlrev_b16_e32 v76, 8, v38
	v_bfe_u32 v37, v57, 19, 1
	v_cmp_ne_u16_e32 vcc, 0, v37
	v_bfe_u32 v48, v31, 7, 1
	v_bfe_u32 v41, v31, 5, 3
	v_cndmask_b32_e64 v37, 0, -1, vcc
	v_lshlrev_b16_e32 v37, 8, v37
	v_cmp_ne_u16_e32 vcc, 0, v48
	v_bfe_i32 v41, v41, 0, 1
	v_lshlrev_b16_e32 v41, 8, v41
	v_cndmask_b32_e64 v48, 0, -1, vcc
	v_lshlrev_b16_e32 v48, 8, v48
	s_waitcnt vmcnt(1)
	v_xor_b32_e32 v10, v10, v71
	v_and_b32_e32 v36, 0xffffff00, v10
	v_sub_i16 v36, v36, v69 clamp
	v_lshlrev_b16_e32 v40, 8, v10
	v_and_b32_e32 v36, 0xffffff00, v36
	v_sub_i16 v30, v40, v73 clamp
	v_or_b32_sdwa v30, v30, v36 dst_sel:DWORD dst_unused:UNUSED_PAD src0_sel:BYTE_1 src1_sel:DWORD
	v_and_b32_sdwa v36, v10, s33 dst_sel:DWORD dst_unused:UNUSED_PAD src0_sel:WORD_1 src1_sel:DWORD
	v_sub_i16 v36, v36, v67 clamp
	v_lshlrev_b16_sdwa v10, v52, v10 dst_sel:DWORD dst_unused:UNUSED_PAD src0_sel:DWORD src1_sel:WORD_1
	v_and_b32_e32 v36, 0xffffff00, v36
	v_sub_i16 v10, v10, v74 clamp
	v_or_b32_sdwa v10, v10, v36 dst_sel:WORD_1 dst_unused:UNUSED_PAD src0_sel:BYTE_1 src1_sel:DWORD
	v_bfe_i32 v40, v57, 20, 1
	v_or_b32_sdwa v10, v30, v10 dst_sel:DWORD dst_unused:UNUSED_PAD src0_sel:WORD_0 src1_sel:DWORD
	v_dot4c_i32_i8_e32 v9, v10, v7
	v_lshlrev_b32_e32 v10, 4, v29
	v_and_b32_e32 v77, 0x100, v10
	v_and_or_b32 v10, v11, s29, v77
	v_lshlrev_b32_e32 v10, 2, v10
	global_load_dword v10, v10, s[20:21]
	v_lshlrev_b32_e32 v11, 3, v29
	v_and_b32_e32 v78, 0x100, v11
	v_or_b32_sdwa v11, v78, v56 dst_sel:DWORD dst_unused:UNUSED_PAD src0_sel:DWORD src1_sel:BYTE_3
	v_lshlrev_b32_e32 v11, 2, v11
	global_load_dword v11, v11, s[20:21]
	s_waitcnt vmcnt(2)
	v_xor_b32_e32 v30, v33, v72
	v_and_b32_e32 v33, 0xffffff00, v30
	v_sub_i16 v33, v33, v70 clamp
	v_lshlrev_b16_e32 v36, 8, v30
	v_and_b32_e32 v33, 0xffffff00, v33
	v_sub_i16 v36, v36, v75 clamp
	v_or_b32_sdwa v33, v36, v33 dst_sel:DWORD dst_unused:UNUSED_PAD src0_sel:BYTE_1 src1_sel:DWORD
	v_and_b32_sdwa v36, v30, s33 dst_sel:DWORD dst_unused:UNUSED_PAD src0_sel:WORD_1 src1_sel:DWORD
	v_sub_i16 v36, v36, v68 clamp
	v_lshlrev_b16_sdwa v30, v52, v30 dst_sel:DWORD dst_unused:UNUSED_PAD src0_sel:DWORD src1_sel:WORD_1
	v_and_b32_e32 v36, 0xffffff00, v36
	v_sub_i16 v30, v30, v76 clamp
	v_or_b32_sdwa v30, v30, v36 dst_sel:WORD_1 dst_unused:UNUSED_PAD src0_sel:BYTE_1 src1_sel:DWORD
	v_bfe_u32 v36, v31, 1, 7
	v_or_b32_sdwa v30, v33, v30 dst_sel:DWORD dst_unused:UNUSED_PAD src0_sel:WORD_0 src1_sel:DWORD
	v_dot4c_i32_i8_e32 v9, v30, v0
	v_lshlrev_b32_sdwa v30, v53, v57 dst_sel:DWORD dst_unused:UNUSED_PAD src0_sel:DWORD src1_sel:BYTE_2
	v_and_b32_e32 v33, 1, v31
	v_bfe_i32 v36, v36, 0, 1
	v_lshrrev_b16_e32 v30, 7, v30
	v_sub_u16_e32 v33, 0, v33
	v_bfe_i32 v30, v30, 0, 1
	v_lshlrev_b16_e32 v36, 8, v36
	v_or_b32_sdwa v38, v33, v36 dst_sel:DWORD dst_unused:UNUSED_PAD src0_sel:BYTE_0 src1_sel:DWORD
	v_or_b32_sdwa v39, v30, v37 dst_sel:WORD_1 dst_unused:UNUSED_PAD src0_sel:BYTE_0 src1_sel:DWORD
	v_lshlrev_b16_e32 v33, 8, v33
	v_or_b32_sdwa v38, v38, v39 dst_sel:DWORD dst_unused:UNUSED_PAD src0_sel:WORD_0 src1_sel:DWORD
	v_lshlrev_b32_sdwa v39, v54, v57 dst_sel:DWORD dst_unused:UNUSED_PAD src0_sel:DWORD src1_sel:BYTE_2
	v_lshrrev_b16_e32 v39, 7, v39
	v_bfe_i32 v39, v39, 0, 1
	v_or_b32_sdwa v49, v40, v41 dst_sel:DWORD dst_unused:UNUSED_PAD src0_sel:BYTE_0 src1_sel:DWORD
	v_or_b32_sdwa v58, v39, v48 dst_sel:WORD_1 dst_unused:UNUSED_PAD src0_sel:BYTE_0 src1_sel:DWORD
	v_lshlrev_b16_e32 v30, 8, v30
	v_or_b32_sdwa v49, v49, v58 dst_sel:DWORD dst_unused:UNUSED_PAD src0_sel:WORD_0 src1_sel:DWORD
	s_waitcnt vmcnt(1)
	v_xor_b32_e32 v10, v10, v38
	v_and_b32_e32 v38, 0xffffff00, v10
	v_sub_i16 v36, v38, v36 clamp
	v_lshlrev_b16_e32 v38, 8, v10
	v_and_b32_e32 v36, 0xffffff00, v36
	v_sub_i16 v33, v38, v33 clamp
	v_or_b32_sdwa v33, v33, v36 dst_sel:DWORD dst_unused:UNUSED_PAD src0_sel:BYTE_1 src1_sel:DWORD
	v_and_b32_sdwa v36, v10, s33 dst_sel:DWORD dst_unused:UNUSED_PAD src0_sel:WORD_1 src1_sel:DWORD
	v_sub_i16 v36, v36, v37 clamp
	v_lshlrev_b16_sdwa v10, v52, v10 dst_sel:DWORD dst_unused:UNUSED_PAD src0_sel:DWORD src1_sel:WORD_1
	v_and_b32_e32 v36, 0xffffff00, v36
	v_sub_i16 v10, v10, v30 clamp
	s_waitcnt vmcnt(0)
	v_xor_b32_e32 v11, v11, v49
	v_or_b32_sdwa v10, v10, v36 dst_sel:WORD_1 dst_unused:UNUSED_PAD src0_sel:BYTE_1 src1_sel:DWORD
	v_and_b32_e32 v30, 0xffffff00, v11
	v_or_b32_sdwa v10, v33, v10 dst_sel:DWORD dst_unused:UNUSED_PAD src0_sel:WORD_0 src1_sel:DWORD
	v_sub_i16 v30, v30, v41 clamp
	v_lshlrev_b16_e32 v33, 8, v11
	v_lshlrev_b16_e32 v36, 8, v40
	v_and_b32_e32 v30, 0xffffff00, v30
	v_sub_i16 v33, v33, v36 clamp
	v_dot4c_i32_i8_e32 v9, v10, v1
	v_lshlrev_b32_e32 v10, 2, v29
	v_or_b32_sdwa v30, v33, v30 dst_sel:DWORD dst_unused:UNUSED_PAD src0_sel:BYTE_1 src1_sel:DWORD
	v_and_b32_sdwa v33, v11, s33 dst_sel:DWORD dst_unused:UNUSED_PAD src0_sel:WORD_1 src1_sel:DWORD
	v_and_b32_e32 v79, 0x100, v10
	v_sub_i16 v33, v33, v48 clamp
	v_lshlrev_b16_sdwa v11, v52, v11 dst_sel:DWORD dst_unused:UNUSED_PAD src0_sel:DWORD src1_sel:WORD_1
	v_lshlrev_b16_e32 v36, 8, v39
	v_and_or_b32 v10, v28, s29, v79
	v_and_b32_e32 v33, 0xffffff00, v33
	v_sub_i16 v11, v11, v36 clamp
	v_lshlrev_b32_e32 v10, 2, v10
	v_or_b32_sdwa v11, v11, v33 dst_sel:WORD_1 dst_unused:UNUSED_PAD src0_sel:BYTE_1 src1_sel:DWORD
	global_load_dword v10, v10, s[20:21]
	v_or_b32_sdwa v11, v30, v11 dst_sel:DWORD dst_unused:UNUSED_PAD src0_sel:WORD_0 src1_sel:DWORD
	v_dot4c_i32_i8_e32 v9, v11, v2
	v_lshlrev_b32_e32 v11, 1, v29
	v_and_b32_e32 v80, 0x100, v11
	v_or_b32_sdwa v11, v80, v55 dst_sel:DWORD dst_unused:UNUSED_PAD src0_sel:DWORD src1_sel:BYTE_3
	v_lshlrev_b32_e32 v11, 2, v11
	global_load_dword v11, v11, s[20:21]
	v_lshlrev_b16_e32 v29, 7, v31
	v_bfe_u32 v31, v57, 27, 1
	v_lshlrev_b32_e32 v28, 5, v32
	v_lshrrev_b32_e32 v30, 25, v57
	v_cmp_ne_u16_e32 vcc, 0, v31
	v_bfe_i32 v30, v30, 0, 1
	v_lshrrev_b16_e32 v28, 7, v28
	v_cndmask_b32_e64 v31, 0, -1, vcc
	v_ashrrev_i16_e32 v29, 15, v29
	v_bfe_i32 v28, v28, 0, 1
	v_lshlrev_b16_e32 v30, 8, v30
	v_lshlrev_b16_e32 v31, 8, v31
	v_or_b32_sdwa v33, v29, v30 dst_sel:DWORD dst_unused:UNUSED_PAD src0_sel:BYTE_0 src1_sel:DWORD
	v_or_b32_sdwa v36, v28, v31 dst_sel:WORD_1 dst_unused:UNUSED_PAD src0_sel:BYTE_0 src1_sel:DWORD
	v_lshrrev_b32_e32 v38, 31, v57
	v_or_b32_sdwa v33, v33, v36 dst_sel:DWORD dst_unused:UNUSED_PAD src0_sel:WORD_0 src1_sel:DWORD
	v_lshlrev_b32_e32 v36, 1, v32
	v_lshrrev_b32_e32 v37, 29, v57
	v_cmp_ne_u16_e32 vcc, 0, v38
	v_bfe_i32 v37, v37, 0, 1
	v_lshrrev_b16_e32 v36, 7, v36
	v_cndmask_b32_e64 v38, 0, -1, vcc
	v_lshlrev_b16_e32 v29, 8, v29
	v_bfe_i32 v32, v32, 4, 1
	v_bfe_i32 v36, v36, 0, 1
	v_lshlrev_b16_e32 v37, 8, v37
	v_lshlrev_b16_e32 v38, 8, v38
	v_or_b32_sdwa v39, v32, v37 dst_sel:DWORD dst_unused:UNUSED_PAD src0_sel:BYTE_0 src1_sel:DWORD
	v_or_b32_sdwa v40, v36, v38 dst_sel:WORD_1 dst_unused:UNUSED_PAD src0_sel:BYTE_0 src1_sel:DWORD
	v_lshlrev_b16_e32 v28, 8, v28
	v_or_b32_sdwa v39, v39, v40 dst_sel:DWORD dst_unused:UNUSED_PAD src0_sel:WORD_0 src1_sel:DWORD
	s_waitcnt vmcnt(1)
	v_xor_b32_e32 v10, v10, v33
	v_and_b32_e32 v33, 0xffffff00, v10
	v_sub_i16 v30, v33, v30 clamp
	v_lshlrev_b16_e32 v33, 8, v10
	v_and_b32_e32 v30, 0xffffff00, v30
	v_sub_i16 v29, v33, v29 clamp
	v_or_b32_sdwa v29, v29, v30 dst_sel:DWORD dst_unused:UNUSED_PAD src0_sel:BYTE_1 src1_sel:DWORD
	v_and_b32_sdwa v30, v10, s33 dst_sel:DWORD dst_unused:UNUSED_PAD src0_sel:WORD_1 src1_sel:DWORD
	v_sub_i16 v30, v30, v31 clamp
	v_lshlrev_b16_sdwa v10, v52, v10 dst_sel:DWORD dst_unused:UNUSED_PAD src0_sel:DWORD src1_sel:WORD_1
	v_and_b32_e32 v30, 0xffffff00, v30
	v_sub_i16 v10, v10, v28 clamp
	s_waitcnt vmcnt(0)
	v_xor_b32_e32 v11, v11, v39
	v_or_b32_sdwa v10, v10, v30 dst_sel:WORD_1 dst_unused:UNUSED_PAD src0_sel:BYTE_1 src1_sel:DWORD
	v_and_b32_e32 v28, 0xffffff00, v11
	v_or_b32_sdwa v10, v29, v10 dst_sel:DWORD dst_unused:UNUSED_PAD src0_sel:WORD_0 src1_sel:DWORD
	v_sub_i16 v28, v28, v37 clamp
	v_lshlrev_b16_e32 v29, 8, v11
	v_lshlrev_b16_e32 v30, 8, v32
	v_and_b32_e32 v28, 0xffffff00, v28
	v_sub_i16 v29, v29, v30 clamp
	v_or_b32_sdwa v28, v29, v28 dst_sel:DWORD dst_unused:UNUSED_PAD src0_sel:BYTE_1 src1_sel:DWORD
	v_and_b32_sdwa v29, v11, s33 dst_sel:DWORD dst_unused:UNUSED_PAD src0_sel:WORD_1 src1_sel:DWORD
	v_sub_i16 v29, v29, v38 clamp
	v_lshlrev_b16_sdwa v11, v52, v11 dst_sel:DWORD dst_unused:UNUSED_PAD src0_sel:DWORD src1_sel:WORD_1
	v_lshlrev_b16_e32 v30, 8, v36
	v_and_b32_e32 v29, 0xffffff00, v29
	v_sub_i16 v11, v11, v30 clamp
	v_or_b32_sdwa v11, v11, v29 dst_sel:WORD_1 dst_unused:UNUSED_PAD src0_sel:BYTE_1 src1_sel:DWORD
	v_dot4c_i32_i8_e32 v9, v10, v3
	v_or_b32_sdwa v11, v28, v11 dst_sel:DWORD dst_unused:UNUSED_PAD src0_sel:WORD_0 src1_sel:DWORD
	v_dot4c_i32_i8_e32 v9, v11, v8
	v_add_u32_e32 v11, s8, v50
	v_mad_i64_i32 v[30:31], s[34:35], v11, s28, v[22:23]
	v_lshl_add_u64 v[36:37], v[30:31], 0, v[24:25]
	v_lshl_add_u64 v[38:39], v[30:31], 0, v[14:15]
	global_load_ushort v10, v[34:35], off
	global_load_ushort v11, v[36:37], off offset:2
	global_load_dword v61, v[36:37], off offset:2
	global_load_dword v59, v[36:37], off offset:4
	;; [unrolled: 1-line block ×3, first 2 shown]
	global_load_ubyte v49, v[38:39], off offset:66
	v_lshl_add_u64 v[40:41], v[30:31], 0, v[26:27]
	global_load_ushort v85, v[40:41], off offset:74
	global_load_dword v60, v[40:41], off offset:74
	v_lshl_add_u64 v[28:29], v[34:35], 0, v[16:17]
	v_add_u32_e32 v50, 8, v50
	s_waitcnt vmcnt(6)
	v_and_b32_sdwa v81, s30, v11 dst_sel:DWORD dst_unused:UNUSED_PAD src0_sel:DWORD src1_sel:BYTE_0
	v_lshrrev_b16_e32 v11, 8, v11
	s_waitcnt vmcnt(5)
	v_lshrrev_b32_e32 v32, 16, v61
	s_waitcnt vmcnt(4)
	v_lshrrev_b32_e32 v33, 16, v59
	s_waitcnt vmcnt(2)
	v_lshlrev_b32_e32 v82, 8, v49
	v_and_or_b32 v81, v82, s31, v81
	v_lshlrev_b32_e32 v81, 2, v81
	global_load_dword v81, v81, s[20:21]
	v_lshlrev_b32_e32 v82, 7, v49
	v_and_or_b32 v11, v82, s31, v11
	v_lshlrev_b32_e32 v11, 2, v11
	global_load_dword v11, v11, s[20:21]
	s_waitcnt vmcnt(3)
	v_and_b32_sdwa v82, s30, v85 dst_sel:DWORD dst_unused:UNUSED_PAD src0_sel:DWORD src1_sel:BYTE_0
	v_bfe_u32 v87, v82, 3, 1
	v_lshlrev_b32_e32 v83, 5, v82
	v_lshrrev_b32_e32 v86, 1, v82
	v_cmp_ne_u16_e32 vcc, 0, v87
	v_and_b32_e32 v84, 1, v85
	v_bfe_i32 v86, v86, 0, 1
	v_lshrrev_b16_e32 v83, 7, v83
	v_cndmask_b32_e64 v87, 0, -1, vcc
	v_sub_u16_e32 v84, 0, v84
	v_bfe_i32 v83, v83, 0, 1
	v_lshlrev_b16_e32 v86, 8, v86
	v_lshlrev_b16_e32 v87, 8, v87
	v_or_b32_sdwa v88, v84, v86 dst_sel:DWORD dst_unused:UNUSED_PAD src0_sel:BYTE_0 src1_sel:DWORD
	v_or_b32_sdwa v89, v83, v87 dst_sel:WORD_1 dst_unused:UNUSED_PAD src0_sel:BYTE_0 src1_sel:DWORD
	v_bfe_i32 v90, v82, 4, 1
	v_or_b32_sdwa v88, v88, v89 dst_sel:DWORD dst_unused:UNUSED_PAD src0_sel:WORD_0 src1_sel:DWORD
	v_lshlrev_b32_e32 v89, 1, v82
	v_lshrrev_b32_e32 v91, 5, v82
	v_lshrrev_b32_e32 v82, 7, v82
	v_cmp_ne_u16_e32 vcc, 0, v82
	v_bfe_i32 v91, v91, 0, 1
	v_lshrrev_b16_e32 v89, 7, v89
	v_cndmask_b32_e64 v82, 0, -1, vcc
	v_lshlrev_b16_e32 v84, 8, v84
	v_bfe_i32 v89, v89, 0, 1
	v_lshlrev_b16_e32 v91, 8, v91
	v_lshlrev_b16_e32 v82, 8, v82
	v_or_b32_sdwa v92, v90, v91 dst_sel:DWORD dst_unused:UNUSED_PAD src0_sel:BYTE_0 src1_sel:DWORD
	v_or_b32_sdwa v93, v89, v82 dst_sel:WORD_1 dst_unused:UNUSED_PAD src0_sel:BYTE_0 src1_sel:DWORD
	v_lshlrev_b16_e32 v83, 8, v83
	v_or_b32_sdwa v92, v92, v93 dst_sel:DWORD dst_unused:UNUSED_PAD src0_sel:WORD_0 src1_sel:DWORD
	s_waitcnt vmcnt(2)
	v_lshrrev_b32_e32 v99, 16, v60
	v_bfe_u32 v103, v99, 7, 1
	v_bfe_u32 v102, v99, 5, 3
	v_lshrrev_b32_e32 v48, 16, v58
	v_bfe_i32 v102, v102, 0, 1
	v_bfe_i32 v101, v60, 20, 1
	v_lshlrev_b16_e32 v102, 8, v102
	v_or_b32_sdwa v104, v101, v102 dst_sel:DWORD dst_unused:UNUSED_PAD src0_sel:BYTE_0 src1_sel:DWORD
	v_lshrrev_b32_e32 v100, 24, v60
	s_waitcnt vmcnt(1)
	v_xor_b32_e32 v81, v81, v88
	v_and_b32_e32 v88, 0xffffff00, v81
	v_sub_i16 v86, v88, v86 clamp
	v_lshlrev_b16_e32 v88, 8, v81
	v_and_b32_e32 v86, 0xffffff00, v86
	v_sub_i16 v84, v88, v84 clamp
	v_or_b32_sdwa v84, v84, v86 dst_sel:DWORD dst_unused:UNUSED_PAD src0_sel:BYTE_1 src1_sel:DWORD
	v_and_b32_sdwa v86, v81, s33 dst_sel:DWORD dst_unused:UNUSED_PAD src0_sel:WORD_1 src1_sel:DWORD
	v_sub_i16 v86, v86, v87 clamp
	v_lshlrev_b16_sdwa v81, v52, v81 dst_sel:DWORD dst_unused:UNUSED_PAD src0_sel:DWORD src1_sel:WORD_1
	v_and_b32_e32 v86, 0xffffff00, v86
	v_sub_i16 v81, v81, v83 clamp
	s_waitcnt vmcnt(0)
	v_xor_b32_e32 v11, v11, v92
	v_or_b32_sdwa v81, v81, v86 dst_sel:WORD_1 dst_unused:UNUSED_PAD src0_sel:BYTE_1 src1_sel:DWORD
	v_and_b32_e32 v83, 0xffffff00, v11
	v_or_b32_sdwa v81, v84, v81 dst_sel:DWORD dst_unused:UNUSED_PAD src0_sel:WORD_0 src1_sel:DWORD
	v_sub_i16 v83, v83, v91 clamp
	v_lshlrev_b16_e32 v84, 8, v11
	v_lshlrev_b16_e32 v86, 8, v90
	v_and_b32_e32 v83, 0xffffff00, v83
	v_sub_i16 v84, v84, v86 clamp
	v_or_b32_sdwa v83, v84, v83 dst_sel:DWORD dst_unused:UNUSED_PAD src0_sel:BYTE_1 src1_sel:DWORD
	v_and_b32_sdwa v84, v11, s33 dst_sel:DWORD dst_unused:UNUSED_PAD src0_sel:WORD_1 src1_sel:DWORD
	v_sub_i16 v82, v84, v82 clamp
	v_lshlrev_b16_sdwa v11, v52, v11 dst_sel:DWORD dst_unused:UNUSED_PAD src0_sel:DWORD src1_sel:WORD_1
	v_lshlrev_b16_e32 v84, 8, v89
	v_and_b32_e32 v82, 0xffffff00, v82
	v_sub_i16 v11, v11, v84 clamp
	v_or_b32_sdwa v11, v11, v82 dst_sel:WORD_1 dst_unused:UNUSED_PAD src0_sel:BYTE_1 src1_sel:DWORD
	s_nop 0
	v_or_b32_sdwa v82, v83, v11 dst_sel:DWORD dst_unused:UNUSED_PAD src0_sel:WORD_0 src1_sel:DWORD
	v_mov_b32_e32 v11, 0
	v_dot4c_i32_i8_e32 v11, v81, v5
	v_lshlrev_b32_e32 v5, 6, v49
	v_and_b32_e32 v83, 0x100, v5
	v_and_or_b32 v5, v32, s29, v83
	v_lshlrev_b32_e32 v5, 2, v5
	global_load_dword v5, v5, s[20:21]
	v_dot4c_i32_i8_e32 v11, v82, v6
	v_lshlrev_b32_e32 v6, 5, v49
	v_and_b32_e32 v84, 0x100, v6
	v_or_b32_sdwa v6, v84, v61 dst_sel:DWORD dst_unused:UNUSED_PAD src0_sel:DWORD src1_sel:BYTE_3
	v_lshlrev_b32_e32 v6, 2, v6
	global_load_dword v6, v6, s[20:21]
	v_lshrrev_b16_e32 v32, 8, v85
	v_lshlrev_b32_e32 v86, 5, v32
	v_lshrrev_b16_e32 v86, 7, v86
	v_lshlrev_b16_e32 v85, 7, v85
	v_bfe_i32 v92, v86, 0, 1
	v_bfe_u32 v86, v32, 3, 1
	v_ashrrev_i16_e32 v91, 15, v85
	v_lshrrev_b32_e32 v85, 1, v32
	v_cmp_ne_u16_e32 vcc, 0, v86
	v_bfe_i32 v85, v85, 0, 1
	v_lshlrev_b16_e32 v87, 8, v85
	v_cndmask_b32_e64 v86, 0, -1, vcc
	v_lshlrev_b16_e32 v85, 8, v86
	v_or_b32_sdwa v88, v91, v87 dst_sel:DWORD dst_unused:UNUSED_PAD src0_sel:BYTE_0 src1_sel:DWORD
	v_or_b32_sdwa v86, v92, v85 dst_sel:WORD_1 dst_unused:UNUSED_PAD src0_sel:BYTE_0 src1_sel:DWORD
	v_bfe_i32 v93, v32, 4, 1
	v_or_b32_sdwa v89, v88, v86 dst_sel:DWORD dst_unused:UNUSED_PAD src0_sel:WORD_0 src1_sel:DWORD
	v_lshlrev_b32_e32 v86, 1, v32
	v_lshrrev_b32_e32 v88, 5, v32
	v_lshrrev_b32_e32 v32, 7, v32
	v_cmp_ne_u16_e32 vcc, 0, v32
	v_bfe_i32 v88, v88, 0, 1
	v_lshrrev_b16_e32 v86, 7, v86
	v_cndmask_b32_e64 v32, 0, -1, vcc
	v_bfe_i32 v94, v86, 0, 1
	v_lshlrev_b16_e32 v88, 8, v88
	v_lshlrev_b16_e32 v86, 8, v32
	v_or_b32_sdwa v90, v93, v88 dst_sel:DWORD dst_unused:UNUSED_PAD src0_sel:BYTE_0 src1_sel:DWORD
	v_or_b32_sdwa v32, v94, v86 dst_sel:WORD_1 dst_unused:UNUSED_PAD src0_sel:BYTE_0 src1_sel:DWORD
	v_lshlrev_b16_e32 v91, 8, v91
	v_or_b32_sdwa v90, v90, v32 dst_sel:DWORD dst_unused:UNUSED_PAD src0_sel:WORD_0 src1_sel:DWORD
	v_lshlrev_b16_e32 v92, 8, v92
	v_lshlrev_b16_e32 v93, 8, v93
	;; [unrolled: 1-line block ×3, first 2 shown]
	s_waitcnt vmcnt(1)
	v_xor_b32_e32 v5, v5, v89
	v_and_b32_e32 v32, 0xffffff00, v5
	v_sub_i16 v32, v32, v87 clamp
	v_lshlrev_b16_e32 v95, 8, v5
	v_and_b32_e32 v32, 0xffffff00, v32
	v_sub_i16 v95, v95, v91 clamp
	v_or_b32_sdwa v32, v95, v32 dst_sel:DWORD dst_unused:UNUSED_PAD src0_sel:BYTE_1 src1_sel:DWORD
	v_and_b32_sdwa v95, v5, s33 dst_sel:DWORD dst_unused:UNUSED_PAD src0_sel:WORD_1 src1_sel:DWORD
	v_sub_i16 v95, v95, v85 clamp
	v_lshlrev_b16_sdwa v5, v52, v5 dst_sel:DWORD dst_unused:UNUSED_PAD src0_sel:DWORD src1_sel:WORD_1
	v_and_b32_e32 v95, 0xffffff00, v95
	v_sub_i16 v5, v5, v92 clamp
	v_or_b32_sdwa v5, v5, v95 dst_sel:WORD_1 dst_unused:UNUSED_PAD src0_sel:BYTE_1 src1_sel:DWORD
	s_waitcnt vmcnt(0)
	v_xor_b32_e32 v6, v6, v90
	v_or_b32_sdwa v5, v32, v5 dst_sel:DWORD dst_unused:UNUSED_PAD src0_sel:WORD_0 src1_sel:DWORD
	v_and_b32_e32 v32, 0xffffff00, v6
	v_sub_i16 v32, v32, v88 clamp
	v_lshlrev_b16_e32 v95, 8, v6
	v_and_b32_e32 v32, 0xffffff00, v32
	v_sub_i16 v95, v95, v93 clamp
	v_or_b32_sdwa v32, v95, v32 dst_sel:DWORD dst_unused:UNUSED_PAD src0_sel:BYTE_1 src1_sel:DWORD
	v_and_b32_sdwa v95, v6, s33 dst_sel:DWORD dst_unused:UNUSED_PAD src0_sel:WORD_1 src1_sel:DWORD
	v_sub_i16 v95, v95, v86 clamp
	v_lshlrev_b16_sdwa v6, v52, v6 dst_sel:DWORD dst_unused:UNUSED_PAD src0_sel:DWORD src1_sel:WORD_1
	v_and_b32_e32 v95, 0xffffff00, v95
	v_sub_i16 v6, v6, v94 clamp
	v_or_b32_sdwa v6, v6, v95 dst_sel:WORD_1 dst_unused:UNUSED_PAD src0_sel:BYTE_1 src1_sel:DWORD
	v_dot4c_i32_i8_e32 v11, v5, v7
	v_or_b32_sdwa v6, v32, v6 dst_sel:DWORD dst_unused:UNUSED_PAD src0_sel:WORD_0 src1_sel:DWORD
	v_dot4c_i32_i8_e32 v11, v6, v0
	v_lshlrev_b32_e32 v0, 4, v49
	v_and_b32_e32 v95, 0x100, v0
	v_and_or_b32 v0, v33, s29, v95
	v_lshlrev_b32_e32 v0, 2, v0
	global_load_dword v0, v0, s[20:21]
	v_lshlrev_b32_e32 v5, 3, v49
	v_and_b32_e32 v96, 0x100, v5
	v_or_b32_sdwa v5, v96, v59 dst_sel:DWORD dst_unused:UNUSED_PAD src0_sel:DWORD src1_sel:BYTE_3
	v_lshlrev_b32_e32 v5, 2, v5
	global_load_dword v5, v5, s[20:21]
	v_bfe_u32 v33, v60, 19, 1
	v_lshlrev_b32_sdwa v6, v53, v60 dst_sel:DWORD dst_unused:UNUSED_PAD src0_sel:DWORD src1_sel:BYTE_2
	v_bfe_u32 v32, v99, 1, 7
	v_cmp_ne_u16_e32 vcc, 0, v33
	v_and_b32_e32 v7, 1, v99
	v_bfe_i32 v32, v32, 0, 1
	v_lshrrev_b16_e32 v6, 7, v6
	v_cndmask_b32_e64 v33, 0, -1, vcc
	v_sub_u16_e32 v7, 0, v7
	v_bfe_i32 v6, v6, 0, 1
	v_lshlrev_b16_e32 v32, 8, v32
	v_lshlrev_b16_e32 v33, 8, v33
	v_or_b32_sdwa v97, v7, v32 dst_sel:DWORD dst_unused:UNUSED_PAD src0_sel:BYTE_0 src1_sel:DWORD
	v_or_b32_sdwa v98, v6, v33 dst_sel:WORD_1 dst_unused:UNUSED_PAD src0_sel:BYTE_0 src1_sel:DWORD
	v_lshlrev_b16_e32 v7, 8, v7
	v_or_b32_sdwa v97, v97, v98 dst_sel:DWORD dst_unused:UNUSED_PAD src0_sel:WORD_0 src1_sel:DWORD
	v_lshlrev_b16_e32 v6, 8, v6
	v_lshlrev_b32_sdwa v98, v54, v60 dst_sel:DWORD dst_unused:UNUSED_PAD src0_sel:DWORD src1_sel:BYTE_2
	v_cmp_ne_u16_e32 vcc, 0, v103
	v_lshrrev_b16_e32 v98, 7, v98
	v_bfe_i32 v98, v98, 0, 1
	v_cndmask_b32_e64 v103, 0, -1, vcc
	v_lshlrev_b16_e32 v103, 8, v103
	v_or_b32_sdwa v105, v98, v103 dst_sel:WORD_1 dst_unused:UNUSED_PAD src0_sel:BYTE_0 src1_sel:DWORD
	s_waitcnt vmcnt(1)
	v_xor_b32_e32 v0, v0, v97
	v_and_b32_e32 v97, 0xffffff00, v0
	v_sub_i16 v32, v97, v32 clamp
	v_lshlrev_b16_e32 v97, 8, v0
	v_and_b32_e32 v32, 0xffffff00, v32
	v_sub_i16 v7, v97, v7 clamp
	v_or_b32_sdwa v7, v7, v32 dst_sel:DWORD dst_unused:UNUSED_PAD src0_sel:BYTE_1 src1_sel:DWORD
	v_and_b32_sdwa v32, v0, s33 dst_sel:DWORD dst_unused:UNUSED_PAD src0_sel:WORD_1 src1_sel:DWORD
	v_sub_i16 v32, v32, v33 clamp
	v_lshlrev_b16_sdwa v0, v52, v0 dst_sel:DWORD dst_unused:UNUSED_PAD src0_sel:DWORD src1_sel:WORD_1
	v_and_b32_e32 v32, 0xffffff00, v32
	v_sub_i16 v0, v0, v6 clamp
	v_or_b32_sdwa v0, v0, v32 dst_sel:WORD_1 dst_unused:UNUSED_PAD src0_sel:BYTE_1 src1_sel:DWORD
	v_or_b32_sdwa v104, v104, v105 dst_sel:DWORD dst_unused:UNUSED_PAD src0_sel:WORD_0 src1_sel:DWORD
	v_or_b32_sdwa v0, v7, v0 dst_sel:DWORD dst_unused:UNUSED_PAD src0_sel:WORD_0 src1_sel:DWORD
	v_dot4c_i32_i8_e32 v11, v0, v1
	v_lshlrev_b32_e32 v0, 2, v49
	v_and_b32_e32 v97, 0x100, v0
	v_and_or_b32 v0, v48, s29, v97
	v_lshlrev_b32_e32 v0, 2, v0
	global_load_dword v0, v0, s[20:21]
	s_waitcnt vmcnt(1)
	v_xor_b32_e32 v5, v5, v104
	v_lshlrev_b16_e32 v7, 8, v5
	v_lshlrev_b16_e32 v32, 8, v101
	v_lshlrev_b32_e32 v1, 1, v49
	v_sub_i16 v7, v7, v32 clamp
	v_lshlrev_b16_e32 v32, 8, v98
	v_and_b32_e32 v98, 0x100, v1
	v_or_b32_sdwa v1, v98, v58 dst_sel:DWORD dst_unused:UNUSED_PAD src0_sel:DWORD src1_sel:BYTE_3
	v_lshlrev_b32_e32 v1, 2, v1
	global_load_dword v1, v1, s[20:21]
	v_and_b32_e32 v6, 0xffffff00, v5
	v_sub_i16 v6, v6, v102 clamp
	v_and_b32_e32 v6, 0xffffff00, v6
	v_or_b32_sdwa v6, v7, v6 dst_sel:DWORD dst_unused:UNUSED_PAD src0_sel:BYTE_1 src1_sel:DWORD
	v_and_b32_sdwa v7, v5, s33 dst_sel:DWORD dst_unused:UNUSED_PAD src0_sel:WORD_1 src1_sel:DWORD
	v_sub_i16 v7, v7, v103 clamp
	v_lshlrev_b16_sdwa v5, v52, v5 dst_sel:DWORD dst_unused:UNUSED_PAD src0_sel:DWORD src1_sel:WORD_1
	v_and_b32_e32 v7, 0xffffff00, v7
	v_sub_i16 v5, v5, v32 clamp
	v_or_b32_sdwa v5, v5, v7 dst_sel:WORD_1 dst_unused:UNUSED_PAD src0_sel:BYTE_1 src1_sel:DWORD
	v_bfe_u32 v7, v60, 27, 1
	v_or_b32_sdwa v5, v6, v5 dst_sel:DWORD dst_unused:UNUSED_PAD src0_sel:WORD_0 src1_sel:DWORD
	v_dot4c_i32_i8_e32 v11, v5, v2
	v_lshlrev_b32_e32 v2, 5, v100
	v_lshrrev_b32_e32 v6, 25, v60
	v_cmp_ne_u16_e32 vcc, 0, v7
	v_lshlrev_b16_e32 v5, 7, v99
	v_bfe_i32 v6, v6, 0, 1
	v_lshrrev_b16_e32 v2, 7, v2
	v_cndmask_b32_e64 v7, 0, -1, vcc
	v_ashrrev_i16_e32 v5, 15, v5
	v_bfe_i32 v2, v2, 0, 1
	v_lshlrev_b16_e32 v6, 8, v6
	v_lshlrev_b16_e32 v7, 8, v7
	v_or_b32_sdwa v32, v5, v6 dst_sel:DWORD dst_unused:UNUSED_PAD src0_sel:BYTE_0 src1_sel:DWORD
	v_or_b32_sdwa v33, v2, v7 dst_sel:WORD_1 dst_unused:UNUSED_PAD src0_sel:BYTE_0 src1_sel:DWORD
	v_lshrrev_b32_e32 v99, 31, v60
	v_or_b32_sdwa v32, v32, v33 dst_sel:DWORD dst_unused:UNUSED_PAD src0_sel:WORD_0 src1_sel:DWORD
	v_lshlrev_b32_e32 v33, 1, v100
	v_lshrrev_b32_e32 v49, 29, v60
	v_cmp_ne_u16_e32 vcc, 0, v99
	v_bfe_i32 v49, v49, 0, 1
	v_lshrrev_b16_e32 v33, 7, v33
	v_cndmask_b32_e64 v99, 0, -1, vcc
	v_lshlrev_b16_e32 v5, 8, v5
	v_bfe_i32 v48, v100, 4, 1
	v_bfe_i32 v33, v33, 0, 1
	v_lshlrev_b16_e32 v49, 8, v49
	v_lshlrev_b16_e32 v99, 8, v99
	v_or_b32_sdwa v100, v48, v49 dst_sel:DWORD dst_unused:UNUSED_PAD src0_sel:BYTE_0 src1_sel:DWORD
	v_or_b32_sdwa v101, v33, v99 dst_sel:WORD_1 dst_unused:UNUSED_PAD src0_sel:BYTE_0 src1_sel:DWORD
	v_lshlrev_b16_e32 v2, 8, v2
	v_or_b32_sdwa v100, v100, v101 dst_sel:DWORD dst_unused:UNUSED_PAD src0_sel:WORD_0 src1_sel:DWORD
	s_waitcnt vmcnt(1)
	v_xor_b32_e32 v0, v0, v32
	v_and_b32_e32 v32, 0xffffff00, v0
	v_sub_i16 v6, v32, v6 clamp
	v_lshlrev_b16_e32 v32, 8, v0
	v_and_b32_e32 v6, 0xffffff00, v6
	v_sub_i16 v5, v32, v5 clamp
	v_or_b32_sdwa v5, v5, v6 dst_sel:DWORD dst_unused:UNUSED_PAD src0_sel:BYTE_1 src1_sel:DWORD
	v_and_b32_sdwa v6, v0, s33 dst_sel:DWORD dst_unused:UNUSED_PAD src0_sel:WORD_1 src1_sel:DWORD
	v_sub_i16 v6, v6, v7 clamp
	v_lshlrev_b16_sdwa v0, v52, v0 dst_sel:DWORD dst_unused:UNUSED_PAD src0_sel:DWORD src1_sel:WORD_1
	v_and_b32_e32 v6, 0xffffff00, v6
	v_sub_i16 v0, v0, v2 clamp
	s_waitcnt vmcnt(0)
	v_xor_b32_e32 v1, v1, v100
	v_or_b32_sdwa v0, v0, v6 dst_sel:WORD_1 dst_unused:UNUSED_PAD src0_sel:BYTE_1 src1_sel:DWORD
	v_and_b32_e32 v2, 0xffffff00, v1
	v_or_b32_sdwa v0, v5, v0 dst_sel:DWORD dst_unused:UNUSED_PAD src0_sel:WORD_0 src1_sel:DWORD
	v_sub_i16 v2, v2, v49 clamp
	v_lshlrev_b16_e32 v5, 8, v1
	v_lshlrev_b16_e32 v6, 8, v48
	v_and_b32_e32 v2, 0xffffff00, v2
	v_sub_i16 v5, v5, v6 clamp
	v_or_b32_sdwa v2, v5, v2 dst_sel:DWORD dst_unused:UNUSED_PAD src0_sel:BYTE_1 src1_sel:DWORD
	v_and_b32_sdwa v5, v1, s33 dst_sel:DWORD dst_unused:UNUSED_PAD src0_sel:WORD_1 src1_sel:DWORD
	v_sub_i16 v5, v5, v99 clamp
	v_lshlrev_b16_sdwa v1, v52, v1 dst_sel:DWORD dst_unused:UNUSED_PAD src0_sel:DWORD src1_sel:WORD_1
	v_lshlrev_b16_e32 v6, 8, v33
	v_and_b32_e32 v5, 0xffffff00, v5
	v_sub_i16 v1, v1, v6 clamp
	v_or_b32_sdwa v1, v1, v5 dst_sel:WORD_1 dst_unused:UNUSED_PAD src0_sel:BYTE_1 src1_sel:DWORD
	v_dot4c_i32_i8_e32 v11, v0, v3
	v_or_b32_sdwa v1, v2, v1 dst_sel:DWORD dst_unused:UNUSED_PAD src0_sel:WORD_0 src1_sel:DWORD
	v_dot4c_i32_i8_e32 v11, v1, v8
	v_lshl_add_u64 v[32:33], v[30:31], 0, v[16:17]
	global_load_ushort v0, v[30:31], off
	global_load_ubyte v1, v[28:29], off offset:106
	global_load_ubyte v2, v[32:33], off offset:106
	v_cvt_f32_f16_e32 v48, v10
	s_waitcnt vmcnt(2)
	v_cvt_f32_f16_e32 v49, v0
	s_waitcnt vmcnt(1)
	v_lshrrev_b32_e32 v1, v18, v1
	s_waitcnt vmcnt(0)
	v_lshrrev_b32_e32 v2, v13, v2
	v_lshlrev_b32_e32 v1, 1, v1
	v_lshlrev_b32_e32 v2, 1, v2
	v_and_or_b32 v99, v2, 30, 1
	v_and_or_b32 v100, v1, 30, 1
	v_mul_lo_u32 v1, v9, v100
	v_mul_lo_u32 v2, v11, v99
	v_cvt_f32_i32_e32 v7, v2
	v_cvt_f32_i32_e32 v6, v1
	scratch_load_dwordx4 v[0:3], off, off
	v_pk_mul_f32 v[4:5], v[4:5], v[48:49] op_sel_hi:[0,1]
	s_waitcnt vmcnt(0)
	v_pk_fma_f32 v[0:1], v[4:5], v[6:7], v[0:1]
	v_add_u32_e32 v4, s9, v51
	v_mad_u64_u32 v[4:5], s[34:35], v4, 36, s[24:25]
	v_mad_u64_u32 v[102:103], s[34:35], v14, 36, v[4:5]
	global_load_dword v101, v[102:103], off offset:32
	global_load_dwordx4 v[4:7], v[102:103], off offset:16
	global_load_dwordx4 v[8:11], v[102:103], off
	s_nop 0
	global_load_ushort v103, v[42:43], off offset:4
	global_load_ushort v104, v[42:43], off offset:6
	;; [unrolled: 1-line block ×4, first 2 shown]
	v_mov_b32_e32 v102, 0
	s_waitcnt vmcnt(4)
	v_dot4c_i32_i8_e32 v102, v63, v9
	s_waitcnt vmcnt(3)
	v_and_b32_sdwa v63, s30, v103 dst_sel:DWORD dst_unused:UNUSED_PAD src0_sel:DWORD src1_sel:BYTE_0
	v_or_b32_e32 v63, v65, v63
	v_lshlrev_b32_e32 v63, 2, v63
	global_load_dword v63, v63, s[20:21]
	v_dot4c_i32_i8_e32 v102, v64, v10
	v_or_b32_sdwa v64, v66, v103 dst_sel:DWORD dst_unused:UNUSED_PAD src0_sel:DWORD src1_sel:BYTE_1
	v_lshlrev_b32_e32 v64, 2, v64
	global_load_dword v64, v64, s[20:21]
	v_cvt_f32_f16_e32 v8, v8
	s_waitcnt vmcnt(1)
	v_xor_b32_e32 v63, v63, v71
	v_and_b32_e32 v65, 0xffffff00, v63
	v_sub_i16 v65, v65, v69 clamp
	v_lshlrev_b16_e32 v66, 8, v63
	v_and_b32_e32 v65, 0xffffff00, v65
	v_sub_i16 v66, v66, v73 clamp
	v_or_b32_sdwa v65, v66, v65 dst_sel:DWORD dst_unused:UNUSED_PAD src0_sel:BYTE_1 src1_sel:DWORD
	v_and_b32_sdwa v66, v63, s33 dst_sel:DWORD dst_unused:UNUSED_PAD src0_sel:WORD_1 src1_sel:DWORD
	v_sub_i16 v66, v66, v67 clamp
	v_lshlrev_b16_sdwa v63, v52, v63 dst_sel:DWORD dst_unused:UNUSED_PAD src0_sel:DWORD src1_sel:WORD_1
	v_and_b32_e32 v66, 0xffffff00, v66
	v_sub_i16 v63, v63, v74 clamp
	v_or_b32_sdwa v63, v63, v66 dst_sel:WORD_1 dst_unused:UNUSED_PAD src0_sel:BYTE_1 src1_sel:DWORD
	s_waitcnt vmcnt(0)
	v_xor_b32_e32 v64, v64, v72
	v_or_b32_sdwa v63, v65, v63 dst_sel:DWORD dst_unused:UNUSED_PAD src0_sel:WORD_0 src1_sel:DWORD
	v_and_b32_e32 v65, 0xffffff00, v64
	v_dot4c_i32_i8_e32 v102, v63, v11
	v_and_b32_sdwa v63, s30, v104 dst_sel:DWORD dst_unused:UNUSED_PAD src0_sel:DWORD src1_sel:BYTE_0
	v_sub_i16 v65, v65, v70 clamp
	v_lshlrev_b16_e32 v66, 8, v64
	v_or_b32_e32 v63, v77, v63
	v_and_b32_e32 v65, 0xffffff00, v65
	v_sub_i16 v66, v66, v75 clamp
	v_lshlrev_b32_e32 v63, 2, v63
	v_or_b32_sdwa v65, v66, v65 dst_sel:DWORD dst_unused:UNUSED_PAD src0_sel:BYTE_1 src1_sel:DWORD
	v_and_b32_sdwa v66, v64, s33 dst_sel:DWORD dst_unused:UNUSED_PAD src0_sel:WORD_1 src1_sel:DWORD
	global_load_dword v63, v63, s[20:21]
	v_sub_i16 v66, v66, v68 clamp
	v_lshlrev_b16_sdwa v64, v52, v64 dst_sel:DWORD dst_unused:UNUSED_PAD src0_sel:DWORD src1_sel:WORD_1
	v_and_b32_e32 v66, 0xffffff00, v66
	v_sub_i16 v64, v64, v76 clamp
	v_or_b32_sdwa v64, v64, v66 dst_sel:WORD_1 dst_unused:UNUSED_PAD src0_sel:BYTE_1 src1_sel:DWORD
	v_and_b32_e32 v67, 1, v106
	v_or_b32_sdwa v64, v65, v64 dst_sel:DWORD dst_unused:UNUSED_PAD src0_sel:WORD_0 src1_sel:DWORD
	v_dot4c_i32_i8_e32 v102, v64, v4
	v_or_b32_sdwa v64, v78, v104 dst_sel:DWORD dst_unused:UNUSED_PAD src0_sel:DWORD src1_sel:BYTE_1
	v_lshlrev_b32_e32 v64, 2, v64
	global_load_dword v64, v64, s[20:21]
	v_and_b32_sdwa v65, s30, v106 dst_sel:DWORD dst_unused:UNUSED_PAD src0_sel:DWORD src1_sel:BYTE_0
	v_bfe_u32 v69, v65, 3, 1
	v_lshlrev_b32_e32 v66, 5, v65
	v_lshrrev_b32_e32 v68, 1, v65
	v_cmp_ne_u16_e32 vcc, 0, v69
	v_bfe_i32 v68, v68, 0, 1
	v_lshrrev_b16_e32 v66, 7, v66
	v_cndmask_b32_e64 v69, 0, -1, vcc
	v_sub_u16_e32 v67, 0, v67
	v_bfe_i32 v66, v66, 0, 1
	v_lshlrev_b16_e32 v68, 8, v68
	v_lshlrev_b16_e32 v69, 8, v69
	v_or_b32_sdwa v70, v67, v68 dst_sel:DWORD dst_unused:UNUSED_PAD src0_sel:BYTE_0 src1_sel:DWORD
	v_or_b32_sdwa v71, v66, v69 dst_sel:WORD_1 dst_unused:UNUSED_PAD src0_sel:BYTE_0 src1_sel:DWORD
	v_bfe_i32 v72, v65, 4, 1
	v_or_b32_sdwa v70, v70, v71 dst_sel:DWORD dst_unused:UNUSED_PAD src0_sel:WORD_0 src1_sel:DWORD
	v_lshlrev_b32_e32 v71, 1, v65
	v_lshrrev_b32_e32 v73, 5, v65
	v_lshrrev_b32_e32 v65, 7, v65
	v_cmp_ne_u16_e32 vcc, 0, v65
	v_lshlrev_b16_e32 v67, 8, v67
	v_bfe_i32 v73, v73, 0, 1
	v_lshrrev_b16_e32 v71, 7, v71
	v_cndmask_b32_e64 v65, 0, -1, vcc
	v_bfe_i32 v71, v71, 0, 1
	v_lshlrev_b16_e32 v73, 8, v73
	v_lshlrev_b16_e32 v65, 8, v65
	v_or_b32_sdwa v74, v72, v73 dst_sel:DWORD dst_unused:UNUSED_PAD src0_sel:BYTE_0 src1_sel:DWORD
	v_or_b32_sdwa v75, v71, v65 dst_sel:WORD_1 dst_unused:UNUSED_PAD src0_sel:BYTE_0 src1_sel:DWORD
	v_lshlrev_b16_e32 v66, 8, v66
	v_or_b32_sdwa v74, v74, v75 dst_sel:DWORD dst_unused:UNUSED_PAD src0_sel:WORD_0 src1_sel:DWORD
	s_waitcnt vmcnt(1)
	v_xor_b32_e32 v63, v63, v70
	v_and_b32_e32 v70, 0xffffff00, v63
	v_sub_i16 v68, v70, v68 clamp
	v_lshlrev_b16_e32 v70, 8, v63
	v_and_b32_e32 v68, 0xffffff00, v68
	v_sub_i16 v67, v70, v67 clamp
	v_or_b32_sdwa v67, v67, v68 dst_sel:DWORD dst_unused:UNUSED_PAD src0_sel:BYTE_1 src1_sel:DWORD
	v_and_b32_sdwa v68, v63, s33 dst_sel:DWORD dst_unused:UNUSED_PAD src0_sel:WORD_1 src1_sel:DWORD
	v_sub_i16 v68, v68, v69 clamp
	v_lshlrev_b16_sdwa v63, v52, v63 dst_sel:DWORD dst_unused:UNUSED_PAD src0_sel:DWORD src1_sel:WORD_1
	v_and_b32_e32 v68, 0xffffff00, v68
	v_sub_i16 v63, v63, v66 clamp
	v_or_b32_sdwa v63, v63, v68 dst_sel:WORD_1 dst_unused:UNUSED_PAD src0_sel:BYTE_1 src1_sel:DWORD
	s_waitcnt vmcnt(0)
	v_xor_b32_e32 v64, v64, v74
	v_or_b32_sdwa v63, v67, v63 dst_sel:DWORD dst_unused:UNUSED_PAD src0_sel:WORD_0 src1_sel:DWORD
	v_and_b32_e32 v66, 0xffffff00, v64
	v_sub_i16 v66, v66, v73 clamp
	v_lshlrev_b16_e32 v67, 8, v64
	v_lshlrev_b16_e32 v68, 8, v72
	v_dot4c_i32_i8_e32 v102, v63, v5
	v_and_b32_sdwa v63, s30, v105 dst_sel:DWORD dst_unused:UNUSED_PAD src0_sel:DWORD src1_sel:BYTE_0
	v_and_b32_e32 v66, 0xffffff00, v66
	v_sub_i16 v67, v67, v68 clamp
	v_or_b32_e32 v63, v79, v63
	v_or_b32_sdwa v66, v67, v66 dst_sel:DWORD dst_unused:UNUSED_PAD src0_sel:BYTE_1 src1_sel:DWORD
	v_and_b32_sdwa v67, v64, s33 dst_sel:DWORD dst_unused:UNUSED_PAD src0_sel:WORD_1 src1_sel:DWORD
	v_lshlrev_b32_e32 v63, 2, v63
	v_sub_i16 v65, v67, v65 clamp
	v_lshlrev_b16_sdwa v64, v52, v64 dst_sel:DWORD dst_unused:UNUSED_PAD src0_sel:DWORD src1_sel:WORD_1
	v_lshlrev_b16_e32 v67, 8, v71
	global_load_dword v63, v63, s[20:21]
	v_and_b32_e32 v65, 0xffffff00, v65
	v_sub_i16 v64, v64, v67 clamp
	v_or_b32_sdwa v64, v64, v65 dst_sel:WORD_1 dst_unused:UNUSED_PAD src0_sel:BYTE_1 src1_sel:DWORD
	v_lshrrev_b16_e32 v65, 8, v106
	v_or_b32_sdwa v64, v66, v64 dst_sel:DWORD dst_unused:UNUSED_PAD src0_sel:WORD_0 src1_sel:DWORD
	v_dot4c_i32_i8_e32 v102, v64, v6
	v_or_b32_sdwa v64, v80, v105 dst_sel:DWORD dst_unused:UNUSED_PAD src0_sel:DWORD src1_sel:BYTE_1
	v_lshlrev_b32_e32 v64, 2, v64
	global_load_dword v64, v64, s[20:21]
	v_bfe_u32 v69, v65, 3, 1
	v_lshlrev_b32_e32 v66, 5, v65
	v_lshrrev_b32_e32 v68, 1, v65
	v_cmp_ne_u16_e32 vcc, 0, v69
	v_lshlrev_b16_e32 v67, 7, v106
	v_bfe_i32 v68, v68, 0, 1
	v_lshrrev_b16_e32 v66, 7, v66
	v_cndmask_b32_e64 v69, 0, -1, vcc
	v_ashrrev_i16_e32 v67, 15, v67
	v_bfe_i32 v66, v66, 0, 1
	v_lshlrev_b16_e32 v68, 8, v68
	v_lshlrev_b16_e32 v69, 8, v69
	v_or_b32_sdwa v70, v67, v68 dst_sel:DWORD dst_unused:UNUSED_PAD src0_sel:BYTE_0 src1_sel:DWORD
	v_or_b32_sdwa v71, v66, v69 dst_sel:WORD_1 dst_unused:UNUSED_PAD src0_sel:BYTE_0 src1_sel:DWORD
	v_bfe_i32 v72, v65, 4, 1
	v_or_b32_sdwa v70, v70, v71 dst_sel:DWORD dst_unused:UNUSED_PAD src0_sel:WORD_0 src1_sel:DWORD
	v_lshlrev_b32_e32 v71, 1, v65
	v_lshrrev_b32_e32 v73, 5, v65
	v_lshrrev_b32_e32 v65, 7, v65
	v_cmp_ne_u16_e32 vcc, 0, v65
	v_bfe_i32 v73, v73, 0, 1
	v_lshrrev_b16_e32 v71, 7, v71
	v_cndmask_b32_e64 v65, 0, -1, vcc
	v_lshlrev_b16_e32 v67, 8, v67
	v_bfe_i32 v71, v71, 0, 1
	v_lshlrev_b16_e32 v73, 8, v73
	v_lshlrev_b16_e32 v65, 8, v65
	v_or_b32_sdwa v74, v72, v73 dst_sel:DWORD dst_unused:UNUSED_PAD src0_sel:BYTE_0 src1_sel:DWORD
	v_or_b32_sdwa v75, v71, v65 dst_sel:WORD_1 dst_unused:UNUSED_PAD src0_sel:BYTE_0 src1_sel:DWORD
	v_lshlrev_b16_e32 v66, 8, v66
	v_or_b32_sdwa v74, v74, v75 dst_sel:DWORD dst_unused:UNUSED_PAD src0_sel:WORD_0 src1_sel:DWORD
	s_waitcnt vmcnt(1)
	v_xor_b32_e32 v63, v63, v70
	v_and_b32_e32 v70, 0xffffff00, v63
	v_sub_i16 v68, v70, v68 clamp
	v_lshlrev_b16_e32 v70, 8, v63
	v_and_b32_e32 v68, 0xffffff00, v68
	v_sub_i16 v67, v70, v67 clamp
	v_or_b32_sdwa v67, v67, v68 dst_sel:DWORD dst_unused:UNUSED_PAD src0_sel:BYTE_1 src1_sel:DWORD
	v_and_b32_sdwa v68, v63, s33 dst_sel:DWORD dst_unused:UNUSED_PAD src0_sel:WORD_1 src1_sel:DWORD
	v_sub_i16 v68, v68, v69 clamp
	v_lshlrev_b16_sdwa v63, v52, v63 dst_sel:DWORD dst_unused:UNUSED_PAD src0_sel:DWORD src1_sel:WORD_1
	v_and_b32_e32 v68, 0xffffff00, v68
	v_sub_i16 v63, v63, v66 clamp
	s_waitcnt vmcnt(0)
	v_xor_b32_e32 v64, v64, v74
	v_or_b32_sdwa v63, v63, v68 dst_sel:WORD_1 dst_unused:UNUSED_PAD src0_sel:BYTE_1 src1_sel:DWORD
	v_and_b32_e32 v66, 0xffffff00, v64
	v_or_b32_sdwa v63, v67, v63 dst_sel:DWORD dst_unused:UNUSED_PAD src0_sel:WORD_0 src1_sel:DWORD
	v_sub_i16 v66, v66, v73 clamp
	v_lshlrev_b16_e32 v67, 8, v64
	v_lshlrev_b16_e32 v68, 8, v72
	v_and_b32_e32 v66, 0xffffff00, v66
	v_sub_i16 v67, v67, v68 clamp
	v_or_b32_sdwa v66, v67, v66 dst_sel:DWORD dst_unused:UNUSED_PAD src0_sel:BYTE_1 src1_sel:DWORD
	v_and_b32_sdwa v67, v64, s33 dst_sel:DWORD dst_unused:UNUSED_PAD src0_sel:WORD_1 src1_sel:DWORD
	v_sub_i16 v65, v67, v65 clamp
	v_lshlrev_b16_sdwa v64, v52, v64 dst_sel:DWORD dst_unused:UNUSED_PAD src0_sel:DWORD src1_sel:WORD_1
	v_lshlrev_b16_e32 v67, 8, v71
	v_and_b32_e32 v65, 0xffffff00, v65
	v_sub_i16 v64, v64, v67 clamp
	v_or_b32_sdwa v64, v64, v65 dst_sel:WORD_1 dst_unused:UNUSED_PAD src0_sel:BYTE_1 src1_sel:DWORD
	v_dot4c_i32_i8_e32 v102, v63, v7
	v_or_b32_sdwa v64, v66, v64 dst_sel:DWORD dst_unused:UNUSED_PAD src0_sel:WORD_0 src1_sel:DWORD
	v_dot4c_i32_i8_e32 v102, v64, v101
	global_load_ushort v63, v[36:37], off offset:4
	global_load_ushort v64, v[36:37], off offset:6
	;; [unrolled: 1-line block ×4, first 2 shown]
	v_mov_b32_e32 v67, 0
	v_dot4c_i32_i8_e32 v67, v81, v9
	v_dot4c_i32_i8_e32 v67, v82, v10
	s_waitcnt vmcnt(3)
	v_and_b32_sdwa v9, s30, v63 dst_sel:DWORD dst_unused:UNUSED_PAD src0_sel:DWORD src1_sel:BYTE_0
	v_or_b32_e32 v9, v83, v9
	v_lshlrev_b32_e32 v9, 2, v9
	global_load_dword v9, v9, s[20:21]
	v_or_b32_sdwa v10, v84, v63 dst_sel:DWORD dst_unused:UNUSED_PAD src0_sel:DWORD src1_sel:BYTE_1
	v_lshlrev_b32_e32 v10, 2, v10
	global_load_dword v10, v10, s[20:21]
	s_waitcnt vmcnt(1)
	v_xor_b32_e32 v9, v9, v89
	v_and_b32_e32 v63, 0xffffff00, v9
	v_sub_i16 v63, v63, v87 clamp
	v_lshlrev_b16_e32 v68, 8, v9
	v_and_b32_e32 v63, 0xffffff00, v63
	v_sub_i16 v68, v68, v91 clamp
	v_or_b32_sdwa v63, v68, v63 dst_sel:DWORD dst_unused:UNUSED_PAD src0_sel:BYTE_1 src1_sel:DWORD
	v_and_b32_sdwa v68, v9, s33 dst_sel:DWORD dst_unused:UNUSED_PAD src0_sel:WORD_1 src1_sel:DWORD
	v_sub_i16 v68, v68, v85 clamp
	v_lshlrev_b16_sdwa v9, v52, v9 dst_sel:DWORD dst_unused:UNUSED_PAD src0_sel:DWORD src1_sel:WORD_1
	v_and_b32_e32 v68, 0xffffff00, v68
	v_sub_i16 v9, v9, v92 clamp
	v_or_b32_sdwa v9, v9, v68 dst_sel:WORD_1 dst_unused:UNUSED_PAD src0_sel:BYTE_1 src1_sel:DWORD
	s_waitcnt vmcnt(0)
	v_xor_b32_e32 v10, v10, v90
	v_or_b32_sdwa v9, v63, v9 dst_sel:DWORD dst_unused:UNUSED_PAD src0_sel:WORD_0 src1_sel:DWORD
	v_and_b32_e32 v63, 0xffffff00, v10
	v_sub_i16 v63, v63, v88 clamp
	v_lshlrev_b16_e32 v68, 8, v10
	v_and_b32_e32 v63, 0xffffff00, v63
	v_sub_i16 v68, v68, v93 clamp
	v_or_b32_sdwa v63, v68, v63 dst_sel:DWORD dst_unused:UNUSED_PAD src0_sel:BYTE_1 src1_sel:DWORD
	v_and_b32_sdwa v68, v10, s33 dst_sel:DWORD dst_unused:UNUSED_PAD src0_sel:WORD_1 src1_sel:DWORD
	v_sub_i16 v68, v68, v86 clamp
	v_lshlrev_b16_sdwa v10, v52, v10 dst_sel:DWORD dst_unused:UNUSED_PAD src0_sel:DWORD src1_sel:WORD_1
	v_and_b32_e32 v68, 0xffffff00, v68
	v_sub_i16 v10, v10, v94 clamp
	v_or_b32_sdwa v10, v10, v68 dst_sel:WORD_1 dst_unused:UNUSED_PAD src0_sel:BYTE_1 src1_sel:DWORD
	v_dot4c_i32_i8_e32 v67, v9, v11
	v_or_b32_sdwa v10, v63, v10 dst_sel:DWORD dst_unused:UNUSED_PAD src0_sel:WORD_0 src1_sel:DWORD
	v_dot4c_i32_i8_e32 v67, v10, v4
	v_and_b32_sdwa v4, s30, v64 dst_sel:DWORD dst_unused:UNUSED_PAD src0_sel:DWORD src1_sel:BYTE_0
	v_or_b32_e32 v4, v95, v4
	v_lshlrev_b32_e32 v4, 2, v4
	global_load_dword v4, v4, s[20:21]
	v_and_b32_sdwa v10, s30, v66 dst_sel:DWORD dst_unused:UNUSED_PAD src0_sel:DWORD src1_sel:BYTE_0
	v_or_b32_sdwa v9, v96, v64 dst_sel:DWORD dst_unused:UNUSED_PAD src0_sel:DWORD src1_sel:BYTE_1
	v_bfe_u32 v68, v10, 3, 1
	v_lshlrev_b32_e32 v9, 2, v9
	global_load_dword v9, v9, s[20:21]
	v_lshlrev_b32_e32 v11, 5, v10
	v_lshrrev_b32_e32 v64, 1, v10
	v_cmp_ne_u16_e32 vcc, 0, v68
	v_and_b32_e32 v63, 1, v66
	v_bfe_i32 v64, v64, 0, 1
	v_lshrrev_b16_e32 v11, 7, v11
	v_cndmask_b32_e64 v68, 0, -1, vcc
	v_sub_u16_e32 v63, 0, v63
	v_bfe_i32 v11, v11, 0, 1
	v_lshlrev_b16_e32 v64, 8, v64
	v_lshlrev_b16_e32 v68, 8, v68
	v_or_b32_sdwa v69, v63, v64 dst_sel:DWORD dst_unused:UNUSED_PAD src0_sel:BYTE_0 src1_sel:DWORD
	v_or_b32_sdwa v70, v11, v68 dst_sel:WORD_1 dst_unused:UNUSED_PAD src0_sel:BYTE_0 src1_sel:DWORD
	v_lshlrev_b16_e32 v63, 8, v63
	v_or_b32_sdwa v69, v69, v70 dst_sel:DWORD dst_unused:UNUSED_PAD src0_sel:WORD_0 src1_sel:DWORD
	v_lshlrev_b16_e32 v11, 8, v11
	v_lshlrev_b32_e32 v70, 1, v10
	v_bfe_i32 v71, v10, 4, 1
	v_lshrrev_b32_e32 v72, 5, v10
	v_lshrrev_b32_e32 v10, 7, v10
	v_cmp_ne_u16_e32 vcc, 0, v10
	v_bfe_i32 v72, v72, 0, 1
	v_lshrrev_b16_e32 v70, 7, v70
	v_cndmask_b32_e64 v10, 0, -1, vcc
	v_bfe_i32 v70, v70, 0, 1
	v_lshlrev_b16_e32 v72, 8, v72
	v_lshlrev_b16_e32 v10, 8, v10
	v_or_b32_sdwa v73, v71, v72 dst_sel:DWORD dst_unused:UNUSED_PAD src0_sel:BYTE_0 src1_sel:DWORD
	v_or_b32_sdwa v74, v70, v10 dst_sel:WORD_1 dst_unused:UNUSED_PAD src0_sel:BYTE_0 src1_sel:DWORD
	v_bfe_u32 v89, v57, 7, 1
	v_or_b32_sdwa v73, v73, v74 dst_sel:DWORD dst_unused:UNUSED_PAD src0_sel:WORD_0 src1_sel:DWORD
	v_bfe_u32 v88, v57, 5, 3
	v_bfe_i32 v88, v88, 0, 1
	v_lshlrev_b16_e32 v88, 8, v88
	s_waitcnt vmcnt(1)
	v_xor_b32_e32 v4, v4, v69
	v_and_b32_e32 v69, 0xffffff00, v4
	v_sub_i16 v64, v69, v64 clamp
	v_lshlrev_b16_e32 v69, 8, v4
	v_and_b32_e32 v64, 0xffffff00, v64
	v_sub_i16 v63, v69, v63 clamp
	v_or_b32_sdwa v63, v63, v64 dst_sel:DWORD dst_unused:UNUSED_PAD src0_sel:BYTE_1 src1_sel:DWORD
	v_and_b32_sdwa v64, v4, s33 dst_sel:DWORD dst_unused:UNUSED_PAD src0_sel:WORD_1 src1_sel:DWORD
	v_sub_i16 v64, v64, v68 clamp
	v_lshlrev_b16_sdwa v4, v52, v4 dst_sel:DWORD dst_unused:UNUSED_PAD src0_sel:DWORD src1_sel:WORD_1
	v_and_b32_e32 v64, 0xffffff00, v64
	v_sub_i16 v4, v4, v11 clamp
	v_or_b32_sdwa v4, v4, v64 dst_sel:WORD_1 dst_unused:UNUSED_PAD src0_sel:BYTE_1 src1_sel:DWORD
	s_waitcnt vmcnt(0)
	v_xor_b32_e32 v9, v9, v73
	v_or_b32_sdwa v4, v63, v4 dst_sel:DWORD dst_unused:UNUSED_PAD src0_sel:WORD_0 src1_sel:DWORD
	v_dot4c_i32_i8_e32 v67, v4, v5
	v_and_b32_sdwa v4, s30, v65 dst_sel:DWORD dst_unused:UNUSED_PAD src0_sel:DWORD src1_sel:BYTE_0
	v_or_b32_e32 v4, v97, v4
	v_lshlrev_b32_e32 v4, 2, v4
	global_load_dword v4, v4, s[20:21]
	v_or_b32_sdwa v5, v98, v65 dst_sel:DWORD dst_unused:UNUSED_PAD src0_sel:DWORD src1_sel:BYTE_1
	v_lshlrev_b32_e32 v5, 2, v5
	global_load_dword v5, v5, s[20:21]
	v_and_b32_e32 v11, 0xffffff00, v9
	v_sub_i16 v11, v11, v72 clamp
	v_lshlrev_b16_e32 v63, 8, v9
	v_lshlrev_b16_e32 v64, 8, v71
	v_and_b32_e32 v11, 0xffffff00, v11
	v_sub_i16 v63, v63, v64 clamp
	v_or_b32_sdwa v11, v63, v11 dst_sel:DWORD dst_unused:UNUSED_PAD src0_sel:BYTE_1 src1_sel:DWORD
	v_and_b32_sdwa v63, v9, s33 dst_sel:DWORD dst_unused:UNUSED_PAD src0_sel:WORD_1 src1_sel:DWORD
	v_sub_i16 v10, v63, v10 clamp
	v_lshlrev_b16_sdwa v9, v52, v9 dst_sel:DWORD dst_unused:UNUSED_PAD src0_sel:DWORD src1_sel:WORD_1
	v_lshlrev_b16_e32 v63, 8, v70
	v_and_b32_e32 v10, 0xffffff00, v10
	v_sub_i16 v9, v9, v63 clamp
	v_or_b32_sdwa v9, v9, v10 dst_sel:WORD_1 dst_unused:UNUSED_PAD src0_sel:BYTE_1 src1_sel:DWORD
	v_lshlrev_b16_e32 v10, 7, v66
	v_or_b32_sdwa v9, v11, v9 dst_sel:DWORD dst_unused:UNUSED_PAD src0_sel:WORD_0 src1_sel:DWORD
	v_dot4c_i32_i8_e32 v67, v9, v6
	v_lshrrev_b16_e32 v6, 8, v66
	v_bfe_u32 v63, v6, 3, 1
	v_lshlrev_b32_e32 v9, 5, v6
	v_lshrrev_b32_e32 v11, 1, v6
	v_cmp_ne_u16_e32 vcc, 0, v63
	v_bfe_i32 v11, v11, 0, 1
	v_lshrrev_b16_e32 v9, 7, v9
	v_cndmask_b32_e64 v63, 0, -1, vcc
	v_ashrrev_i16_e32 v10, 15, v10
	v_bfe_i32 v9, v9, 0, 1
	v_lshlrev_b16_e32 v11, 8, v11
	v_lshlrev_b16_e32 v63, 8, v63
	v_or_b32_sdwa v64, v10, v11 dst_sel:DWORD dst_unused:UNUSED_PAD src0_sel:BYTE_0 src1_sel:DWORD
	v_or_b32_sdwa v65, v9, v63 dst_sel:WORD_1 dst_unused:UNUSED_PAD src0_sel:BYTE_0 src1_sel:DWORD
	v_bfe_i32 v66, v6, 4, 1
	v_or_b32_sdwa v64, v64, v65 dst_sel:DWORD dst_unused:UNUSED_PAD src0_sel:WORD_0 src1_sel:DWORD
	v_lshlrev_b32_e32 v65, 1, v6
	v_lshrrev_b32_e32 v68, 5, v6
	v_lshrrev_b32_e32 v6, 7, v6
	v_cmp_ne_u16_e32 vcc, 0, v6
	v_bfe_i32 v68, v68, 0, 1
	v_lshrrev_b16_e32 v65, 7, v65
	v_cndmask_b32_e64 v6, 0, -1, vcc
	v_lshlrev_b16_e32 v10, 8, v10
	v_bfe_i32 v65, v65, 0, 1
	v_lshlrev_b16_e32 v68, 8, v68
	v_lshlrev_b16_e32 v6, 8, v6
	v_or_b32_sdwa v69, v66, v68 dst_sel:DWORD dst_unused:UNUSED_PAD src0_sel:BYTE_0 src1_sel:DWORD
	v_or_b32_sdwa v70, v65, v6 dst_sel:WORD_1 dst_unused:UNUSED_PAD src0_sel:BYTE_0 src1_sel:DWORD
	v_lshlrev_b16_e32 v9, 8, v9
	v_or_b32_sdwa v69, v69, v70 dst_sel:DWORD dst_unused:UNUSED_PAD src0_sel:WORD_0 src1_sel:DWORD
	s_waitcnt vmcnt(1)
	v_xor_b32_e32 v4, v4, v64
	v_and_b32_e32 v64, 0xffffff00, v4
	v_sub_i16 v11, v64, v11 clamp
	v_lshlrev_b16_e32 v64, 8, v4
	v_and_b32_e32 v11, 0xffffff00, v11
	v_sub_i16 v10, v64, v10 clamp
	v_or_b32_sdwa v10, v10, v11 dst_sel:DWORD dst_unused:UNUSED_PAD src0_sel:BYTE_1 src1_sel:DWORD
	v_and_b32_sdwa v11, v4, s33 dst_sel:DWORD dst_unused:UNUSED_PAD src0_sel:WORD_1 src1_sel:DWORD
	v_sub_i16 v11, v11, v63 clamp
	v_lshlrev_b16_sdwa v4, v52, v4 dst_sel:DWORD dst_unused:UNUSED_PAD src0_sel:DWORD src1_sel:WORD_1
	v_and_b32_e32 v11, 0xffffff00, v11
	v_sub_i16 v4, v4, v9 clamp
	s_waitcnt vmcnt(0)
	v_xor_b32_e32 v5, v5, v69
	v_or_b32_sdwa v4, v4, v11 dst_sel:WORD_1 dst_unused:UNUSED_PAD src0_sel:BYTE_1 src1_sel:DWORD
	v_and_b32_e32 v9, 0xffffff00, v5
	v_or_b32_sdwa v4, v10, v4 dst_sel:DWORD dst_unused:UNUSED_PAD src0_sel:WORD_0 src1_sel:DWORD
	v_sub_i16 v9, v9, v68 clamp
	v_lshlrev_b16_e32 v10, 8, v5
	v_lshlrev_b16_e32 v11, 8, v66
	v_and_b32_e32 v9, 0xffffff00, v9
	v_sub_i16 v10, v10, v11 clamp
	v_or_b32_sdwa v9, v10, v9 dst_sel:DWORD dst_unused:UNUSED_PAD src0_sel:BYTE_1 src1_sel:DWORD
	v_and_b32_sdwa v10, v5, s33 dst_sel:DWORD dst_unused:UNUSED_PAD src0_sel:WORD_1 src1_sel:DWORD
	v_sub_i16 v6, v10, v6 clamp
	v_lshlrev_b16_sdwa v5, v52, v5 dst_sel:DWORD dst_unused:UNUSED_PAD src0_sel:DWORD src1_sel:WORD_1
	v_lshlrev_b16_e32 v10, 8, v65
	v_and_b32_e32 v6, 0xffffff00, v6
	v_sub_i16 v5, v5, v10 clamp
	v_or_b32_sdwa v5, v5, v6 dst_sel:WORD_1 dst_unused:UNUSED_PAD src0_sel:BYTE_1 src1_sel:DWORD
	v_dot4c_i32_i8_e32 v67, v4, v7
	v_or_b32_sdwa v5, v9, v5 dst_sel:DWORD dst_unused:UNUSED_PAD src0_sel:WORD_0 src1_sel:DWORD
	v_dot4c_i32_i8_e32 v67, v5, v101
	v_mul_lo_u32 v6, v102, v100
	v_cvt_f32_i32_e32 v6, v6
	v_pk_mul_f32 v[4:5], v[8:9], v[48:49] op_sel_hi:[0,1]
	v_mul_lo_u32 v7, v67, v99
	v_cvt_f32_i32_e32 v7, v7
	v_pk_fma_f32 v[2:3], v[4:5], v[6:7], v[2:3]
	scratch_store_dwordx4 off, v[0:3], off
	s_nop 1
	v_add_u32_e32 v0, s22, v51
	v_mad_u64_u32 v[0:1], s[34:35], v0, 36, s[24:25]
	v_mad_u64_u32 v[10:11], s[34:35], v14, 36, v[0:1]
	global_load_dword v8, v[10:11], off offset:32
	global_load_dwordx4 v[0:3], v[10:11], off offset:16
	global_load_dwordx4 v[4:7], v[10:11], off
	global_load_ushort v9, v[42:43], off offset:2
	global_load_ushort v48, v[42:43], off offset:4
	;; [unrolled: 1-line block ×4, first 2 shown]
	global_load_ubyte v66, v[44:45], off offset:66
	global_load_ushort v49, v[46:47], off offset:74
	global_load_ushort v67, v[46:47], off offset:76
	s_waitcnt vmcnt(6)
	v_and_b32_sdwa v10, s30, v9 dst_sel:DWORD dst_unused:UNUSED_PAD src0_sel:DWORD src1_sel:BYTE_0
	v_lshrrev_b16_e32 v9, 8, v9
	s_waitcnt vmcnt(2)
	v_lshlrev_b32_e32 v11, 8, v66
	v_and_or_b32 v10, v11, s31, v10
	v_lshlrev_b32_e32 v10, 2, v10
	global_load_dword v10, v10, s[20:21]
	v_lshlrev_b32_e32 v11, 7, v66
	v_and_or_b32 v9, v11, s31, v9
	v_lshlrev_b32_e32 v9, 2, v9
	global_load_dword v11, v9, s[20:21]
	s_waitcnt vmcnt(3)
	v_and_b32_sdwa v9, s30, v49 dst_sel:DWORD dst_unused:UNUSED_PAD src0_sel:DWORD src1_sel:BYTE_0
	v_bfe_u32 v70, v9, 3, 1
	v_lshlrev_b32_e32 v64, 5, v9
	v_lshrrev_b32_e32 v69, 1, v9
	v_cmp_ne_u16_e32 vcc, 0, v70
	v_and_b32_e32 v68, 1, v49
	v_bfe_i32 v69, v69, 0, 1
	v_lshrrev_b16_e32 v64, 7, v64
	v_cndmask_b32_e64 v70, 0, -1, vcc
	v_sub_u16_e32 v68, 0, v68
	v_bfe_i32 v64, v64, 0, 1
	v_lshlrev_b16_e32 v69, 8, v69
	v_lshlrev_b16_e32 v70, 8, v70
	v_or_b32_sdwa v71, v68, v69 dst_sel:DWORD dst_unused:UNUSED_PAD src0_sel:BYTE_0 src1_sel:DWORD
	v_or_b32_sdwa v72, v64, v70 dst_sel:WORD_1 dst_unused:UNUSED_PAD src0_sel:BYTE_0 src1_sel:DWORD
	v_bfe_i32 v73, v9, 4, 1
	v_or_b32_sdwa v71, v71, v72 dst_sel:DWORD dst_unused:UNUSED_PAD src0_sel:WORD_0 src1_sel:DWORD
	v_lshlrev_b32_e32 v72, 1, v9
	v_lshrrev_b32_e32 v74, 5, v9
	v_lshrrev_b32_e32 v9, 7, v9
	v_cmp_ne_u16_e32 vcc, 0, v9
	v_bfe_i32 v74, v74, 0, 1
	v_lshrrev_b16_e32 v72, 7, v72
	v_cndmask_b32_e64 v9, 0, -1, vcc
	v_bfe_i32 v72, v72, 0, 1
	v_lshlrev_b16_e32 v74, 8, v74
	v_lshlrev_b16_e32 v76, 8, v9
	v_or_b32_sdwa v75, v73, v74 dst_sel:DWORD dst_unused:UNUSED_PAD src0_sel:BYTE_0 src1_sel:DWORD
	v_or_b32_sdwa v9, v72, v76 dst_sel:WORD_1 dst_unused:UNUSED_PAD src0_sel:BYTE_0 src1_sel:DWORD
	v_lshlrev_b16_e32 v68, 8, v68
	v_or_b32_sdwa v75, v75, v9 dst_sel:DWORD dst_unused:UNUSED_PAD src0_sel:WORD_0 src1_sel:DWORD
	v_lshlrev_b16_e32 v64, 8, v64
	v_cvt_f32_f16_e32 v4, v4
	s_waitcnt vmcnt(1)
	v_xor_b32_e32 v9, v10, v71
	v_and_b32_e32 v10, 0xffffff00, v9
	v_sub_i16 v10, v10, v69 clamp
	v_lshlrev_b16_e32 v69, 8, v9
	v_and_b32_e32 v10, 0xffffff00, v10
	v_sub_i16 v68, v69, v68 clamp
	v_or_b32_sdwa v10, v68, v10 dst_sel:DWORD dst_unused:UNUSED_PAD src0_sel:BYTE_1 src1_sel:DWORD
	v_and_b32_sdwa v68, v9, s33 dst_sel:DWORD dst_unused:UNUSED_PAD src0_sel:WORD_1 src1_sel:DWORD
	v_sub_i16 v68, v68, v70 clamp
	v_lshlrev_b16_sdwa v9, v52, v9 dst_sel:DWORD dst_unused:UNUSED_PAD src0_sel:DWORD src1_sel:WORD_1
	v_and_b32_e32 v68, 0xffffff00, v68
	v_sub_i16 v9, v9, v64 clamp
	v_or_b32_sdwa v9, v9, v68 dst_sel:WORD_1 dst_unused:UNUSED_PAD src0_sel:BYTE_1 src1_sel:DWORD
	v_lshlrev_b16_e32 v68, 8, v73
	v_or_b32_sdwa v9, v10, v9 dst_sel:DWORD dst_unused:UNUSED_PAD src0_sel:WORD_0 src1_sel:DWORD
	s_waitcnt vmcnt(0)
	v_xor_b32_e32 v10, v11, v75
	v_and_b32_e32 v11, 0xffffff00, v10
	v_sub_i16 v11, v11, v74 clamp
	v_lshlrev_b16_e32 v64, 8, v10
	v_and_b32_e32 v11, 0xffffff00, v11
	v_sub_i16 v64, v64, v68 clamp
	v_or_b32_sdwa v11, v64, v11 dst_sel:DWORD dst_unused:UNUSED_PAD src0_sel:BYTE_1 src1_sel:DWORD
	v_and_b32_sdwa v64, v10, s33 dst_sel:DWORD dst_unused:UNUSED_PAD src0_sel:WORD_1 src1_sel:DWORD
	v_sub_i16 v64, v64, v76 clamp
	v_lshlrev_b16_sdwa v10, v52, v10 dst_sel:DWORD dst_unused:UNUSED_PAD src0_sel:DWORD src1_sel:WORD_1
	v_lshlrev_b16_e32 v68, 8, v72
	v_and_b32_e32 v64, 0xffffff00, v64
	v_sub_i16 v10, v10, v68 clamp
	v_or_b32_sdwa v10, v10, v64 dst_sel:WORD_1 dst_unused:UNUSED_PAD src0_sel:BYTE_1 src1_sel:DWORD
	v_and_b32_sdwa v64, s30, v48 dst_sel:DWORD dst_unused:UNUSED_PAD src0_sel:DWORD src1_sel:BYTE_0
	v_lshlrev_b32_e32 v68, 6, v66
	v_and_or_b32 v64, v68, s31, v64
	v_lshlrev_b32_e32 v64, 2, v64
	global_load_dword v64, v64, s[20:21]
	v_lshrrev_b16_e32 v48, 8, v48
	v_lshlrev_b32_e32 v68, 5, v66
	v_and_or_b32 v48, v68, s31, v48
	v_lshlrev_b32_e32 v48, 2, v48
	global_load_dword v68, v48, s[20:21]
	v_lshrrev_b16_e32 v48, 8, v49
	v_bfe_u32 v71, v48, 3, 1
	v_lshlrev_b32_e32 v69, 5, v48
	v_lshrrev_b32_e32 v70, 1, v48
	v_cmp_ne_u16_e32 vcc, 0, v71
	v_lshlrev_b16_e32 v49, 7, v49
	v_bfe_i32 v70, v70, 0, 1
	v_lshrrev_b16_e32 v69, 7, v69
	v_cndmask_b32_e64 v71, 0, -1, vcc
	v_ashrrev_i16_e32 v49, 15, v49
	v_bfe_i32 v69, v69, 0, 1
	v_lshlrev_b16_e32 v70, 8, v70
	v_lshlrev_b16_e32 v71, 8, v71
	v_or_b32_sdwa v72, v49, v70 dst_sel:DWORD dst_unused:UNUSED_PAD src0_sel:BYTE_0 src1_sel:DWORD
	v_or_b32_sdwa v73, v69, v71 dst_sel:WORD_1 dst_unused:UNUSED_PAD src0_sel:BYTE_0 src1_sel:DWORD
	v_bfe_i32 v74, v48, 4, 1
	v_or_b32_sdwa v72, v72, v73 dst_sel:DWORD dst_unused:UNUSED_PAD src0_sel:WORD_0 src1_sel:DWORD
	v_lshlrev_b32_e32 v73, 1, v48
	v_lshrrev_b32_e32 v75, 5, v48
	v_lshrrev_b32_e32 v48, 7, v48
	v_cmp_ne_u16_e32 vcc, 0, v48
	v_bfe_i32 v75, v75, 0, 1
	v_lshrrev_b16_e32 v73, 7, v73
	v_cndmask_b32_e64 v48, 0, -1, vcc
	v_bfe_i32 v73, v73, 0, 1
	v_lshlrev_b16_e32 v75, 8, v75
	v_lshlrev_b16_e32 v77, 8, v48
	v_or_b32_sdwa v76, v74, v75 dst_sel:DWORD dst_unused:UNUSED_PAD src0_sel:BYTE_0 src1_sel:DWORD
	v_or_b32_sdwa v48, v73, v77 dst_sel:WORD_1 dst_unused:UNUSED_PAD src0_sel:BYTE_0 src1_sel:DWORD
	v_lshlrev_b16_e32 v49, 8, v49
	v_or_b32_sdwa v76, v76, v48 dst_sel:DWORD dst_unused:UNUSED_PAD src0_sel:WORD_0 src1_sel:DWORD
	v_lshlrev_b16_e32 v69, 8, v69
	v_or_b32_sdwa v10, v11, v10 dst_sel:DWORD dst_unused:UNUSED_PAD src0_sel:WORD_0 src1_sel:DWORD
	v_mov_b32_e32 v11, 0
	v_dot4c_i32_i8_e32 v11, v9, v5
	v_dot4c_i32_i8_e32 v11, v10, v6
	s_waitcnt vmcnt(1)
	v_xor_b32_e32 v48, v64, v72
	v_and_b32_e32 v64, 0xffffff00, v48
	v_sub_i16 v64, v64, v70 clamp
	v_lshlrev_b16_e32 v70, 8, v48
	v_and_b32_e32 v64, 0xffffff00, v64
	v_sub_i16 v49, v70, v49 clamp
	v_or_b32_sdwa v49, v49, v64 dst_sel:DWORD dst_unused:UNUSED_PAD src0_sel:BYTE_1 src1_sel:DWORD
	v_and_b32_sdwa v64, v48, s33 dst_sel:DWORD dst_unused:UNUSED_PAD src0_sel:WORD_1 src1_sel:DWORD
	v_sub_i16 v64, v64, v71 clamp
	v_lshlrev_b16_sdwa v48, v52, v48 dst_sel:DWORD dst_unused:UNUSED_PAD src0_sel:DWORD src1_sel:WORD_1
	v_and_b32_e32 v64, 0xffffff00, v64
	v_sub_i16 v48, v48, v69 clamp
	v_or_b32_sdwa v48, v48, v64 dst_sel:WORD_1 dst_unused:UNUSED_PAD src0_sel:BYTE_1 src1_sel:DWORD
	v_lshlrev_b16_e32 v69, 8, v74
	v_or_b32_sdwa v48, v49, v48 dst_sel:DWORD dst_unused:UNUSED_PAD src0_sel:WORD_0 src1_sel:DWORD
	s_waitcnt vmcnt(0)
	v_xor_b32_e32 v49, v68, v76
	v_and_b32_e32 v64, 0xffffff00, v49
	v_sub_i16 v64, v64, v75 clamp
	v_lshlrev_b16_e32 v68, 8, v49
	v_and_b32_e32 v64, 0xffffff00, v64
	v_sub_i16 v68, v68, v69 clamp
	v_or_b32_sdwa v64, v68, v64 dst_sel:DWORD dst_unused:UNUSED_PAD src0_sel:BYTE_1 src1_sel:DWORD
	v_and_b32_sdwa v68, v49, s33 dst_sel:DWORD dst_unused:UNUSED_PAD src0_sel:WORD_1 src1_sel:DWORD
	v_sub_i16 v68, v68, v77 clamp
	v_lshlrev_b16_sdwa v49, v52, v49 dst_sel:DWORD dst_unused:UNUSED_PAD src0_sel:DWORD src1_sel:WORD_1
	v_lshlrev_b16_e32 v69, 8, v73
	v_and_b32_e32 v68, 0xffffff00, v68
	v_sub_i16 v49, v49, v69 clamp
	v_or_b32_sdwa v49, v49, v68 dst_sel:WORD_1 dst_unused:UNUSED_PAD src0_sel:BYTE_1 src1_sel:DWORD
	v_lshlrev_b32_e32 v68, 4, v66
	v_or_b32_sdwa v49, v64, v49 dst_sel:DWORD dst_unused:UNUSED_PAD src0_sel:WORD_0 src1_sel:DWORD
	v_and_b32_sdwa v64, s30, v63 dst_sel:DWORD dst_unused:UNUSED_PAD src0_sel:DWORD src1_sel:BYTE_0
	v_and_or_b32 v64, v68, s31, v64
	v_lshlrev_b32_e32 v64, 2, v64
	global_load_dword v64, v64, s[20:21]
	v_lshrrev_b16_e32 v63, 8, v63
	v_lshlrev_b32_e32 v68, 3, v66
	v_and_or_b32 v63, v68, s31, v63
	v_lshlrev_b32_e32 v63, 2, v63
	global_load_dword v68, v63, s[20:21]
	v_and_b32_sdwa v63, s30, v67 dst_sel:DWORD dst_unused:UNUSED_PAD src0_sel:DWORD src1_sel:BYTE_0
	v_bfe_u32 v72, v63, 3, 1
	v_lshlrev_b32_e32 v69, 5, v63
	v_lshrrev_b32_e32 v71, 1, v63
	v_cmp_ne_u16_e32 vcc, 0, v72
	v_and_b32_e32 v70, 1, v67
	v_bfe_i32 v71, v71, 0, 1
	v_lshrrev_b16_e32 v69, 7, v69
	v_cndmask_b32_e64 v72, 0, -1, vcc
	v_sub_u16_e32 v70, 0, v70
	v_bfe_i32 v69, v69, 0, 1
	v_lshlrev_b16_e32 v71, 8, v71
	v_lshlrev_b16_e32 v72, 8, v72
	v_or_b32_sdwa v73, v70, v71 dst_sel:DWORD dst_unused:UNUSED_PAD src0_sel:BYTE_0 src1_sel:DWORD
	v_or_b32_sdwa v74, v69, v72 dst_sel:WORD_1 dst_unused:UNUSED_PAD src0_sel:BYTE_0 src1_sel:DWORD
	v_bfe_i32 v75, v63, 4, 1
	v_or_b32_sdwa v73, v73, v74 dst_sel:DWORD dst_unused:UNUSED_PAD src0_sel:WORD_0 src1_sel:DWORD
	v_lshlrev_b32_e32 v74, 1, v63
	v_lshrrev_b32_e32 v76, 5, v63
	v_lshrrev_b32_e32 v63, 7, v63
	v_cmp_ne_u16_e32 vcc, 0, v63
	v_bfe_i32 v76, v76, 0, 1
	v_lshrrev_b16_e32 v74, 7, v74
	v_cndmask_b32_e64 v63, 0, -1, vcc
	v_bfe_i32 v74, v74, 0, 1
	v_lshlrev_b16_e32 v76, 8, v76
	v_lshlrev_b16_e32 v78, 8, v63
	v_or_b32_sdwa v77, v75, v76 dst_sel:DWORD dst_unused:UNUSED_PAD src0_sel:BYTE_0 src1_sel:DWORD
	v_or_b32_sdwa v63, v74, v78 dst_sel:WORD_1 dst_unused:UNUSED_PAD src0_sel:BYTE_0 src1_sel:DWORD
	v_lshlrev_b16_e32 v70, 8, v70
	v_or_b32_sdwa v77, v77, v63 dst_sel:DWORD dst_unused:UNUSED_PAD src0_sel:WORD_0 src1_sel:DWORD
	v_lshlrev_b16_e32 v69, 8, v69
	v_dot4c_i32_i8_e32 v11, v48, v7
	v_dot4c_i32_i8_e32 v11, v49, v0
	s_waitcnt vmcnt(1)
	v_xor_b32_e32 v63, v64, v73
	v_and_b32_e32 v64, 0xffffff00, v63
	v_sub_i16 v64, v64, v71 clamp
	v_lshlrev_b16_e32 v71, 8, v63
	v_and_b32_e32 v64, 0xffffff00, v64
	v_sub_i16 v70, v71, v70 clamp
	v_or_b32_sdwa v64, v70, v64 dst_sel:DWORD dst_unused:UNUSED_PAD src0_sel:BYTE_1 src1_sel:DWORD
	v_and_b32_sdwa v70, v63, s33 dst_sel:DWORD dst_unused:UNUSED_PAD src0_sel:WORD_1 src1_sel:DWORD
	v_sub_i16 v70, v70, v72 clamp
	v_lshlrev_b16_sdwa v63, v52, v63 dst_sel:DWORD dst_unused:UNUSED_PAD src0_sel:DWORD src1_sel:WORD_1
	v_and_b32_e32 v70, 0xffffff00, v70
	v_sub_i16 v63, v63, v69 clamp
	v_or_b32_sdwa v63, v63, v70 dst_sel:WORD_1 dst_unused:UNUSED_PAD src0_sel:BYTE_1 src1_sel:DWORD
	v_lshlrev_b16_e32 v70, 8, v75
	v_or_b32_sdwa v63, v64, v63 dst_sel:DWORD dst_unused:UNUSED_PAD src0_sel:WORD_0 src1_sel:DWORD
	s_waitcnt vmcnt(0)
	v_xor_b32_e32 v64, v68, v77
	v_and_b32_e32 v68, 0xffffff00, v64
	v_sub_i16 v68, v68, v76 clamp
	v_lshlrev_b16_e32 v69, 8, v64
	v_and_b32_e32 v68, 0xffffff00, v68
	v_sub_i16 v69, v69, v70 clamp
	v_or_b32_sdwa v68, v69, v68 dst_sel:DWORD dst_unused:UNUSED_PAD src0_sel:BYTE_1 src1_sel:DWORD
	v_and_b32_sdwa v69, v64, s33 dst_sel:DWORD dst_unused:UNUSED_PAD src0_sel:WORD_1 src1_sel:DWORD
	v_sub_i16 v69, v69, v78 clamp
	v_lshlrev_b16_sdwa v64, v52, v64 dst_sel:DWORD dst_unused:UNUSED_PAD src0_sel:DWORD src1_sel:WORD_1
	v_lshlrev_b16_e32 v70, 8, v74
	v_and_b32_e32 v69, 0xffffff00, v69
	v_sub_i16 v64, v64, v70 clamp
	v_or_b32_sdwa v64, v64, v69 dst_sel:WORD_1 dst_unused:UNUSED_PAD src0_sel:BYTE_1 src1_sel:DWORD
	v_lshlrev_b32_e32 v69, 2, v66
	v_or_b32_sdwa v64, v68, v64 dst_sel:DWORD dst_unused:UNUSED_PAD src0_sel:WORD_0 src1_sel:DWORD
	v_and_b32_sdwa v68, s30, v65 dst_sel:DWORD dst_unused:UNUSED_PAD src0_sel:DWORD src1_sel:BYTE_0
	v_and_or_b32 v68, v69, s31, v68
	v_lshlrev_b32_e32 v68, 2, v68
	global_load_dword v68, v68, s[20:21]
	v_lshrrev_b16_e32 v65, 8, v65
	v_lshlrev_b32_e32 v66, 1, v66
	v_and_or_b32 v65, v66, s31, v65
	v_lshlrev_b32_e32 v65, 2, v65
	global_load_dword v66, v65, s[20:21]
	v_lshrrev_b16_e32 v65, 8, v67
	v_bfe_u32 v71, v65, 3, 1
	v_lshlrev_b32_e32 v69, 5, v65
	v_lshrrev_b32_e32 v70, 1, v65
	v_cmp_ne_u16_e32 vcc, 0, v71
	v_lshlrev_b16_e32 v67, 7, v67
	v_bfe_i32 v70, v70, 0, 1
	v_lshrrev_b16_e32 v69, 7, v69
	v_cndmask_b32_e64 v71, 0, -1, vcc
	v_ashrrev_i16_e32 v67, 15, v67
	v_bfe_i32 v69, v69, 0, 1
	v_lshlrev_b16_e32 v70, 8, v70
	v_lshlrev_b16_e32 v71, 8, v71
	v_or_b32_sdwa v72, v67, v70 dst_sel:DWORD dst_unused:UNUSED_PAD src0_sel:BYTE_0 src1_sel:DWORD
	v_or_b32_sdwa v73, v69, v71 dst_sel:WORD_1 dst_unused:UNUSED_PAD src0_sel:BYTE_0 src1_sel:DWORD
	v_bfe_i32 v74, v65, 4, 1
	v_or_b32_sdwa v72, v72, v73 dst_sel:DWORD dst_unused:UNUSED_PAD src0_sel:WORD_0 src1_sel:DWORD
	v_lshlrev_b32_e32 v73, 1, v65
	v_lshrrev_b32_e32 v75, 5, v65
	v_lshrrev_b32_e32 v65, 7, v65
	v_cmp_ne_u16_e32 vcc, 0, v65
	v_bfe_i32 v75, v75, 0, 1
	v_lshrrev_b16_e32 v73, 7, v73
	v_cndmask_b32_e64 v65, 0, -1, vcc
	v_bfe_i32 v73, v73, 0, 1
	v_lshlrev_b16_e32 v75, 8, v75
	v_lshlrev_b16_e32 v77, 8, v65
	v_or_b32_sdwa v76, v74, v75 dst_sel:DWORD dst_unused:UNUSED_PAD src0_sel:BYTE_0 src1_sel:DWORD
	v_or_b32_sdwa v65, v73, v77 dst_sel:WORD_1 dst_unused:UNUSED_PAD src0_sel:BYTE_0 src1_sel:DWORD
	v_lshlrev_b16_e32 v67, 8, v67
	v_or_b32_sdwa v76, v76, v65 dst_sel:DWORD dst_unused:UNUSED_PAD src0_sel:WORD_0 src1_sel:DWORD
	v_lshlrev_b16_e32 v69, 8, v69
	v_dot4c_i32_i8_e32 v11, v63, v1
	v_dot4c_i32_i8_e32 v11, v64, v2
	s_waitcnt vmcnt(1)
	v_xor_b32_e32 v65, v68, v72
	v_and_b32_e32 v68, 0xffffff00, v65
	v_sub_i16 v68, v68, v70 clamp
	v_lshlrev_b16_e32 v70, 8, v65
	v_and_b32_e32 v68, 0xffffff00, v68
	v_sub_i16 v67, v70, v67 clamp
	v_or_b32_sdwa v67, v67, v68 dst_sel:DWORD dst_unused:UNUSED_PAD src0_sel:BYTE_1 src1_sel:DWORD
	v_and_b32_sdwa v68, v65, s33 dst_sel:DWORD dst_unused:UNUSED_PAD src0_sel:WORD_1 src1_sel:DWORD
	v_sub_i16 v68, v68, v71 clamp
	v_lshlrev_b16_sdwa v65, v52, v65 dst_sel:DWORD dst_unused:UNUSED_PAD src0_sel:DWORD src1_sel:WORD_1
	v_and_b32_e32 v68, 0xffffff00, v68
	v_sub_i16 v65, v65, v69 clamp
	v_or_b32_sdwa v65, v65, v68 dst_sel:WORD_1 dst_unused:UNUSED_PAD src0_sel:BYTE_1 src1_sel:DWORD
	s_waitcnt vmcnt(0)
	v_xor_b32_e32 v66, v66, v76
	v_or_b32_sdwa v65, v67, v65 dst_sel:DWORD dst_unused:UNUSED_PAD src0_sel:WORD_0 src1_sel:DWORD
	v_and_b32_e32 v67, 0xffffff00, v66
	v_sub_i16 v67, v67, v75 clamp
	v_lshlrev_b16_e32 v68, 8, v66
	v_lshlrev_b16_e32 v69, 8, v74
	v_and_b32_e32 v67, 0xffffff00, v67
	v_sub_i16 v68, v68, v69 clamp
	v_or_b32_sdwa v67, v68, v67 dst_sel:DWORD dst_unused:UNUSED_PAD src0_sel:BYTE_1 src1_sel:DWORD
	v_and_b32_sdwa v68, v66, s33 dst_sel:DWORD dst_unused:UNUSED_PAD src0_sel:WORD_1 src1_sel:DWORD
	v_sub_i16 v68, v68, v77 clamp
	v_lshlrev_b16_sdwa v66, v52, v66 dst_sel:DWORD dst_unused:UNUSED_PAD src0_sel:DWORD src1_sel:WORD_1
	v_lshlrev_b16_e32 v69, 8, v73
	v_and_b32_e32 v68, 0xffffff00, v68
	v_sub_i16 v66, v66, v69 clamp
	v_or_b32_sdwa v66, v66, v68 dst_sel:WORD_1 dst_unused:UNUSED_PAD src0_sel:BYTE_1 src1_sel:DWORD
	v_dot4c_i32_i8_e32 v11, v65, v3
	v_or_b32_sdwa v66, v67, v66 dst_sel:DWORD dst_unused:UNUSED_PAD src0_sel:WORD_0 src1_sel:DWORD
	global_load_ushort v67, v[34:35], off
	global_load_ushort v68, v[36:37], off offset:2
	global_load_ushort v69, v[36:37], off offset:4
	;; [unrolled: 1-line block ×4, first 2 shown]
	global_load_ubyte v72, v[38:39], off offset:66
	global_load_ushort v73, v[40:41], off offset:74
	global_load_ushort v74, v[40:41], off offset:76
	v_dot4c_i32_i8_e32 v11, v66, v8
	s_waitcnt vmcnt(6)
	v_and_b32_sdwa v75, s30, v68 dst_sel:DWORD dst_unused:UNUSED_PAD src0_sel:DWORD src1_sel:BYTE_0
	v_lshrrev_b16_e32 v68, 8, v68
	s_waitcnt vmcnt(2)
	v_lshlrev_b32_e32 v76, 8, v72
	v_and_or_b32 v75, v76, s31, v75
	v_lshlrev_b32_e32 v75, 2, v75
	global_load_dword v75, v75, s[20:21]
	v_lshlrev_b32_e32 v76, 7, v72
	v_and_or_b32 v68, v76, s31, v68
	v_lshlrev_b32_e32 v68, 2, v68
	global_load_dword v68, v68, s[20:21]
	s_waitcnt vmcnt(3)
	v_and_b32_sdwa v76, s30, v73 dst_sel:DWORD dst_unused:UNUSED_PAD src0_sel:DWORD src1_sel:BYTE_0
	v_bfe_u32 v80, v76, 3, 1
	v_lshlrev_b32_e32 v77, 5, v76
	v_lshrrev_b32_e32 v79, 1, v76
	v_cmp_ne_u16_e32 vcc, 0, v80
	v_and_b32_e32 v78, 1, v73
	v_bfe_i32 v79, v79, 0, 1
	v_lshrrev_b16_e32 v77, 7, v77
	v_cndmask_b32_e64 v80, 0, -1, vcc
	v_sub_u16_e32 v78, 0, v78
	v_bfe_i32 v77, v77, 0, 1
	v_lshlrev_b16_e32 v79, 8, v79
	v_lshlrev_b16_e32 v80, 8, v80
	v_or_b32_sdwa v81, v78, v79 dst_sel:DWORD dst_unused:UNUSED_PAD src0_sel:BYTE_0 src1_sel:DWORD
	v_or_b32_sdwa v82, v77, v80 dst_sel:WORD_1 dst_unused:UNUSED_PAD src0_sel:BYTE_0 src1_sel:DWORD
	v_bfe_i32 v83, v76, 4, 1
	v_or_b32_sdwa v81, v81, v82 dst_sel:DWORD dst_unused:UNUSED_PAD src0_sel:WORD_0 src1_sel:DWORD
	v_lshlrev_b32_e32 v82, 1, v76
	v_lshrrev_b32_e32 v84, 5, v76
	v_lshrrev_b32_e32 v76, 7, v76
	v_cmp_ne_u16_e32 vcc, 0, v76
	v_lshlrev_b16_e32 v78, 8, v78
	v_bfe_i32 v84, v84, 0, 1
	v_lshrrev_b16_e32 v82, 7, v82
	v_cndmask_b32_e64 v76, 0, -1, vcc
	v_bfe_i32 v82, v82, 0, 1
	v_lshlrev_b16_e32 v84, 8, v84
	v_lshlrev_b16_e32 v76, 8, v76
	v_or_b32_sdwa v85, v83, v84 dst_sel:DWORD dst_unused:UNUSED_PAD src0_sel:BYTE_0 src1_sel:DWORD
	v_or_b32_sdwa v86, v82, v76 dst_sel:WORD_1 dst_unused:UNUSED_PAD src0_sel:BYTE_0 src1_sel:DWORD
	v_lshlrev_b16_e32 v77, 8, v77
	v_or_b32_sdwa v85, v85, v86 dst_sel:DWORD dst_unused:UNUSED_PAD src0_sel:WORD_0 src1_sel:DWORD
	s_waitcnt vmcnt(1)
	v_xor_b32_e32 v75, v75, v81
	v_and_b32_e32 v81, 0xffffff00, v75
	v_sub_i16 v79, v81, v79 clamp
	v_lshlrev_b16_e32 v81, 8, v75
	v_and_b32_e32 v79, 0xffffff00, v79
	v_sub_i16 v78, v81, v78 clamp
	v_or_b32_sdwa v78, v78, v79 dst_sel:DWORD dst_unused:UNUSED_PAD src0_sel:BYTE_1 src1_sel:DWORD
	v_and_b32_sdwa v79, v75, s33 dst_sel:DWORD dst_unused:UNUSED_PAD src0_sel:WORD_1 src1_sel:DWORD
	v_sub_i16 v79, v79, v80 clamp
	v_lshlrev_b16_sdwa v75, v52, v75 dst_sel:DWORD dst_unused:UNUSED_PAD src0_sel:DWORD src1_sel:WORD_1
	v_and_b32_e32 v79, 0xffffff00, v79
	v_sub_i16 v75, v75, v77 clamp
	v_or_b32_sdwa v75, v75, v79 dst_sel:WORD_1 dst_unused:UNUSED_PAD src0_sel:BYTE_1 src1_sel:DWORD
	s_waitcnt vmcnt(0)
	v_xor_b32_e32 v68, v68, v85
	v_or_b32_sdwa v77, v78, v75 dst_sel:DWORD dst_unused:UNUSED_PAD src0_sel:WORD_0 src1_sel:DWORD
	v_and_b32_e32 v75, 0xffffff00, v68
	v_sub_i16 v75, v75, v84 clamp
	v_lshlrev_b16_e32 v78, 8, v68
	v_lshlrev_b16_e32 v79, 8, v83
	v_and_b32_e32 v75, 0xffffff00, v75
	v_sub_i16 v78, v78, v79 clamp
	v_or_b32_sdwa v75, v78, v75 dst_sel:DWORD dst_unused:UNUSED_PAD src0_sel:BYTE_1 src1_sel:DWORD
	v_and_b32_sdwa v78, v68, s33 dst_sel:DWORD dst_unused:UNUSED_PAD src0_sel:WORD_1 src1_sel:DWORD
	v_sub_i16 v76, v78, v76 clamp
	v_lshlrev_b16_sdwa v68, v52, v68 dst_sel:DWORD dst_unused:UNUSED_PAD src0_sel:DWORD src1_sel:WORD_1
	v_lshlrev_b16_e32 v78, 8, v82
	v_and_b32_e32 v76, 0xffffff00, v76
	v_sub_i16 v68, v68, v78 clamp
	v_or_b32_sdwa v68, v68, v76 dst_sel:WORD_1 dst_unused:UNUSED_PAD src0_sel:BYTE_1 src1_sel:DWORD
	s_nop 0
	v_or_b32_sdwa v76, v75, v68 dst_sel:DWORD dst_unused:UNUSED_PAD src0_sel:WORD_0 src1_sel:DWORD
	v_mov_b32_e32 v68, 0
	v_dot4c_i32_i8_e32 v68, v77, v5
	v_dot4c_i32_i8_e32 v68, v76, v6
	v_and_b32_sdwa v5, s30, v69 dst_sel:DWORD dst_unused:UNUSED_PAD src0_sel:DWORD src1_sel:BYTE_0
	v_lshlrev_b32_e32 v6, 6, v72
	v_and_or_b32 v5, v6, s31, v5
	v_lshlrev_b32_e32 v5, 2, v5
	global_load_dword v5, v5, s[20:21]
	v_lshrrev_b16_e32 v6, 8, v69
	v_lshlrev_b32_e32 v69, 5, v72
	v_and_or_b32 v6, v69, s31, v6
	v_lshlrev_b32_e32 v6, 2, v6
	global_load_dword v6, v6, s[20:21]
	v_lshrrev_b16_e32 v69, 8, v73
	v_bfe_u32 v79, v69, 3, 1
	v_lshlrev_b32_e32 v75, 5, v69
	v_lshrrev_b32_e32 v78, 1, v69
	v_cmp_ne_u16_e32 vcc, 0, v79
	v_lshlrev_b16_e32 v73, 7, v73
	v_bfe_i32 v78, v78, 0, 1
	v_lshrrev_b16_e32 v75, 7, v75
	v_cndmask_b32_e64 v79, 0, -1, vcc
	v_ashrrev_i16_e32 v73, 15, v73
	v_bfe_i32 v75, v75, 0, 1
	v_lshlrev_b16_e32 v78, 8, v78
	v_lshlrev_b16_e32 v79, 8, v79
	v_or_b32_sdwa v80, v73, v78 dst_sel:DWORD dst_unused:UNUSED_PAD src0_sel:BYTE_0 src1_sel:DWORD
	v_or_b32_sdwa v81, v75, v79 dst_sel:WORD_1 dst_unused:UNUSED_PAD src0_sel:BYTE_0 src1_sel:DWORD
	v_bfe_i32 v82, v69, 4, 1
	v_or_b32_sdwa v80, v80, v81 dst_sel:DWORD dst_unused:UNUSED_PAD src0_sel:WORD_0 src1_sel:DWORD
	v_lshlrev_b32_e32 v81, 1, v69
	v_lshrrev_b32_e32 v83, 5, v69
	v_lshrrev_b32_e32 v69, 7, v69
	v_lshlrev_b16_e32 v73, 8, v73
	v_cmp_ne_u16_e32 vcc, 0, v69
	v_bfe_i32 v83, v83, 0, 1
	v_lshrrev_b16_e32 v81, 7, v81
	v_cndmask_b32_e64 v69, 0, -1, vcc
	v_bfe_i32 v81, v81, 0, 1
	v_lshlrev_b16_e32 v83, 8, v83
	v_lshlrev_b16_e32 v69, 8, v69
	;; [unrolled: 1-line block ×3, first 2 shown]
	v_or_b32_sdwa v84, v82, v83 dst_sel:DWORD dst_unused:UNUSED_PAD src0_sel:BYTE_0 src1_sel:DWORD
	v_or_b32_sdwa v85, v81, v69 dst_sel:WORD_1 dst_unused:UNUSED_PAD src0_sel:BYTE_0 src1_sel:DWORD
	s_waitcnt vmcnt(1)
	v_xor_b32_e32 v5, v5, v80
	v_and_b32_e32 v80, 0xffffff00, v5
	v_sub_i16 v78, v80, v78 clamp
	v_lshlrev_b16_e32 v80, 8, v5
	v_and_b32_e32 v78, 0xffffff00, v78
	v_sub_i16 v73, v80, v73 clamp
	v_or_b32_sdwa v73, v73, v78 dst_sel:DWORD dst_unused:UNUSED_PAD src0_sel:BYTE_1 src1_sel:DWORD
	v_and_b32_sdwa v78, v5, s33 dst_sel:DWORD dst_unused:UNUSED_PAD src0_sel:WORD_1 src1_sel:DWORD
	v_sub_i16 v78, v78, v79 clamp
	v_lshlrev_b16_sdwa v5, v52, v5 dst_sel:DWORD dst_unused:UNUSED_PAD src0_sel:DWORD src1_sel:WORD_1
	v_and_b32_e32 v78, 0xffffff00, v78
	v_sub_i16 v5, v5, v75 clamp
	v_or_b32_sdwa v84, v84, v85 dst_sel:DWORD dst_unused:UNUSED_PAD src0_sel:WORD_0 src1_sel:DWORD
	v_or_b32_sdwa v5, v5, v78 dst_sel:WORD_1 dst_unused:UNUSED_PAD src0_sel:BYTE_1 src1_sel:DWORD
	v_lshlrev_b16_e32 v75, 8, v82
	v_or_b32_sdwa v78, v73, v5 dst_sel:DWORD dst_unused:UNUSED_PAD src0_sel:WORD_0 src1_sel:DWORD
	s_waitcnt vmcnt(0)
	v_xor_b32_e32 v5, v6, v84
	v_and_b32_e32 v6, 0xffffff00, v5
	v_sub_i16 v6, v6, v83 clamp
	v_lshlrev_b16_e32 v73, 8, v5
	v_and_b32_e32 v6, 0xffffff00, v6
	v_sub_i16 v73, v73, v75 clamp
	v_or_b32_sdwa v6, v73, v6 dst_sel:DWORD dst_unused:UNUSED_PAD src0_sel:BYTE_1 src1_sel:DWORD
	v_and_b32_sdwa v73, v5, s33 dst_sel:DWORD dst_unused:UNUSED_PAD src0_sel:WORD_1 src1_sel:DWORD
	v_sub_i16 v69, v73, v69 clamp
	v_lshlrev_b16_sdwa v5, v52, v5 dst_sel:DWORD dst_unused:UNUSED_PAD src0_sel:DWORD src1_sel:WORD_1
	v_lshlrev_b16_e32 v73, 8, v81
	v_and_b32_e32 v69, 0xffffff00, v69
	v_sub_i16 v5, v5, v73 clamp
	v_or_b32_sdwa v5, v5, v69 dst_sel:WORD_1 dst_unused:UNUSED_PAD src0_sel:BYTE_1 src1_sel:DWORD
	v_dot4c_i32_i8_e32 v68, v78, v7
	v_or_b32_sdwa v79, v6, v5 dst_sel:DWORD dst_unused:UNUSED_PAD src0_sel:WORD_0 src1_sel:DWORD
	v_dot4c_i32_i8_e32 v68, v79, v0
	v_and_b32_sdwa v0, s30, v70 dst_sel:DWORD dst_unused:UNUSED_PAD src0_sel:DWORD src1_sel:BYTE_0
	v_lshlrev_b32_e32 v5, 4, v72
	v_and_or_b32 v0, v5, s31, v0
	v_lshlrev_b32_e32 v0, 2, v0
	global_load_dword v0, v0, s[20:21]
	v_lshrrev_b16_e32 v5, 8, v70
	v_lshlrev_b32_e32 v6, 3, v72
	v_and_or_b32 v5, v6, s31, v5
	v_lshlrev_b32_e32 v5, 2, v5
	global_load_dword v5, v5, s[20:21]
	v_and_b32_sdwa v6, s30, v74 dst_sel:DWORD dst_unused:UNUSED_PAD src0_sel:DWORD src1_sel:BYTE_0
	v_bfe_u32 v73, v6, 3, 1
	v_lshlrev_b32_e32 v7, 5, v6
	v_lshrrev_b32_e32 v70, 1, v6
	v_cmp_ne_u16_e32 vcc, 0, v73
	v_and_b32_e32 v69, 1, v74
	v_bfe_i32 v70, v70, 0, 1
	v_lshrrev_b16_e32 v7, 7, v7
	v_cndmask_b32_e64 v73, 0, -1, vcc
	v_sub_u16_e32 v69, 0, v69
	v_bfe_i32 v7, v7, 0, 1
	v_lshlrev_b16_e32 v70, 8, v70
	v_lshlrev_b16_e32 v73, 8, v73
	v_or_b32_sdwa v75, v69, v70 dst_sel:DWORD dst_unused:UNUSED_PAD src0_sel:BYTE_0 src1_sel:DWORD
	v_or_b32_sdwa v80, v7, v73 dst_sel:WORD_1 dst_unused:UNUSED_PAD src0_sel:BYTE_0 src1_sel:DWORD
	v_bfe_i32 v81, v6, 4, 1
	v_or_b32_sdwa v75, v75, v80 dst_sel:DWORD dst_unused:UNUSED_PAD src0_sel:WORD_0 src1_sel:DWORD
	v_lshlrev_b32_e32 v80, 1, v6
	v_lshrrev_b32_e32 v82, 5, v6
	v_lshrrev_b32_e32 v6, 7, v6
	v_lshlrev_b16_e32 v69, 8, v69
	v_cmp_ne_u16_e32 vcc, 0, v6
	v_bfe_i32 v82, v82, 0, 1
	v_lshrrev_b16_e32 v80, 7, v80
	v_cndmask_b32_e64 v6, 0, -1, vcc
	v_bfe_i32 v80, v80, 0, 1
	v_lshlrev_b16_e32 v82, 8, v82
	v_lshlrev_b16_e32 v6, 8, v6
	;; [unrolled: 1-line block ×3, first 2 shown]
	v_or_b32_sdwa v83, v81, v82 dst_sel:DWORD dst_unused:UNUSED_PAD src0_sel:BYTE_0 src1_sel:DWORD
	v_or_b32_sdwa v84, v80, v6 dst_sel:WORD_1 dst_unused:UNUSED_PAD src0_sel:BYTE_0 src1_sel:DWORD
	s_waitcnt vmcnt(1)
	v_xor_b32_e32 v0, v0, v75
	v_and_b32_e32 v75, 0xffffff00, v0
	v_sub_i16 v70, v75, v70 clamp
	v_lshlrev_b16_e32 v75, 8, v0
	v_and_b32_e32 v70, 0xffffff00, v70
	v_sub_i16 v69, v75, v69 clamp
	v_or_b32_sdwa v69, v69, v70 dst_sel:DWORD dst_unused:UNUSED_PAD src0_sel:BYTE_1 src1_sel:DWORD
	v_and_b32_sdwa v70, v0, s33 dst_sel:DWORD dst_unused:UNUSED_PAD src0_sel:WORD_1 src1_sel:DWORD
	v_sub_i16 v70, v70, v73 clamp
	v_lshlrev_b16_sdwa v0, v52, v0 dst_sel:DWORD dst_unused:UNUSED_PAD src0_sel:DWORD src1_sel:WORD_1
	v_and_b32_e32 v70, 0xffffff00, v70
	v_sub_i16 v0, v0, v7 clamp
	v_or_b32_sdwa v83, v83, v84 dst_sel:DWORD dst_unused:UNUSED_PAD src0_sel:WORD_0 src1_sel:DWORD
	v_or_b32_sdwa v0, v0, v70 dst_sel:WORD_1 dst_unused:UNUSED_PAD src0_sel:BYTE_1 src1_sel:DWORD
	s_nop 0
	v_or_b32_sdwa v84, v69, v0 dst_sel:DWORD dst_unused:UNUSED_PAD src0_sel:WORD_0 src1_sel:DWORD
	s_waitcnt vmcnt(0)
	v_xor_b32_e32 v0, v5, v83
	v_and_b32_e32 v5, 0xffffff00, v0
	v_sub_i16 v5, v5, v82 clamp
	v_lshlrev_b16_e32 v7, 8, v0
	v_lshlrev_b16_e32 v69, 8, v81
	v_and_b32_e32 v5, 0xffffff00, v5
	v_sub_i16 v7, v7, v69 clamp
	v_or_b32_sdwa v5, v7, v5 dst_sel:DWORD dst_unused:UNUSED_PAD src0_sel:BYTE_1 src1_sel:DWORD
	v_and_b32_sdwa v7, v0, s33 dst_sel:DWORD dst_unused:UNUSED_PAD src0_sel:WORD_1 src1_sel:DWORD
	v_sub_i16 v6, v7, v6 clamp
	v_lshlrev_b16_sdwa v0, v52, v0 dst_sel:DWORD dst_unused:UNUSED_PAD src0_sel:DWORD src1_sel:WORD_1
	v_lshlrev_b16_e32 v7, 8, v80
	v_and_b32_e32 v6, 0xffffff00, v6
	v_sub_i16 v0, v0, v7 clamp
	v_or_b32_sdwa v0, v0, v6 dst_sel:WORD_1 dst_unused:UNUSED_PAD src0_sel:BYTE_1 src1_sel:DWORD
	v_dot4c_i32_i8_e32 v68, v84, v1
	v_or_b32_sdwa v80, v5, v0 dst_sel:DWORD dst_unused:UNUSED_PAD src0_sel:WORD_0 src1_sel:DWORD
	v_and_b32_sdwa v0, s30, v71 dst_sel:DWORD dst_unused:UNUSED_PAD src0_sel:DWORD src1_sel:BYTE_0
	v_lshlrev_b32_e32 v1, 2, v72
	v_and_or_b32 v0, v1, s31, v0
	v_lshlrev_b32_e32 v0, 2, v0
	global_load_dword v0, v0, s[20:21]
	v_dot4c_i32_i8_e32 v68, v80, v2
	v_lshrrev_b16_e32 v1, 8, v71
	v_lshlrev_b32_e32 v2, 1, v72
	v_and_or_b32 v1, v2, s31, v1
	v_lshlrev_b32_e32 v1, 2, v1
	global_load_dword v1, v1, s[20:21]
	v_lshrrev_b16_e32 v2, 8, v74
	v_bfe_u32 v69, v2, 3, 1
	v_lshlrev_b32_e32 v5, 5, v2
	v_lshrrev_b32_e32 v7, 1, v2
	v_cmp_ne_u16_e32 vcc, 0, v69
	v_lshlrev_b16_e32 v6, 7, v74
	v_bfe_i32 v7, v7, 0, 1
	v_lshrrev_b16_e32 v5, 7, v5
	v_cndmask_b32_e64 v69, 0, -1, vcc
	v_ashrrev_i16_e32 v6, 15, v6
	v_bfe_i32 v5, v5, 0, 1
	v_lshlrev_b16_e32 v7, 8, v7
	v_lshlrev_b16_e32 v69, 8, v69
	v_or_b32_sdwa v70, v6, v7 dst_sel:DWORD dst_unused:UNUSED_PAD src0_sel:BYTE_0 src1_sel:DWORD
	v_or_b32_sdwa v71, v5, v69 dst_sel:WORD_1 dst_unused:UNUSED_PAD src0_sel:BYTE_0 src1_sel:DWORD
	v_bfe_i32 v72, v2, 4, 1
	v_or_b32_sdwa v70, v70, v71 dst_sel:DWORD dst_unused:UNUSED_PAD src0_sel:WORD_0 src1_sel:DWORD
	v_lshlrev_b32_e32 v71, 1, v2
	v_lshrrev_b32_e32 v73, 5, v2
	v_lshrrev_b32_e32 v2, 7, v2
	v_lshlrev_b16_e32 v6, 8, v6
	v_cmp_ne_u16_e32 vcc, 0, v2
	v_bfe_i32 v73, v73, 0, 1
	v_lshrrev_b16_e32 v71, 7, v71
	v_cndmask_b32_e64 v2, 0, -1, vcc
	v_bfe_i32 v71, v71, 0, 1
	v_lshlrev_b16_e32 v73, 8, v73
	v_lshlrev_b16_e32 v2, 8, v2
	;; [unrolled: 1-line block ×3, first 2 shown]
	v_or_b32_sdwa v74, v72, v73 dst_sel:DWORD dst_unused:UNUSED_PAD src0_sel:BYTE_0 src1_sel:DWORD
	v_or_b32_sdwa v75, v71, v2 dst_sel:WORD_1 dst_unused:UNUSED_PAD src0_sel:BYTE_0 src1_sel:DWORD
	s_waitcnt vmcnt(1)
	v_xor_b32_e32 v0, v0, v70
	v_and_b32_e32 v70, 0xffffff00, v0
	v_sub_i16 v7, v70, v7 clamp
	v_lshlrev_b16_e32 v70, 8, v0
	v_and_b32_e32 v7, 0xffffff00, v7
	v_sub_i16 v6, v70, v6 clamp
	v_or_b32_sdwa v6, v6, v7 dst_sel:DWORD dst_unused:UNUSED_PAD src0_sel:BYTE_1 src1_sel:DWORD
	v_and_b32_sdwa v7, v0, s33 dst_sel:DWORD dst_unused:UNUSED_PAD src0_sel:WORD_1 src1_sel:DWORD
	v_sub_i16 v7, v7, v69 clamp
	v_lshlrev_b16_sdwa v0, v52, v0 dst_sel:DWORD dst_unused:UNUSED_PAD src0_sel:DWORD src1_sel:WORD_1
	v_and_b32_e32 v7, 0xffffff00, v7
	v_sub_i16 v0, v0, v5 clamp
	v_or_b32_sdwa v74, v74, v75 dst_sel:DWORD dst_unused:UNUSED_PAD src0_sel:WORD_0 src1_sel:DWORD
	v_or_b32_sdwa v0, v0, v7 dst_sel:WORD_1 dst_unused:UNUSED_PAD src0_sel:BYTE_1 src1_sel:DWORD
	s_nop 0
	v_or_b32_sdwa v81, v6, v0 dst_sel:DWORD dst_unused:UNUSED_PAD src0_sel:WORD_0 src1_sel:DWORD
	s_waitcnt vmcnt(0)
	v_xor_b32_e32 v0, v1, v74
	v_and_b32_e32 v1, 0xffffff00, v0
	v_sub_i16 v1, v1, v73 clamp
	v_lshlrev_b16_e32 v5, 8, v0
	v_lshlrev_b16_e32 v6, 8, v72
	v_and_b32_e32 v1, 0xffffff00, v1
	v_sub_i16 v5, v5, v6 clamp
	v_or_b32_sdwa v1, v5, v1 dst_sel:DWORD dst_unused:UNUSED_PAD src0_sel:BYTE_1 src1_sel:DWORD
	v_and_b32_sdwa v5, v0, s33 dst_sel:DWORD dst_unused:UNUSED_PAD src0_sel:WORD_1 src1_sel:DWORD
	v_sub_i16 v2, v5, v2 clamp
	v_lshlrev_b16_sdwa v0, v52, v0 dst_sel:DWORD dst_unused:UNUSED_PAD src0_sel:DWORD src1_sel:WORD_1
	v_lshlrev_b16_e32 v5, 8, v71
	v_and_b32_e32 v2, 0xffffff00, v2
	v_sub_i16 v0, v0, v5 clamp
	v_or_b32_sdwa v0, v0, v2 dst_sel:WORD_1 dst_unused:UNUSED_PAD src0_sel:BYTE_1 src1_sel:DWORD
	v_dot4c_i32_i8_e32 v68, v81, v3
	v_or_b32_sdwa v82, v1, v0 dst_sel:DWORD dst_unused:UNUSED_PAD src0_sel:WORD_0 src1_sel:DWORD
	global_load_ushort v0, v[30:31], off
	global_load_ubyte v1, v[28:29], off offset:106
	global_load_ubyte v2, v[32:33], off offset:106
	v_dot4c_i32_i8_e32 v68, v82, v8
	v_cvt_f32_f16_e32 v72, v67
	v_mov_b32_e32 v67, 0
	s_waitcnt vmcnt(2)
	v_cvt_f32_f16_e32 v73, v0
	s_waitcnt vmcnt(1)
	v_lshrrev_b32_e32 v1, v18, v1
	s_waitcnt vmcnt(0)
	v_lshrrev_b32_e32 v2, v13, v2
	v_lshlrev_b32_e32 v1, 1, v1
	v_lshlrev_b32_e32 v2, 1, v2
	v_and_or_b32 v83, v2, 30, 1
	v_and_or_b32 v85, v1, 30, 1
	v_mul_lo_u32 v1, v11, v85
	v_mul_lo_u32 v2, v68, v83
	v_cvt_f32_i32_e32 v7, v2
	v_cvt_f32_i32_e32 v6, v1
	scratch_load_dwordx4 v[0:3], off, off offset:16
	v_pk_mul_f32 v[4:5], v[4:5], v[72:73] op_sel_hi:[0,1]
	s_waitcnt vmcnt(0)
	v_pk_fma_f32 v[0:1], v[4:5], v[6:7], v[0:1]
	v_add_u32_e32 v4, s23, v51
	v_mad_u64_u32 v[4:5], s[34:35], v4, 36, s[24:25]
	v_mad_u64_u32 v[74:75], s[34:35], v14, 36, v[4:5]
	global_load_dword v11, v[74:75], off offset:32
	global_load_dwordx4 v[4:7], v[74:75], off offset:16
	global_load_dwordx4 v[68:71], v[74:75], off
	s_waitcnt vmcnt(0)
	v_dot4c_i32_i8_e32 v67, v9, v69
	v_mov_b32_e32 v9, 0
	v_dot4c_i32_i8_e32 v9, v77, v69
	v_dot4c_i32_i8_e32 v67, v10, v70
	v_dot4c_i32_i8_e32 v9, v76, v70
	v_dot4c_i32_i8_e32 v67, v48, v71
	v_dot4c_i32_i8_e32 v9, v78, v71
	v_dot4c_i32_i8_e32 v67, v49, v4
	v_dot4c_i32_i8_e32 v9, v79, v4
	v_dot4c_i32_i8_e32 v67, v63, v5
	v_dot4c_i32_i8_e32 v9, v84, v5
	v_dot4c_i32_i8_e32 v67, v64, v6
	v_dot4c_i32_i8_e32 v9, v80, v6
	v_dot4c_i32_i8_e32 v67, v65, v7
	v_dot4c_i32_i8_e32 v9, v81, v7
	v_dot4c_i32_i8_e32 v67, v66, v11
	v_dot4c_i32_i8_e32 v9, v82, v11
	v_cvt_f32_f16_e32 v8, v68
	s_nop 0
	v_mul_lo_u32 v6, v67, v85
	v_mul_lo_u32 v7, v9, v83
	v_cvt_f32_i32_e32 v7, v7
	v_cvt_f32_i32_e32 v6, v6
	v_pk_mul_f32 v[4:5], v[8:9], v[72:73] op_sel_hi:[0,1]
	v_pk_fma_f32 v[2:3], v[4:5], v[6:7], v[2:3]
	scratch_store_dwordx4 off, v[0:3], off offset:16
	s_nop 1
	v_add_u32_e32 v0, s27, v51
	v_mad_u64_u32 v[0:1], s[34:35], v0, 36, s[24:25]
	v_mad_u64_u32 v[10:11], s[34:35], v14, 36, v[0:1]
	global_load_dword v8, v[10:11], off offset:32
	global_load_dwordx4 v[0:3], v[10:11], off offset:16
	global_load_dwordx4 v[4:7], v[10:11], off
	global_load_ushort v9, v[42:43], off offset:2
	global_load_ushort v48, v[42:43], off offset:4
	;; [unrolled: 1-line block ×4, first 2 shown]
	global_load_ubyte v66, v[44:45], off offset:66
	global_load_ushort v49, v[46:47], off offset:74
	global_load_ushort v67, v[46:47], off offset:76
	s_waitcnt vmcnt(6)
	v_and_b32_sdwa v10, s30, v9 dst_sel:DWORD dst_unused:UNUSED_PAD src0_sel:DWORD src1_sel:BYTE_0
	v_lshrrev_b16_e32 v9, 8, v9
	s_waitcnt vmcnt(2)
	v_lshlrev_b32_e32 v11, 8, v66
	v_and_or_b32 v10, v11, s31, v10
	v_lshlrev_b32_e32 v10, 2, v10
	global_load_dword v10, v10, s[20:21]
	v_lshlrev_b32_e32 v11, 7, v66
	v_and_or_b32 v9, v11, s31, v9
	v_lshlrev_b32_e32 v9, 2, v9
	global_load_dword v11, v9, s[20:21]
	s_waitcnt vmcnt(3)
	v_and_b32_sdwa v9, s30, v49 dst_sel:DWORD dst_unused:UNUSED_PAD src0_sel:DWORD src1_sel:BYTE_0
	v_bfe_u32 v70, v9, 3, 1
	v_lshlrev_b32_e32 v64, 5, v9
	v_lshrrev_b32_e32 v69, 1, v9
	v_cmp_ne_u16_e32 vcc, 0, v70
	v_and_b32_e32 v68, 1, v49
	v_bfe_i32 v69, v69, 0, 1
	v_lshrrev_b16_e32 v64, 7, v64
	v_cndmask_b32_e64 v70, 0, -1, vcc
	v_sub_u16_e32 v68, 0, v68
	v_bfe_i32 v64, v64, 0, 1
	v_lshlrev_b16_e32 v69, 8, v69
	v_lshlrev_b16_e32 v70, 8, v70
	v_or_b32_sdwa v71, v68, v69 dst_sel:DWORD dst_unused:UNUSED_PAD src0_sel:BYTE_0 src1_sel:DWORD
	v_or_b32_sdwa v72, v64, v70 dst_sel:WORD_1 dst_unused:UNUSED_PAD src0_sel:BYTE_0 src1_sel:DWORD
	v_bfe_i32 v73, v9, 4, 1
	v_or_b32_sdwa v71, v71, v72 dst_sel:DWORD dst_unused:UNUSED_PAD src0_sel:WORD_0 src1_sel:DWORD
	v_lshlrev_b32_e32 v72, 1, v9
	v_lshrrev_b32_e32 v74, 5, v9
	v_lshrrev_b32_e32 v9, 7, v9
	v_cmp_ne_u16_e32 vcc, 0, v9
	v_bfe_i32 v74, v74, 0, 1
	v_lshrrev_b16_e32 v72, 7, v72
	v_cndmask_b32_e64 v9, 0, -1, vcc
	v_bfe_i32 v72, v72, 0, 1
	v_lshlrev_b16_e32 v74, 8, v74
	v_lshlrev_b16_e32 v76, 8, v9
	v_or_b32_sdwa v75, v73, v74 dst_sel:DWORD dst_unused:UNUSED_PAD src0_sel:BYTE_0 src1_sel:DWORD
	v_or_b32_sdwa v9, v72, v76 dst_sel:WORD_1 dst_unused:UNUSED_PAD src0_sel:BYTE_0 src1_sel:DWORD
	v_lshlrev_b16_e32 v68, 8, v68
	v_or_b32_sdwa v75, v75, v9 dst_sel:DWORD dst_unused:UNUSED_PAD src0_sel:WORD_0 src1_sel:DWORD
	v_lshlrev_b16_e32 v64, 8, v64
	v_cvt_f32_f16_e32 v4, v4
	s_waitcnt vmcnt(1)
	v_xor_b32_e32 v9, v10, v71
	v_and_b32_e32 v10, 0xffffff00, v9
	v_sub_i16 v10, v10, v69 clamp
	v_lshlrev_b16_e32 v69, 8, v9
	v_and_b32_e32 v10, 0xffffff00, v10
	v_sub_i16 v68, v69, v68 clamp
	v_or_b32_sdwa v10, v68, v10 dst_sel:DWORD dst_unused:UNUSED_PAD src0_sel:BYTE_1 src1_sel:DWORD
	v_and_b32_sdwa v68, v9, s33 dst_sel:DWORD dst_unused:UNUSED_PAD src0_sel:WORD_1 src1_sel:DWORD
	v_sub_i16 v68, v68, v70 clamp
	v_lshlrev_b16_sdwa v9, v52, v9 dst_sel:DWORD dst_unused:UNUSED_PAD src0_sel:DWORD src1_sel:WORD_1
	v_and_b32_e32 v68, 0xffffff00, v68
	v_sub_i16 v9, v9, v64 clamp
	v_or_b32_sdwa v9, v9, v68 dst_sel:WORD_1 dst_unused:UNUSED_PAD src0_sel:BYTE_1 src1_sel:DWORD
	v_lshlrev_b16_e32 v68, 8, v73
	v_or_b32_sdwa v9, v10, v9 dst_sel:DWORD dst_unused:UNUSED_PAD src0_sel:WORD_0 src1_sel:DWORD
	s_waitcnt vmcnt(0)
	v_xor_b32_e32 v10, v11, v75
	v_and_b32_e32 v11, 0xffffff00, v10
	v_sub_i16 v11, v11, v74 clamp
	v_lshlrev_b16_e32 v64, 8, v10
	v_and_b32_e32 v11, 0xffffff00, v11
	v_sub_i16 v64, v64, v68 clamp
	v_or_b32_sdwa v11, v64, v11 dst_sel:DWORD dst_unused:UNUSED_PAD src0_sel:BYTE_1 src1_sel:DWORD
	v_and_b32_sdwa v64, v10, s33 dst_sel:DWORD dst_unused:UNUSED_PAD src0_sel:WORD_1 src1_sel:DWORD
	v_sub_i16 v64, v64, v76 clamp
	v_lshlrev_b16_sdwa v10, v52, v10 dst_sel:DWORD dst_unused:UNUSED_PAD src0_sel:DWORD src1_sel:WORD_1
	v_lshlrev_b16_e32 v68, 8, v72
	v_and_b32_e32 v64, 0xffffff00, v64
	v_sub_i16 v10, v10, v68 clamp
	v_or_b32_sdwa v10, v10, v64 dst_sel:WORD_1 dst_unused:UNUSED_PAD src0_sel:BYTE_1 src1_sel:DWORD
	v_and_b32_sdwa v64, s30, v48 dst_sel:DWORD dst_unused:UNUSED_PAD src0_sel:DWORD src1_sel:BYTE_0
	v_lshlrev_b32_e32 v68, 6, v66
	v_and_or_b32 v64, v68, s31, v64
	v_lshlrev_b32_e32 v64, 2, v64
	global_load_dword v64, v64, s[20:21]
	v_lshrrev_b16_e32 v48, 8, v48
	v_lshlrev_b32_e32 v68, 5, v66
	v_and_or_b32 v48, v68, s31, v48
	v_lshlrev_b32_e32 v48, 2, v48
	global_load_dword v68, v48, s[20:21]
	v_lshrrev_b16_e32 v48, 8, v49
	v_bfe_u32 v71, v48, 3, 1
	v_lshlrev_b32_e32 v69, 5, v48
	v_lshrrev_b32_e32 v70, 1, v48
	v_cmp_ne_u16_e32 vcc, 0, v71
	v_lshlrev_b16_e32 v49, 7, v49
	v_bfe_i32 v70, v70, 0, 1
	v_lshrrev_b16_e32 v69, 7, v69
	v_cndmask_b32_e64 v71, 0, -1, vcc
	v_ashrrev_i16_e32 v49, 15, v49
	v_bfe_i32 v69, v69, 0, 1
	v_lshlrev_b16_e32 v70, 8, v70
	v_lshlrev_b16_e32 v71, 8, v71
	v_or_b32_sdwa v72, v49, v70 dst_sel:DWORD dst_unused:UNUSED_PAD src0_sel:BYTE_0 src1_sel:DWORD
	v_or_b32_sdwa v73, v69, v71 dst_sel:WORD_1 dst_unused:UNUSED_PAD src0_sel:BYTE_0 src1_sel:DWORD
	v_bfe_i32 v74, v48, 4, 1
	v_or_b32_sdwa v72, v72, v73 dst_sel:DWORD dst_unused:UNUSED_PAD src0_sel:WORD_0 src1_sel:DWORD
	v_lshlrev_b32_e32 v73, 1, v48
	v_lshrrev_b32_e32 v75, 5, v48
	v_lshrrev_b32_e32 v48, 7, v48
	v_cmp_ne_u16_e32 vcc, 0, v48
	v_bfe_i32 v75, v75, 0, 1
	v_lshrrev_b16_e32 v73, 7, v73
	v_cndmask_b32_e64 v48, 0, -1, vcc
	v_bfe_i32 v73, v73, 0, 1
	v_lshlrev_b16_e32 v75, 8, v75
	v_lshlrev_b16_e32 v77, 8, v48
	v_or_b32_sdwa v76, v74, v75 dst_sel:DWORD dst_unused:UNUSED_PAD src0_sel:BYTE_0 src1_sel:DWORD
	v_or_b32_sdwa v48, v73, v77 dst_sel:WORD_1 dst_unused:UNUSED_PAD src0_sel:BYTE_0 src1_sel:DWORD
	v_lshlrev_b16_e32 v49, 8, v49
	v_or_b32_sdwa v76, v76, v48 dst_sel:DWORD dst_unused:UNUSED_PAD src0_sel:WORD_0 src1_sel:DWORD
	v_lshlrev_b16_e32 v69, 8, v69
	v_or_b32_sdwa v10, v11, v10 dst_sel:DWORD dst_unused:UNUSED_PAD src0_sel:WORD_0 src1_sel:DWORD
	v_mov_b32_e32 v11, 0
	v_dot4c_i32_i8_e32 v11, v9, v5
	v_dot4c_i32_i8_e32 v11, v10, v6
	s_waitcnt vmcnt(1)
	v_xor_b32_e32 v48, v64, v72
	v_and_b32_e32 v64, 0xffffff00, v48
	v_sub_i16 v64, v64, v70 clamp
	v_lshlrev_b16_e32 v70, 8, v48
	v_and_b32_e32 v64, 0xffffff00, v64
	v_sub_i16 v49, v70, v49 clamp
	v_or_b32_sdwa v49, v49, v64 dst_sel:DWORD dst_unused:UNUSED_PAD src0_sel:BYTE_1 src1_sel:DWORD
	v_and_b32_sdwa v64, v48, s33 dst_sel:DWORD dst_unused:UNUSED_PAD src0_sel:WORD_1 src1_sel:DWORD
	v_sub_i16 v64, v64, v71 clamp
	v_lshlrev_b16_sdwa v48, v52, v48 dst_sel:DWORD dst_unused:UNUSED_PAD src0_sel:DWORD src1_sel:WORD_1
	v_and_b32_e32 v64, 0xffffff00, v64
	v_sub_i16 v48, v48, v69 clamp
	v_or_b32_sdwa v48, v48, v64 dst_sel:WORD_1 dst_unused:UNUSED_PAD src0_sel:BYTE_1 src1_sel:DWORD
	v_lshlrev_b16_e32 v69, 8, v74
	v_or_b32_sdwa v48, v49, v48 dst_sel:DWORD dst_unused:UNUSED_PAD src0_sel:WORD_0 src1_sel:DWORD
	s_waitcnt vmcnt(0)
	v_xor_b32_e32 v49, v68, v76
	v_and_b32_e32 v64, 0xffffff00, v49
	v_sub_i16 v64, v64, v75 clamp
	v_lshlrev_b16_e32 v68, 8, v49
	v_and_b32_e32 v64, 0xffffff00, v64
	v_sub_i16 v68, v68, v69 clamp
	v_or_b32_sdwa v64, v68, v64 dst_sel:DWORD dst_unused:UNUSED_PAD src0_sel:BYTE_1 src1_sel:DWORD
	v_and_b32_sdwa v68, v49, s33 dst_sel:DWORD dst_unused:UNUSED_PAD src0_sel:WORD_1 src1_sel:DWORD
	v_sub_i16 v68, v68, v77 clamp
	v_lshlrev_b16_sdwa v49, v52, v49 dst_sel:DWORD dst_unused:UNUSED_PAD src0_sel:DWORD src1_sel:WORD_1
	v_lshlrev_b16_e32 v69, 8, v73
	v_and_b32_e32 v68, 0xffffff00, v68
	v_sub_i16 v49, v49, v69 clamp
	v_or_b32_sdwa v49, v49, v68 dst_sel:WORD_1 dst_unused:UNUSED_PAD src0_sel:BYTE_1 src1_sel:DWORD
	v_lshlrev_b32_e32 v68, 4, v66
	v_or_b32_sdwa v49, v64, v49 dst_sel:DWORD dst_unused:UNUSED_PAD src0_sel:WORD_0 src1_sel:DWORD
	v_and_b32_sdwa v64, s30, v63 dst_sel:DWORD dst_unused:UNUSED_PAD src0_sel:DWORD src1_sel:BYTE_0
	v_and_or_b32 v64, v68, s31, v64
	v_lshlrev_b32_e32 v64, 2, v64
	global_load_dword v64, v64, s[20:21]
	v_lshrrev_b16_e32 v63, 8, v63
	v_lshlrev_b32_e32 v68, 3, v66
	v_and_or_b32 v63, v68, s31, v63
	v_lshlrev_b32_e32 v63, 2, v63
	global_load_dword v68, v63, s[20:21]
	v_and_b32_sdwa v63, s30, v67 dst_sel:DWORD dst_unused:UNUSED_PAD src0_sel:DWORD src1_sel:BYTE_0
	v_bfe_u32 v72, v63, 3, 1
	v_lshlrev_b32_e32 v69, 5, v63
	v_lshrrev_b32_e32 v71, 1, v63
	v_cmp_ne_u16_e32 vcc, 0, v72
	v_and_b32_e32 v70, 1, v67
	v_bfe_i32 v71, v71, 0, 1
	v_lshrrev_b16_e32 v69, 7, v69
	v_cndmask_b32_e64 v72, 0, -1, vcc
	v_sub_u16_e32 v70, 0, v70
	v_bfe_i32 v69, v69, 0, 1
	v_lshlrev_b16_e32 v71, 8, v71
	v_lshlrev_b16_e32 v72, 8, v72
	v_or_b32_sdwa v73, v70, v71 dst_sel:DWORD dst_unused:UNUSED_PAD src0_sel:BYTE_0 src1_sel:DWORD
	v_or_b32_sdwa v74, v69, v72 dst_sel:WORD_1 dst_unused:UNUSED_PAD src0_sel:BYTE_0 src1_sel:DWORD
	v_bfe_i32 v75, v63, 4, 1
	v_or_b32_sdwa v73, v73, v74 dst_sel:DWORD dst_unused:UNUSED_PAD src0_sel:WORD_0 src1_sel:DWORD
	v_lshlrev_b32_e32 v74, 1, v63
	v_lshrrev_b32_e32 v76, 5, v63
	v_lshrrev_b32_e32 v63, 7, v63
	v_cmp_ne_u16_e32 vcc, 0, v63
	v_bfe_i32 v76, v76, 0, 1
	v_lshrrev_b16_e32 v74, 7, v74
	v_cndmask_b32_e64 v63, 0, -1, vcc
	v_bfe_i32 v74, v74, 0, 1
	v_lshlrev_b16_e32 v76, 8, v76
	v_lshlrev_b16_e32 v78, 8, v63
	v_or_b32_sdwa v77, v75, v76 dst_sel:DWORD dst_unused:UNUSED_PAD src0_sel:BYTE_0 src1_sel:DWORD
	v_or_b32_sdwa v63, v74, v78 dst_sel:WORD_1 dst_unused:UNUSED_PAD src0_sel:BYTE_0 src1_sel:DWORD
	v_lshlrev_b16_e32 v70, 8, v70
	v_or_b32_sdwa v77, v77, v63 dst_sel:DWORD dst_unused:UNUSED_PAD src0_sel:WORD_0 src1_sel:DWORD
	v_lshlrev_b16_e32 v69, 8, v69
	v_dot4c_i32_i8_e32 v11, v48, v7
	v_dot4c_i32_i8_e32 v11, v49, v0
	s_waitcnt vmcnt(1)
	v_xor_b32_e32 v63, v64, v73
	v_and_b32_e32 v64, 0xffffff00, v63
	v_sub_i16 v64, v64, v71 clamp
	v_lshlrev_b16_e32 v71, 8, v63
	v_and_b32_e32 v64, 0xffffff00, v64
	v_sub_i16 v70, v71, v70 clamp
	v_or_b32_sdwa v64, v70, v64 dst_sel:DWORD dst_unused:UNUSED_PAD src0_sel:BYTE_1 src1_sel:DWORD
	v_and_b32_sdwa v70, v63, s33 dst_sel:DWORD dst_unused:UNUSED_PAD src0_sel:WORD_1 src1_sel:DWORD
	v_sub_i16 v70, v70, v72 clamp
	v_lshlrev_b16_sdwa v63, v52, v63 dst_sel:DWORD dst_unused:UNUSED_PAD src0_sel:DWORD src1_sel:WORD_1
	v_and_b32_e32 v70, 0xffffff00, v70
	v_sub_i16 v63, v63, v69 clamp
	v_or_b32_sdwa v63, v63, v70 dst_sel:WORD_1 dst_unused:UNUSED_PAD src0_sel:BYTE_1 src1_sel:DWORD
	v_lshlrev_b16_e32 v70, 8, v75
	v_or_b32_sdwa v63, v64, v63 dst_sel:DWORD dst_unused:UNUSED_PAD src0_sel:WORD_0 src1_sel:DWORD
	s_waitcnt vmcnt(0)
	v_xor_b32_e32 v64, v68, v77
	v_and_b32_e32 v68, 0xffffff00, v64
	v_sub_i16 v68, v68, v76 clamp
	v_lshlrev_b16_e32 v69, 8, v64
	v_and_b32_e32 v68, 0xffffff00, v68
	v_sub_i16 v69, v69, v70 clamp
	v_or_b32_sdwa v68, v69, v68 dst_sel:DWORD dst_unused:UNUSED_PAD src0_sel:BYTE_1 src1_sel:DWORD
	v_and_b32_sdwa v69, v64, s33 dst_sel:DWORD dst_unused:UNUSED_PAD src0_sel:WORD_1 src1_sel:DWORD
	v_sub_i16 v69, v69, v78 clamp
	v_lshlrev_b16_sdwa v64, v52, v64 dst_sel:DWORD dst_unused:UNUSED_PAD src0_sel:DWORD src1_sel:WORD_1
	v_lshlrev_b16_e32 v70, 8, v74
	v_and_b32_e32 v69, 0xffffff00, v69
	v_sub_i16 v64, v64, v70 clamp
	v_or_b32_sdwa v64, v64, v69 dst_sel:WORD_1 dst_unused:UNUSED_PAD src0_sel:BYTE_1 src1_sel:DWORD
	v_lshlrev_b32_e32 v69, 2, v66
	v_or_b32_sdwa v64, v68, v64 dst_sel:DWORD dst_unused:UNUSED_PAD src0_sel:WORD_0 src1_sel:DWORD
	v_and_b32_sdwa v68, s30, v65 dst_sel:DWORD dst_unused:UNUSED_PAD src0_sel:DWORD src1_sel:BYTE_0
	v_and_or_b32 v68, v69, s31, v68
	v_lshlrev_b32_e32 v68, 2, v68
	global_load_dword v68, v68, s[20:21]
	v_lshrrev_b16_e32 v65, 8, v65
	v_lshlrev_b32_e32 v66, 1, v66
	v_and_or_b32 v65, v66, s31, v65
	v_lshlrev_b32_e32 v65, 2, v65
	global_load_dword v66, v65, s[20:21]
	v_lshrrev_b16_e32 v65, 8, v67
	v_bfe_u32 v71, v65, 3, 1
	v_lshlrev_b32_e32 v69, 5, v65
	v_lshrrev_b32_e32 v70, 1, v65
	v_cmp_ne_u16_e32 vcc, 0, v71
	v_lshlrev_b16_e32 v67, 7, v67
	v_bfe_i32 v70, v70, 0, 1
	v_lshrrev_b16_e32 v69, 7, v69
	v_cndmask_b32_e64 v71, 0, -1, vcc
	v_ashrrev_i16_e32 v67, 15, v67
	v_bfe_i32 v69, v69, 0, 1
	v_lshlrev_b16_e32 v70, 8, v70
	v_lshlrev_b16_e32 v71, 8, v71
	v_or_b32_sdwa v72, v67, v70 dst_sel:DWORD dst_unused:UNUSED_PAD src0_sel:BYTE_0 src1_sel:DWORD
	v_or_b32_sdwa v73, v69, v71 dst_sel:WORD_1 dst_unused:UNUSED_PAD src0_sel:BYTE_0 src1_sel:DWORD
	v_bfe_i32 v74, v65, 4, 1
	v_or_b32_sdwa v72, v72, v73 dst_sel:DWORD dst_unused:UNUSED_PAD src0_sel:WORD_0 src1_sel:DWORD
	v_lshlrev_b32_e32 v73, 1, v65
	v_lshrrev_b32_e32 v75, 5, v65
	v_lshrrev_b32_e32 v65, 7, v65
	v_cmp_ne_u16_e32 vcc, 0, v65
	v_bfe_i32 v75, v75, 0, 1
	v_lshrrev_b16_e32 v73, 7, v73
	v_cndmask_b32_e64 v65, 0, -1, vcc
	v_bfe_i32 v73, v73, 0, 1
	v_lshlrev_b16_e32 v75, 8, v75
	v_lshlrev_b16_e32 v77, 8, v65
	v_or_b32_sdwa v76, v74, v75 dst_sel:DWORD dst_unused:UNUSED_PAD src0_sel:BYTE_0 src1_sel:DWORD
	v_or_b32_sdwa v65, v73, v77 dst_sel:WORD_1 dst_unused:UNUSED_PAD src0_sel:BYTE_0 src1_sel:DWORD
	v_lshlrev_b16_e32 v67, 8, v67
	v_or_b32_sdwa v76, v76, v65 dst_sel:DWORD dst_unused:UNUSED_PAD src0_sel:WORD_0 src1_sel:DWORD
	v_lshlrev_b16_e32 v69, 8, v69
	v_dot4c_i32_i8_e32 v11, v63, v1
	v_dot4c_i32_i8_e32 v11, v64, v2
	s_waitcnt vmcnt(1)
	v_xor_b32_e32 v65, v68, v72
	v_and_b32_e32 v68, 0xffffff00, v65
	v_sub_i16 v68, v68, v70 clamp
	v_lshlrev_b16_e32 v70, 8, v65
	v_and_b32_e32 v68, 0xffffff00, v68
	v_sub_i16 v67, v70, v67 clamp
	v_or_b32_sdwa v67, v67, v68 dst_sel:DWORD dst_unused:UNUSED_PAD src0_sel:BYTE_1 src1_sel:DWORD
	v_and_b32_sdwa v68, v65, s33 dst_sel:DWORD dst_unused:UNUSED_PAD src0_sel:WORD_1 src1_sel:DWORD
	v_sub_i16 v68, v68, v71 clamp
	v_lshlrev_b16_sdwa v65, v52, v65 dst_sel:DWORD dst_unused:UNUSED_PAD src0_sel:DWORD src1_sel:WORD_1
	v_and_b32_e32 v68, 0xffffff00, v68
	v_sub_i16 v65, v65, v69 clamp
	v_or_b32_sdwa v65, v65, v68 dst_sel:WORD_1 dst_unused:UNUSED_PAD src0_sel:BYTE_1 src1_sel:DWORD
	s_waitcnt vmcnt(0)
	v_xor_b32_e32 v66, v66, v76
	v_or_b32_sdwa v65, v67, v65 dst_sel:DWORD dst_unused:UNUSED_PAD src0_sel:WORD_0 src1_sel:DWORD
	v_and_b32_e32 v67, 0xffffff00, v66
	v_sub_i16 v67, v67, v75 clamp
	v_lshlrev_b16_e32 v68, 8, v66
	v_lshlrev_b16_e32 v69, 8, v74
	v_and_b32_e32 v67, 0xffffff00, v67
	v_sub_i16 v68, v68, v69 clamp
	v_or_b32_sdwa v67, v68, v67 dst_sel:DWORD dst_unused:UNUSED_PAD src0_sel:BYTE_1 src1_sel:DWORD
	v_and_b32_sdwa v68, v66, s33 dst_sel:DWORD dst_unused:UNUSED_PAD src0_sel:WORD_1 src1_sel:DWORD
	v_sub_i16 v68, v68, v77 clamp
	v_lshlrev_b16_sdwa v66, v52, v66 dst_sel:DWORD dst_unused:UNUSED_PAD src0_sel:DWORD src1_sel:WORD_1
	v_lshlrev_b16_e32 v69, 8, v73
	v_and_b32_e32 v68, 0xffffff00, v68
	v_sub_i16 v66, v66, v69 clamp
	v_or_b32_sdwa v66, v66, v68 dst_sel:WORD_1 dst_unused:UNUSED_PAD src0_sel:BYTE_1 src1_sel:DWORD
	v_dot4c_i32_i8_e32 v11, v65, v3
	v_or_b32_sdwa v66, v67, v66 dst_sel:DWORD dst_unused:UNUSED_PAD src0_sel:WORD_0 src1_sel:DWORD
	global_load_ushort v67, v[34:35], off
	global_load_ushort v68, v[36:37], off offset:2
	global_load_ushort v69, v[36:37], off offset:4
	;; [unrolled: 1-line block ×4, first 2 shown]
	global_load_ubyte v72, v[38:39], off offset:66
	global_load_ushort v73, v[40:41], off offset:74
	global_load_ushort v74, v[40:41], off offset:76
	v_dot4c_i32_i8_e32 v11, v66, v8
	s_waitcnt vmcnt(6)
	v_and_b32_sdwa v75, s30, v68 dst_sel:DWORD dst_unused:UNUSED_PAD src0_sel:DWORD src1_sel:BYTE_0
	v_lshrrev_b16_e32 v68, 8, v68
	s_waitcnt vmcnt(2)
	v_lshlrev_b32_e32 v76, 8, v72
	v_and_or_b32 v75, v76, s31, v75
	v_lshlrev_b32_e32 v75, 2, v75
	global_load_dword v75, v75, s[20:21]
	v_lshlrev_b32_e32 v76, 7, v72
	v_and_or_b32 v68, v76, s31, v68
	v_lshlrev_b32_e32 v68, 2, v68
	global_load_dword v68, v68, s[20:21]
	s_waitcnt vmcnt(3)
	v_and_b32_sdwa v76, s30, v73 dst_sel:DWORD dst_unused:UNUSED_PAD src0_sel:DWORD src1_sel:BYTE_0
	v_bfe_u32 v80, v76, 3, 1
	v_lshlrev_b32_e32 v77, 5, v76
	v_lshrrev_b32_e32 v79, 1, v76
	v_cmp_ne_u16_e32 vcc, 0, v80
	v_and_b32_e32 v78, 1, v73
	v_bfe_i32 v79, v79, 0, 1
	v_lshrrev_b16_e32 v77, 7, v77
	v_cndmask_b32_e64 v80, 0, -1, vcc
	v_sub_u16_e32 v78, 0, v78
	v_bfe_i32 v77, v77, 0, 1
	v_lshlrev_b16_e32 v79, 8, v79
	v_lshlrev_b16_e32 v80, 8, v80
	v_or_b32_sdwa v81, v78, v79 dst_sel:DWORD dst_unused:UNUSED_PAD src0_sel:BYTE_0 src1_sel:DWORD
	v_or_b32_sdwa v82, v77, v80 dst_sel:WORD_1 dst_unused:UNUSED_PAD src0_sel:BYTE_0 src1_sel:DWORD
	v_bfe_i32 v83, v76, 4, 1
	v_or_b32_sdwa v81, v81, v82 dst_sel:DWORD dst_unused:UNUSED_PAD src0_sel:WORD_0 src1_sel:DWORD
	v_lshlrev_b32_e32 v82, 1, v76
	v_lshrrev_b32_e32 v84, 5, v76
	v_lshrrev_b32_e32 v76, 7, v76
	v_cmp_ne_u16_e32 vcc, 0, v76
	v_lshlrev_b16_e32 v78, 8, v78
	v_bfe_i32 v84, v84, 0, 1
	v_lshrrev_b16_e32 v82, 7, v82
	v_cndmask_b32_e64 v76, 0, -1, vcc
	v_bfe_i32 v82, v82, 0, 1
	v_lshlrev_b16_e32 v84, 8, v84
	v_lshlrev_b16_e32 v76, 8, v76
	v_or_b32_sdwa v85, v83, v84 dst_sel:DWORD dst_unused:UNUSED_PAD src0_sel:BYTE_0 src1_sel:DWORD
	v_or_b32_sdwa v86, v82, v76 dst_sel:WORD_1 dst_unused:UNUSED_PAD src0_sel:BYTE_0 src1_sel:DWORD
	v_lshlrev_b16_e32 v77, 8, v77
	v_or_b32_sdwa v85, v85, v86 dst_sel:DWORD dst_unused:UNUSED_PAD src0_sel:WORD_0 src1_sel:DWORD
	s_waitcnt vmcnt(1)
	v_xor_b32_e32 v75, v75, v81
	v_and_b32_e32 v81, 0xffffff00, v75
	v_sub_i16 v79, v81, v79 clamp
	v_lshlrev_b16_e32 v81, 8, v75
	v_and_b32_e32 v79, 0xffffff00, v79
	v_sub_i16 v78, v81, v78 clamp
	v_or_b32_sdwa v78, v78, v79 dst_sel:DWORD dst_unused:UNUSED_PAD src0_sel:BYTE_1 src1_sel:DWORD
	v_and_b32_sdwa v79, v75, s33 dst_sel:DWORD dst_unused:UNUSED_PAD src0_sel:WORD_1 src1_sel:DWORD
	v_sub_i16 v79, v79, v80 clamp
	v_lshlrev_b16_sdwa v75, v52, v75 dst_sel:DWORD dst_unused:UNUSED_PAD src0_sel:DWORD src1_sel:WORD_1
	v_and_b32_e32 v79, 0xffffff00, v79
	v_sub_i16 v75, v75, v77 clamp
	v_or_b32_sdwa v75, v75, v79 dst_sel:WORD_1 dst_unused:UNUSED_PAD src0_sel:BYTE_1 src1_sel:DWORD
	s_waitcnt vmcnt(0)
	v_xor_b32_e32 v68, v68, v85
	v_or_b32_sdwa v77, v78, v75 dst_sel:DWORD dst_unused:UNUSED_PAD src0_sel:WORD_0 src1_sel:DWORD
	v_and_b32_e32 v75, 0xffffff00, v68
	v_sub_i16 v75, v75, v84 clamp
	v_lshlrev_b16_e32 v78, 8, v68
	v_lshlrev_b16_e32 v79, 8, v83
	v_and_b32_e32 v75, 0xffffff00, v75
	v_sub_i16 v78, v78, v79 clamp
	v_or_b32_sdwa v75, v78, v75 dst_sel:DWORD dst_unused:UNUSED_PAD src0_sel:BYTE_1 src1_sel:DWORD
	v_and_b32_sdwa v78, v68, s33 dst_sel:DWORD dst_unused:UNUSED_PAD src0_sel:WORD_1 src1_sel:DWORD
	v_sub_i16 v76, v78, v76 clamp
	v_lshlrev_b16_sdwa v68, v52, v68 dst_sel:DWORD dst_unused:UNUSED_PAD src0_sel:DWORD src1_sel:WORD_1
	v_lshlrev_b16_e32 v78, 8, v82
	v_and_b32_e32 v76, 0xffffff00, v76
	v_sub_i16 v68, v68, v78 clamp
	v_or_b32_sdwa v68, v68, v76 dst_sel:WORD_1 dst_unused:UNUSED_PAD src0_sel:BYTE_1 src1_sel:DWORD
	s_nop 0
	v_or_b32_sdwa v76, v75, v68 dst_sel:DWORD dst_unused:UNUSED_PAD src0_sel:WORD_0 src1_sel:DWORD
	v_mov_b32_e32 v68, 0
	v_dot4c_i32_i8_e32 v68, v77, v5
	v_dot4c_i32_i8_e32 v68, v76, v6
	v_and_b32_sdwa v5, s30, v69 dst_sel:DWORD dst_unused:UNUSED_PAD src0_sel:DWORD src1_sel:BYTE_0
	v_lshlrev_b32_e32 v6, 6, v72
	v_and_or_b32 v5, v6, s31, v5
	v_lshlrev_b32_e32 v5, 2, v5
	global_load_dword v5, v5, s[20:21]
	v_lshrrev_b16_e32 v6, 8, v69
	v_lshlrev_b32_e32 v69, 5, v72
	v_and_or_b32 v6, v69, s31, v6
	v_lshlrev_b32_e32 v6, 2, v6
	global_load_dword v6, v6, s[20:21]
	v_lshrrev_b16_e32 v69, 8, v73
	v_bfe_u32 v79, v69, 3, 1
	v_lshlrev_b32_e32 v75, 5, v69
	v_lshrrev_b32_e32 v78, 1, v69
	v_cmp_ne_u16_e32 vcc, 0, v79
	v_lshlrev_b16_e32 v73, 7, v73
	v_bfe_i32 v78, v78, 0, 1
	v_lshrrev_b16_e32 v75, 7, v75
	v_cndmask_b32_e64 v79, 0, -1, vcc
	v_ashrrev_i16_e32 v73, 15, v73
	v_bfe_i32 v75, v75, 0, 1
	v_lshlrev_b16_e32 v78, 8, v78
	v_lshlrev_b16_e32 v79, 8, v79
	v_or_b32_sdwa v80, v73, v78 dst_sel:DWORD dst_unused:UNUSED_PAD src0_sel:BYTE_0 src1_sel:DWORD
	v_or_b32_sdwa v81, v75, v79 dst_sel:WORD_1 dst_unused:UNUSED_PAD src0_sel:BYTE_0 src1_sel:DWORD
	v_bfe_i32 v82, v69, 4, 1
	v_or_b32_sdwa v80, v80, v81 dst_sel:DWORD dst_unused:UNUSED_PAD src0_sel:WORD_0 src1_sel:DWORD
	v_lshlrev_b32_e32 v81, 1, v69
	v_lshrrev_b32_e32 v83, 5, v69
	v_lshrrev_b32_e32 v69, 7, v69
	v_lshlrev_b16_e32 v73, 8, v73
	v_cmp_ne_u16_e32 vcc, 0, v69
	v_bfe_i32 v83, v83, 0, 1
	v_lshrrev_b16_e32 v81, 7, v81
	v_cndmask_b32_e64 v69, 0, -1, vcc
	v_bfe_i32 v81, v81, 0, 1
	v_lshlrev_b16_e32 v83, 8, v83
	v_lshlrev_b16_e32 v69, 8, v69
	;; [unrolled: 1-line block ×3, first 2 shown]
	v_or_b32_sdwa v84, v82, v83 dst_sel:DWORD dst_unused:UNUSED_PAD src0_sel:BYTE_0 src1_sel:DWORD
	v_or_b32_sdwa v85, v81, v69 dst_sel:WORD_1 dst_unused:UNUSED_PAD src0_sel:BYTE_0 src1_sel:DWORD
	s_waitcnt vmcnt(1)
	v_xor_b32_e32 v5, v5, v80
	v_and_b32_e32 v80, 0xffffff00, v5
	v_sub_i16 v78, v80, v78 clamp
	v_lshlrev_b16_e32 v80, 8, v5
	v_and_b32_e32 v78, 0xffffff00, v78
	v_sub_i16 v73, v80, v73 clamp
	v_or_b32_sdwa v73, v73, v78 dst_sel:DWORD dst_unused:UNUSED_PAD src0_sel:BYTE_1 src1_sel:DWORD
	v_and_b32_sdwa v78, v5, s33 dst_sel:DWORD dst_unused:UNUSED_PAD src0_sel:WORD_1 src1_sel:DWORD
	v_sub_i16 v78, v78, v79 clamp
	v_lshlrev_b16_sdwa v5, v52, v5 dst_sel:DWORD dst_unused:UNUSED_PAD src0_sel:DWORD src1_sel:WORD_1
	v_and_b32_e32 v78, 0xffffff00, v78
	v_sub_i16 v5, v5, v75 clamp
	v_or_b32_sdwa v84, v84, v85 dst_sel:DWORD dst_unused:UNUSED_PAD src0_sel:WORD_0 src1_sel:DWORD
	v_or_b32_sdwa v5, v5, v78 dst_sel:WORD_1 dst_unused:UNUSED_PAD src0_sel:BYTE_1 src1_sel:DWORD
	v_lshlrev_b16_e32 v75, 8, v82
	v_or_b32_sdwa v78, v73, v5 dst_sel:DWORD dst_unused:UNUSED_PAD src0_sel:WORD_0 src1_sel:DWORD
	s_waitcnt vmcnt(0)
	v_xor_b32_e32 v5, v6, v84
	v_and_b32_e32 v6, 0xffffff00, v5
	v_sub_i16 v6, v6, v83 clamp
	v_lshlrev_b16_e32 v73, 8, v5
	v_and_b32_e32 v6, 0xffffff00, v6
	v_sub_i16 v73, v73, v75 clamp
	v_or_b32_sdwa v6, v73, v6 dst_sel:DWORD dst_unused:UNUSED_PAD src0_sel:BYTE_1 src1_sel:DWORD
	v_and_b32_sdwa v73, v5, s33 dst_sel:DWORD dst_unused:UNUSED_PAD src0_sel:WORD_1 src1_sel:DWORD
	v_sub_i16 v69, v73, v69 clamp
	v_lshlrev_b16_sdwa v5, v52, v5 dst_sel:DWORD dst_unused:UNUSED_PAD src0_sel:DWORD src1_sel:WORD_1
	v_lshlrev_b16_e32 v73, 8, v81
	v_and_b32_e32 v69, 0xffffff00, v69
	v_sub_i16 v5, v5, v73 clamp
	v_or_b32_sdwa v5, v5, v69 dst_sel:WORD_1 dst_unused:UNUSED_PAD src0_sel:BYTE_1 src1_sel:DWORD
	v_dot4c_i32_i8_e32 v68, v78, v7
	v_or_b32_sdwa v79, v6, v5 dst_sel:DWORD dst_unused:UNUSED_PAD src0_sel:WORD_0 src1_sel:DWORD
	v_dot4c_i32_i8_e32 v68, v79, v0
	v_and_b32_sdwa v0, s30, v70 dst_sel:DWORD dst_unused:UNUSED_PAD src0_sel:DWORD src1_sel:BYTE_0
	v_lshlrev_b32_e32 v5, 4, v72
	v_and_or_b32 v0, v5, s31, v0
	v_lshlrev_b32_e32 v0, 2, v0
	global_load_dword v0, v0, s[20:21]
	v_lshrrev_b16_e32 v5, 8, v70
	v_lshlrev_b32_e32 v6, 3, v72
	v_and_or_b32 v5, v6, s31, v5
	v_lshlrev_b32_e32 v5, 2, v5
	global_load_dword v5, v5, s[20:21]
	v_and_b32_sdwa v6, s30, v74 dst_sel:DWORD dst_unused:UNUSED_PAD src0_sel:DWORD src1_sel:BYTE_0
	v_bfe_u32 v73, v6, 3, 1
	v_lshlrev_b32_e32 v7, 5, v6
	v_lshrrev_b32_e32 v70, 1, v6
	v_cmp_ne_u16_e32 vcc, 0, v73
	v_and_b32_e32 v69, 1, v74
	v_bfe_i32 v70, v70, 0, 1
	v_lshrrev_b16_e32 v7, 7, v7
	v_cndmask_b32_e64 v73, 0, -1, vcc
	v_sub_u16_e32 v69, 0, v69
	v_bfe_i32 v7, v7, 0, 1
	v_lshlrev_b16_e32 v70, 8, v70
	v_lshlrev_b16_e32 v73, 8, v73
	v_or_b32_sdwa v75, v69, v70 dst_sel:DWORD dst_unused:UNUSED_PAD src0_sel:BYTE_0 src1_sel:DWORD
	v_or_b32_sdwa v80, v7, v73 dst_sel:WORD_1 dst_unused:UNUSED_PAD src0_sel:BYTE_0 src1_sel:DWORD
	v_bfe_i32 v81, v6, 4, 1
	v_or_b32_sdwa v75, v75, v80 dst_sel:DWORD dst_unused:UNUSED_PAD src0_sel:WORD_0 src1_sel:DWORD
	v_lshlrev_b32_e32 v80, 1, v6
	v_lshrrev_b32_e32 v82, 5, v6
	v_lshrrev_b32_e32 v6, 7, v6
	v_lshlrev_b16_e32 v69, 8, v69
	v_cmp_ne_u16_e32 vcc, 0, v6
	v_bfe_i32 v82, v82, 0, 1
	v_lshrrev_b16_e32 v80, 7, v80
	v_cndmask_b32_e64 v6, 0, -1, vcc
	v_bfe_i32 v80, v80, 0, 1
	v_lshlrev_b16_e32 v82, 8, v82
	v_lshlrev_b16_e32 v6, 8, v6
	v_lshlrev_b16_e32 v7, 8, v7
	v_or_b32_sdwa v83, v81, v82 dst_sel:DWORD dst_unused:UNUSED_PAD src0_sel:BYTE_0 src1_sel:DWORD
	v_or_b32_sdwa v84, v80, v6 dst_sel:WORD_1 dst_unused:UNUSED_PAD src0_sel:BYTE_0 src1_sel:DWORD
	s_waitcnt vmcnt(1)
	v_xor_b32_e32 v0, v0, v75
	v_and_b32_e32 v75, 0xffffff00, v0
	v_sub_i16 v70, v75, v70 clamp
	v_lshlrev_b16_e32 v75, 8, v0
	v_and_b32_e32 v70, 0xffffff00, v70
	v_sub_i16 v69, v75, v69 clamp
	v_or_b32_sdwa v69, v69, v70 dst_sel:DWORD dst_unused:UNUSED_PAD src0_sel:BYTE_1 src1_sel:DWORD
	v_and_b32_sdwa v70, v0, s33 dst_sel:DWORD dst_unused:UNUSED_PAD src0_sel:WORD_1 src1_sel:DWORD
	v_sub_i16 v70, v70, v73 clamp
	v_lshlrev_b16_sdwa v0, v52, v0 dst_sel:DWORD dst_unused:UNUSED_PAD src0_sel:DWORD src1_sel:WORD_1
	v_and_b32_e32 v70, 0xffffff00, v70
	v_sub_i16 v0, v0, v7 clamp
	v_or_b32_sdwa v83, v83, v84 dst_sel:DWORD dst_unused:UNUSED_PAD src0_sel:WORD_0 src1_sel:DWORD
	v_or_b32_sdwa v0, v0, v70 dst_sel:WORD_1 dst_unused:UNUSED_PAD src0_sel:BYTE_1 src1_sel:DWORD
	s_nop 0
	v_or_b32_sdwa v84, v69, v0 dst_sel:DWORD dst_unused:UNUSED_PAD src0_sel:WORD_0 src1_sel:DWORD
	s_waitcnt vmcnt(0)
	v_xor_b32_e32 v0, v5, v83
	v_and_b32_e32 v5, 0xffffff00, v0
	v_sub_i16 v5, v5, v82 clamp
	v_lshlrev_b16_e32 v7, 8, v0
	v_lshlrev_b16_e32 v69, 8, v81
	v_and_b32_e32 v5, 0xffffff00, v5
	v_sub_i16 v7, v7, v69 clamp
	v_or_b32_sdwa v5, v7, v5 dst_sel:DWORD dst_unused:UNUSED_PAD src0_sel:BYTE_1 src1_sel:DWORD
	v_and_b32_sdwa v7, v0, s33 dst_sel:DWORD dst_unused:UNUSED_PAD src0_sel:WORD_1 src1_sel:DWORD
	v_sub_i16 v6, v7, v6 clamp
	v_lshlrev_b16_sdwa v0, v52, v0 dst_sel:DWORD dst_unused:UNUSED_PAD src0_sel:DWORD src1_sel:WORD_1
	v_lshlrev_b16_e32 v7, 8, v80
	v_and_b32_e32 v6, 0xffffff00, v6
	v_sub_i16 v0, v0, v7 clamp
	v_or_b32_sdwa v0, v0, v6 dst_sel:WORD_1 dst_unused:UNUSED_PAD src0_sel:BYTE_1 src1_sel:DWORD
	v_dot4c_i32_i8_e32 v68, v84, v1
	v_or_b32_sdwa v80, v5, v0 dst_sel:DWORD dst_unused:UNUSED_PAD src0_sel:WORD_0 src1_sel:DWORD
	v_and_b32_sdwa v0, s30, v71 dst_sel:DWORD dst_unused:UNUSED_PAD src0_sel:DWORD src1_sel:BYTE_0
	v_lshlrev_b32_e32 v1, 2, v72
	v_and_or_b32 v0, v1, s31, v0
	v_lshlrev_b32_e32 v0, 2, v0
	global_load_dword v0, v0, s[20:21]
	v_dot4c_i32_i8_e32 v68, v80, v2
	v_lshrrev_b16_e32 v1, 8, v71
	v_lshlrev_b32_e32 v2, 1, v72
	v_and_or_b32 v1, v2, s31, v1
	v_lshlrev_b32_e32 v1, 2, v1
	global_load_dword v1, v1, s[20:21]
	v_lshrrev_b16_e32 v2, 8, v74
	v_bfe_u32 v69, v2, 3, 1
	v_lshlrev_b32_e32 v5, 5, v2
	v_lshrrev_b32_e32 v7, 1, v2
	v_cmp_ne_u16_e32 vcc, 0, v69
	v_lshlrev_b16_e32 v6, 7, v74
	v_bfe_i32 v7, v7, 0, 1
	v_lshrrev_b16_e32 v5, 7, v5
	v_cndmask_b32_e64 v69, 0, -1, vcc
	v_ashrrev_i16_e32 v6, 15, v6
	v_bfe_i32 v5, v5, 0, 1
	v_lshlrev_b16_e32 v7, 8, v7
	v_lshlrev_b16_e32 v69, 8, v69
	v_or_b32_sdwa v70, v6, v7 dst_sel:DWORD dst_unused:UNUSED_PAD src0_sel:BYTE_0 src1_sel:DWORD
	v_or_b32_sdwa v71, v5, v69 dst_sel:WORD_1 dst_unused:UNUSED_PAD src0_sel:BYTE_0 src1_sel:DWORD
	v_bfe_i32 v72, v2, 4, 1
	v_or_b32_sdwa v70, v70, v71 dst_sel:DWORD dst_unused:UNUSED_PAD src0_sel:WORD_0 src1_sel:DWORD
	v_lshlrev_b32_e32 v71, 1, v2
	v_lshrrev_b32_e32 v73, 5, v2
	v_lshrrev_b32_e32 v2, 7, v2
	v_lshlrev_b16_e32 v6, 8, v6
	v_cmp_ne_u16_e32 vcc, 0, v2
	v_bfe_i32 v73, v73, 0, 1
	v_lshrrev_b16_e32 v71, 7, v71
	v_cndmask_b32_e64 v2, 0, -1, vcc
	v_bfe_i32 v71, v71, 0, 1
	v_lshlrev_b16_e32 v73, 8, v73
	v_lshlrev_b16_e32 v2, 8, v2
	;; [unrolled: 1-line block ×3, first 2 shown]
	v_or_b32_sdwa v74, v72, v73 dst_sel:DWORD dst_unused:UNUSED_PAD src0_sel:BYTE_0 src1_sel:DWORD
	v_or_b32_sdwa v75, v71, v2 dst_sel:WORD_1 dst_unused:UNUSED_PAD src0_sel:BYTE_0 src1_sel:DWORD
	s_waitcnt vmcnt(1)
	v_xor_b32_e32 v0, v0, v70
	v_and_b32_e32 v70, 0xffffff00, v0
	v_sub_i16 v7, v70, v7 clamp
	v_lshlrev_b16_e32 v70, 8, v0
	v_and_b32_e32 v7, 0xffffff00, v7
	v_sub_i16 v6, v70, v6 clamp
	v_or_b32_sdwa v6, v6, v7 dst_sel:DWORD dst_unused:UNUSED_PAD src0_sel:BYTE_1 src1_sel:DWORD
	v_and_b32_sdwa v7, v0, s33 dst_sel:DWORD dst_unused:UNUSED_PAD src0_sel:WORD_1 src1_sel:DWORD
	v_sub_i16 v7, v7, v69 clamp
	v_lshlrev_b16_sdwa v0, v52, v0 dst_sel:DWORD dst_unused:UNUSED_PAD src0_sel:DWORD src1_sel:WORD_1
	v_and_b32_e32 v7, 0xffffff00, v7
	v_sub_i16 v0, v0, v5 clamp
	v_or_b32_sdwa v74, v74, v75 dst_sel:DWORD dst_unused:UNUSED_PAD src0_sel:WORD_0 src1_sel:DWORD
	v_or_b32_sdwa v0, v0, v7 dst_sel:WORD_1 dst_unused:UNUSED_PAD src0_sel:BYTE_1 src1_sel:DWORD
	s_nop 0
	v_or_b32_sdwa v81, v6, v0 dst_sel:DWORD dst_unused:UNUSED_PAD src0_sel:WORD_0 src1_sel:DWORD
	s_waitcnt vmcnt(0)
	v_xor_b32_e32 v0, v1, v74
	v_and_b32_e32 v1, 0xffffff00, v0
	v_sub_i16 v1, v1, v73 clamp
	v_lshlrev_b16_e32 v5, 8, v0
	v_lshlrev_b16_e32 v6, 8, v72
	v_and_b32_e32 v1, 0xffffff00, v1
	v_sub_i16 v5, v5, v6 clamp
	v_or_b32_sdwa v1, v5, v1 dst_sel:DWORD dst_unused:UNUSED_PAD src0_sel:BYTE_1 src1_sel:DWORD
	v_and_b32_sdwa v5, v0, s33 dst_sel:DWORD dst_unused:UNUSED_PAD src0_sel:WORD_1 src1_sel:DWORD
	v_sub_i16 v2, v5, v2 clamp
	v_lshlrev_b16_sdwa v0, v52, v0 dst_sel:DWORD dst_unused:UNUSED_PAD src0_sel:DWORD src1_sel:WORD_1
	v_lshlrev_b16_e32 v5, 8, v71
	v_and_b32_e32 v2, 0xffffff00, v2
	v_sub_i16 v0, v0, v5 clamp
	v_or_b32_sdwa v0, v0, v2 dst_sel:WORD_1 dst_unused:UNUSED_PAD src0_sel:BYTE_1 src1_sel:DWORD
	v_dot4c_i32_i8_e32 v68, v81, v3
	v_or_b32_sdwa v82, v1, v0 dst_sel:DWORD dst_unused:UNUSED_PAD src0_sel:WORD_0 src1_sel:DWORD
	global_load_ushort v0, v[30:31], off
	global_load_ubyte v1, v[28:29], off offset:106
	global_load_ubyte v2, v[32:33], off offset:106
	v_dot4c_i32_i8_e32 v68, v82, v8
	v_cvt_f32_f16_e32 v72, v67
	v_mov_b32_e32 v67, 0
	s_waitcnt vmcnt(2)
	v_cvt_f32_f16_e32 v73, v0
	s_waitcnt vmcnt(1)
	v_lshrrev_b32_e32 v1, v18, v1
	s_waitcnt vmcnt(0)
	v_lshrrev_b32_e32 v2, v13, v2
	v_lshlrev_b32_e32 v1, 1, v1
	v_lshlrev_b32_e32 v2, 1, v2
	v_and_or_b32 v83, v2, 30, 1
	v_and_or_b32 v85, v1, 30, 1
	v_mul_lo_u32 v1, v11, v85
	v_mul_lo_u32 v2, v68, v83
	v_cvt_f32_i32_e32 v7, v2
	v_cvt_f32_i32_e32 v6, v1
	scratch_load_dwordx4 v[0:3], off, off offset:32
	v_pk_mul_f32 v[4:5], v[4:5], v[72:73] op_sel_hi:[0,1]
	s_waitcnt vmcnt(0)
	v_pk_fma_f32 v[0:1], v[4:5], v[6:7], v[0:1]
	v_add_u32_e32 v4, s26, v51
	v_mad_u64_u32 v[4:5], s[34:35], v4, 36, s[24:25]
	v_mad_u64_u32 v[74:75], s[34:35], v14, 36, v[4:5]
	global_load_dword v11, v[74:75], off offset:32
	global_load_dwordx4 v[4:7], v[74:75], off offset:16
	global_load_dwordx4 v[68:71], v[74:75], off
	s_waitcnt vmcnt(0)
	v_dot4c_i32_i8_e32 v67, v9, v69
	v_mov_b32_e32 v9, 0
	v_dot4c_i32_i8_e32 v9, v77, v69
	v_dot4c_i32_i8_e32 v67, v10, v70
	;; [unrolled: 1-line block ×15, first 2 shown]
	v_cvt_f32_f16_e32 v8, v68
	s_nop 0
	v_mul_lo_u32 v6, v67, v85
	v_mul_lo_u32 v7, v9, v83
	v_cvt_f32_i32_e32 v7, v7
	v_cvt_f32_i32_e32 v6, v6
	v_pk_mul_f32 v[4:5], v[8:9], v[72:73] op_sel_hi:[0,1]
	v_pk_fma_f32 v[2:3], v[4:5], v[6:7], v[2:3]
	scratch_store_dwordx4 off, v[0:3], off offset:32
	s_nop 1
	v_add_u32_e32 v0, s19, v51
	v_mad_u64_u32 v[0:1], s[34:35], v0, 36, s[24:25]
	v_mad_u64_u32 v[10:11], s[34:35], v14, 36, v[0:1]
	global_load_dword v8, v[10:11], off offset:32
	global_load_dwordx4 v[0:3], v[10:11], off offset:16
	global_load_dwordx4 v[4:7], v[10:11], off
	global_load_ushort v9, v[42:43], off offset:2
	s_nop 0
	global_load_ushort v11, v[42:43], off offset:4
	global_load_ushort v10, v[42:43], off offset:6
	;; [unrolled: 1-line block ×3, first 2 shown]
	global_load_ubyte v70, v[44:45], off offset:66
	global_load_ushort v48, v[46:47], off offset:74
	global_load_ushort v71, v[46:47], off offset:76
	s_waitcnt vmcnt(6)
	v_and_b32_sdwa v42, s30, v9 dst_sel:DWORD dst_unused:UNUSED_PAD src0_sel:DWORD src1_sel:BYTE_0
	s_waitcnt vmcnt(2)
	v_lshlrev_b32_e32 v43, 8, v70
	v_and_b32_e32 v81, 0x100, v43
	v_or_b32_e32 v42, v81, v42
	v_lshlrev_b32_e32 v42, 2, v42
	global_load_dword v42, v42, s[20:21]
	v_lshlrev_b32_e32 v43, 7, v70
	v_and_b32_e32 v82, 0x100, v43
	v_or_b32_sdwa v9, v82, v9 dst_sel:DWORD dst_unused:UNUSED_PAD src0_sel:DWORD src1_sel:BYTE_1
	v_lshlrev_b32_e32 v9, 2, v9
	global_load_dword v9, v9, s[20:21]
	s_waitcnt vmcnt(3)
	v_and_b32_sdwa v43, s30, v48 dst_sel:DWORD dst_unused:UNUSED_PAD src0_sel:DWORD src1_sel:BYTE_0
	v_bfe_u32 v47, v43, 3, 1
	v_lshlrev_b32_e32 v44, 5, v43
	v_lshrrev_b32_e32 v46, 1, v43
	v_cmp_ne_u16_e32 vcc, 0, v47
	v_and_b32_e32 v45, 1, v48
	v_bfe_i32 v46, v46, 0, 1
	v_lshrrev_b16_e32 v44, 7, v44
	v_cndmask_b32_e64 v47, 0, -1, vcc
	v_sub_u16_e32 v45, 0, v45
	v_bfe_i32 v44, v44, 0, 1
	v_lshlrev_b16_e32 v46, 8, v46
	v_lshlrev_b16_e32 v47, 8, v47
	v_or_b32_sdwa v49, v45, v46 dst_sel:DWORD dst_unused:UNUSED_PAD src0_sel:BYTE_0 src1_sel:DWORD
	v_or_b32_sdwa v63, v44, v47 dst_sel:WORD_1 dst_unused:UNUSED_PAD src0_sel:BYTE_0 src1_sel:DWORD
	v_bfe_i32 v64, v43, 4, 1
	v_or_b32_sdwa v49, v49, v63 dst_sel:DWORD dst_unused:UNUSED_PAD src0_sel:WORD_0 src1_sel:DWORD
	v_lshlrev_b32_e32 v63, 1, v43
	v_lshrrev_b32_e32 v65, 5, v43
	v_lshrrev_b32_e32 v43, 7, v43
	v_cmp_ne_u16_e32 vcc, 0, v43
	v_bfe_i32 v65, v65, 0, 1
	v_lshrrev_b16_e32 v63, 7, v63
	v_cndmask_b32_e64 v43, 0, -1, vcc
	v_lshlrev_b16_e32 v45, 8, v45
	v_bfe_i32 v63, v63, 0, 1
	v_lshlrev_b16_e32 v65, 8, v65
	v_lshlrev_b16_e32 v43, 8, v43
	v_or_b32_sdwa v66, v64, v65 dst_sel:DWORD dst_unused:UNUSED_PAD src0_sel:BYTE_0 src1_sel:DWORD
	v_or_b32_sdwa v67, v63, v43 dst_sel:WORD_1 dst_unused:UNUSED_PAD src0_sel:BYTE_0 src1_sel:DWORD
	v_lshlrev_b16_e32 v44, 8, v44
	v_or_b32_sdwa v66, v66, v67 dst_sel:DWORD dst_unused:UNUSED_PAD src0_sel:WORD_0 src1_sel:DWORD
	v_cvt_f32_f16_e32 v4, v4
	s_waitcnt vmcnt(1)
	v_xor_b32_e32 v42, v42, v49
	v_and_b32_e32 v49, 0xffffff00, v42
	v_sub_i16 v46, v49, v46 clamp
	v_lshlrev_b16_e32 v49, 8, v42
	v_and_b32_e32 v46, 0xffffff00, v46
	v_sub_i16 v45, v49, v45 clamp
	v_or_b32_sdwa v45, v45, v46 dst_sel:DWORD dst_unused:UNUSED_PAD src0_sel:BYTE_1 src1_sel:DWORD
	v_and_b32_sdwa v46, v42, s33 dst_sel:DWORD dst_unused:UNUSED_PAD src0_sel:WORD_1 src1_sel:DWORD
	v_sub_i16 v46, v46, v47 clamp
	v_lshlrev_b16_sdwa v42, v52, v42 dst_sel:DWORD dst_unused:UNUSED_PAD src0_sel:DWORD src1_sel:WORD_1
	v_and_b32_e32 v46, 0xffffff00, v46
	v_sub_i16 v42, v42, v44 clamp
	s_waitcnt vmcnt(0)
	v_xor_b32_e32 v9, v9, v66
	v_or_b32_sdwa v42, v42, v46 dst_sel:WORD_1 dst_unused:UNUSED_PAD src0_sel:BYTE_1 src1_sel:DWORD
	v_and_b32_e32 v44, 0xffffff00, v9
	v_or_b32_sdwa v42, v45, v42 dst_sel:DWORD dst_unused:UNUSED_PAD src0_sel:WORD_0 src1_sel:DWORD
	v_sub_i16 v44, v44, v65 clamp
	v_lshlrev_b16_e32 v45, 8, v9
	v_lshlrev_b16_e32 v46, 8, v64
	v_and_b32_e32 v44, 0xffffff00, v44
	v_sub_i16 v45, v45, v46 clamp
	v_or_b32_sdwa v44, v45, v44 dst_sel:DWORD dst_unused:UNUSED_PAD src0_sel:BYTE_1 src1_sel:DWORD
	v_and_b32_sdwa v45, v9, s33 dst_sel:DWORD dst_unused:UNUSED_PAD src0_sel:WORD_1 src1_sel:DWORD
	v_sub_i16 v43, v45, v43 clamp
	v_lshlrev_b16_sdwa v9, v52, v9 dst_sel:DWORD dst_unused:UNUSED_PAD src0_sel:DWORD src1_sel:WORD_1
	v_lshlrev_b16_e32 v45, 8, v63
	v_and_b32_e32 v43, 0xffffff00, v43
	v_sub_i16 v9, v9, v45 clamp
	v_or_b32_sdwa v9, v9, v43 dst_sel:WORD_1 dst_unused:UNUSED_PAD src0_sel:BYTE_1 src1_sel:DWORD
	v_lshrrev_b16_e32 v45, 8, v48
	v_or_b32_sdwa v43, v44, v9 dst_sel:DWORD dst_unused:UNUSED_PAD src0_sel:WORD_0 src1_sel:DWORD
	v_mov_b32_e32 v9, 0
	v_dot4c_i32_i8_e32 v9, v42, v5
	v_lshlrev_b32_e32 v42, 6, v70
	v_dot4c_i32_i8_e32 v9, v43, v6
	v_and_b32_sdwa v43, s30, v11 dst_sel:DWORD dst_unused:UNUSED_PAD src0_sel:DWORD src1_sel:BYTE_0
	v_and_b32_e32 v42, 0x100, v42
	v_or_b32_e32 v43, v42, v43
	v_lshlrev_b32_e32 v43, 2, v43
	global_load_dword v44, v43, s[20:21]
	v_lshlrev_b32_e32 v43, 5, v70
	v_and_b32_e32 v43, 0x100, v43
	v_or_b32_sdwa v11, v43, v11 dst_sel:DWORD dst_unused:UNUSED_PAD src0_sel:DWORD src1_sel:BYTE_1
	v_lshlrev_b32_e32 v11, 2, v11
	global_load_dword v11, v11, s[20:21]
	v_bfe_u32 v49, v45, 3, 1
	v_lshlrev_b32_e32 v46, 5, v45
	v_lshlrev_b16_e32 v47, 7, v48
	v_lshrrev_b32_e32 v48, 1, v45
	v_cmp_ne_u16_e32 vcc, 0, v49
	v_bfe_i32 v48, v48, 0, 1
	v_lshrrev_b16_e32 v46, 7, v46
	v_cndmask_b32_e64 v49, 0, -1, vcc
	v_ashrrev_i16_e32 v47, 15, v47
	v_bfe_i32 v46, v46, 0, 1
	v_lshlrev_b16_e32 v48, 8, v48
	v_lshlrev_b16_e32 v49, 8, v49
	v_or_b32_sdwa v63, v47, v48 dst_sel:DWORD dst_unused:UNUSED_PAD src0_sel:BYTE_0 src1_sel:DWORD
	v_or_b32_sdwa v64, v46, v49 dst_sel:WORD_1 dst_unused:UNUSED_PAD src0_sel:BYTE_0 src1_sel:DWORD
	v_bfe_i32 v65, v45, 4, 1
	v_or_b32_sdwa v63, v63, v64 dst_sel:DWORD dst_unused:UNUSED_PAD src0_sel:WORD_0 src1_sel:DWORD
	v_lshlrev_b32_e32 v64, 1, v45
	v_lshrrev_b32_e32 v66, 5, v45
	v_lshrrev_b32_e32 v45, 7, v45
	v_cmp_ne_u16_e32 vcc, 0, v45
	v_bfe_i32 v66, v66, 0, 1
	v_lshrrev_b16_e32 v64, 7, v64
	v_cndmask_b32_e64 v45, 0, -1, vcc
	v_lshlrev_b16_e32 v47, 8, v47
	v_bfe_i32 v64, v64, 0, 1
	v_lshlrev_b16_e32 v66, 8, v66
	v_lshlrev_b16_e32 v45, 8, v45
	v_or_b32_sdwa v67, v65, v66 dst_sel:DWORD dst_unused:UNUSED_PAD src0_sel:BYTE_0 src1_sel:DWORD
	v_or_b32_sdwa v68, v64, v45 dst_sel:WORD_1 dst_unused:UNUSED_PAD src0_sel:BYTE_0 src1_sel:DWORD
	v_lshlrev_b16_e32 v46, 8, v46
	v_or_b32_sdwa v67, v67, v68 dst_sel:DWORD dst_unused:UNUSED_PAD src0_sel:WORD_0 src1_sel:DWORD
	v_and_or_b32 v42, v56, s29, v42
	v_lshlrev_b32_e32 v42, 2, v42
	v_or_b32_sdwa v43, v43, v56 dst_sel:DWORD dst_unused:UNUSED_PAD src0_sel:DWORD src1_sel:BYTE_1
	v_lshlrev_b32_e32 v43, 2, v43
	v_lshrrev_b16_e32 v56, 8, v57
	s_waitcnt vmcnt(1)
	v_xor_b32_e32 v44, v44, v63
	v_and_b32_e32 v63, 0xffffff00, v44
	v_sub_i16 v48, v63, v48 clamp
	v_lshlrev_b16_e32 v63, 8, v44
	v_and_b32_e32 v48, 0xffffff00, v48
	v_sub_i16 v47, v63, v47 clamp
	v_or_b32_sdwa v47, v47, v48 dst_sel:DWORD dst_unused:UNUSED_PAD src0_sel:BYTE_1 src1_sel:DWORD
	v_and_b32_sdwa v48, v44, s33 dst_sel:DWORD dst_unused:UNUSED_PAD src0_sel:WORD_1 src1_sel:DWORD
	v_sub_i16 v48, v48, v49 clamp
	v_lshlrev_b16_sdwa v44, v52, v44 dst_sel:DWORD dst_unused:UNUSED_PAD src0_sel:DWORD src1_sel:WORD_1
	v_and_b32_e32 v48, 0xffffff00, v48
	v_sub_i16 v44, v44, v46 clamp
	s_waitcnt vmcnt(0)
	v_xor_b32_e32 v11, v11, v67
	v_or_b32_sdwa v44, v44, v48 dst_sel:WORD_1 dst_unused:UNUSED_PAD src0_sel:BYTE_1 src1_sel:DWORD
	v_and_b32_e32 v46, 0xffffff00, v11
	v_or_b32_sdwa v44, v47, v44 dst_sel:DWORD dst_unused:UNUSED_PAD src0_sel:WORD_0 src1_sel:DWORD
	v_sub_i16 v46, v46, v66 clamp
	v_lshlrev_b16_e32 v47, 8, v11
	v_lshlrev_b16_e32 v48, 8, v65
	v_and_b32_e32 v46, 0xffffff00, v46
	v_sub_i16 v47, v47, v48 clamp
	v_or_b32_sdwa v46, v47, v46 dst_sel:DWORD dst_unused:UNUSED_PAD src0_sel:BYTE_1 src1_sel:DWORD
	v_and_b32_sdwa v47, v11, s33 dst_sel:DWORD dst_unused:UNUSED_PAD src0_sel:WORD_1 src1_sel:DWORD
	v_sub_i16 v45, v47, v45 clamp
	v_lshlrev_b16_sdwa v11, v52, v11 dst_sel:DWORD dst_unused:UNUSED_PAD src0_sel:DWORD src1_sel:WORD_1
	v_lshlrev_b16_e32 v47, 8, v64
	v_and_b32_e32 v45, 0xffffff00, v45
	v_sub_i16 v11, v11, v47 clamp
	v_or_b32_sdwa v11, v11, v45 dst_sel:WORD_1 dst_unused:UNUSED_PAD src0_sel:BYTE_1 src1_sel:DWORD
	v_dot4c_i32_i8_e32 v9, v44, v7
	v_or_b32_sdwa v11, v46, v11 dst_sel:DWORD dst_unused:UNUSED_PAD src0_sel:WORD_0 src1_sel:DWORD
	v_lshlrev_b32_e32 v44, 4, v70
	v_dot4c_i32_i8_e32 v9, v11, v0
	v_and_b32_sdwa v11, s30, v10 dst_sel:DWORD dst_unused:UNUSED_PAD src0_sel:DWORD src1_sel:BYTE_0
	v_and_b32_e32 v44, 0x100, v44
	v_or_b32_e32 v11, v44, v11
	v_lshlrev_b32_e32 v11, 2, v11
	global_load_dword v11, v11, s[20:21]
	v_lshlrev_b32_e32 v45, 3, v70
	v_and_b32_e32 v45, 0x100, v45
	v_or_b32_sdwa v10, v45, v10 dst_sel:DWORD dst_unused:UNUSED_PAD src0_sel:DWORD src1_sel:BYTE_1
	v_lshlrev_b32_e32 v10, 2, v10
	global_load_dword v10, v10, s[20:21]
	v_and_b32_sdwa v47, s30, v71 dst_sel:DWORD dst_unused:UNUSED_PAD src0_sel:DWORD src1_sel:BYTE_0
	v_lshlrev_b32_e32 v46, 5, v47
	v_lshrrev_b16_e32 v46, 7, v46
	v_and_b32_e32 v48, 1, v71
	v_bfe_i32 v66, v46, 0, 1
	v_bfe_u32 v46, v47, 3, 1
	v_sub_u16_e32 v65, 0, v48
	v_lshrrev_b32_e32 v48, 1, v47
	v_cmp_ne_u16_e32 vcc, 0, v46
	v_bfe_i32 v48, v48, 0, 1
	v_lshlrev_b16_e32 v48, 8, v48
	v_cndmask_b32_e64 v46, 0, -1, vcc
	v_lshlrev_b16_e32 v46, 8, v46
	v_or_b32_sdwa v49, v65, v48 dst_sel:DWORD dst_unused:UNUSED_PAD src0_sel:BYTE_0 src1_sel:DWORD
	v_or_b32_sdwa v63, v66, v46 dst_sel:WORD_1 dst_unused:UNUSED_PAD src0_sel:BYTE_0 src1_sel:DWORD
	v_bfe_i32 v67, v47, 4, 1
	v_or_b32_sdwa v63, v49, v63 dst_sel:DWORD dst_unused:UNUSED_PAD src0_sel:WORD_0 src1_sel:DWORD
	v_lshlrev_b32_e32 v49, 1, v47
	v_lshrrev_b32_e32 v64, 5, v47
	v_lshrrev_b32_e32 v47, 7, v47
	v_cmp_ne_u16_e32 vcc, 0, v47
	v_bfe_i32 v64, v64, 0, 1
	v_lshrrev_b16_e32 v49, 7, v49
	v_cndmask_b32_e64 v47, 0, -1, vcc
	v_bfe_i32 v68, v49, 0, 1
	v_lshlrev_b16_e32 v49, 8, v64
	v_lshlrev_b16_e32 v47, 8, v47
	v_or_b32_sdwa v64, v67, v49 dst_sel:DWORD dst_unused:UNUSED_PAD src0_sel:BYTE_0 src1_sel:DWORD
	v_or_b32_sdwa v72, v68, v47 dst_sel:WORD_1 dst_unused:UNUSED_PAD src0_sel:BYTE_0 src1_sel:DWORD
	v_lshlrev_b16_e32 v65, 8, v65
	v_or_b32_sdwa v64, v64, v72 dst_sel:DWORD dst_unused:UNUSED_PAD src0_sel:WORD_0 src1_sel:DWORD
	v_lshlrev_b16_e32 v66, 8, v66
	v_lshlrev_b16_e32 v67, 8, v67
	;; [unrolled: 1-line block ×3, first 2 shown]
	s_waitcnt vmcnt(1)
	v_xor_b32_e32 v11, v11, v63
	v_and_b32_e32 v72, 0xffffff00, v11
	v_sub_i16 v72, v72, v48 clamp
	v_lshlrev_b16_e32 v73, 8, v11
	v_and_b32_e32 v72, 0xffffff00, v72
	v_sub_i16 v73, v73, v65 clamp
	v_or_b32_sdwa v72, v73, v72 dst_sel:DWORD dst_unused:UNUSED_PAD src0_sel:BYTE_1 src1_sel:DWORD
	v_and_b32_sdwa v73, v11, s33 dst_sel:DWORD dst_unused:UNUSED_PAD src0_sel:WORD_1 src1_sel:DWORD
	v_sub_i16 v73, v73, v46 clamp
	v_lshlrev_b16_sdwa v11, v52, v11 dst_sel:DWORD dst_unused:UNUSED_PAD src0_sel:DWORD src1_sel:WORD_1
	v_and_b32_e32 v73, 0xffffff00, v73
	v_sub_i16 v11, v11, v66 clamp
	v_or_b32_sdwa v11, v11, v73 dst_sel:WORD_1 dst_unused:UNUSED_PAD src0_sel:BYTE_1 src1_sel:DWORD
	s_waitcnt vmcnt(0)
	v_xor_b32_e32 v10, v10, v64
	v_or_b32_sdwa v11, v72, v11 dst_sel:DWORD dst_unused:UNUSED_PAD src0_sel:WORD_0 src1_sel:DWORD
	v_and_b32_e32 v72, 0xffffff00, v10
	v_sub_i16 v72, v72, v49 clamp
	v_lshlrev_b16_e32 v73, 8, v10
	v_and_b32_e32 v72, 0xffffff00, v72
	v_sub_i16 v73, v73, v67 clamp
	v_or_b32_sdwa v72, v73, v72 dst_sel:DWORD dst_unused:UNUSED_PAD src0_sel:BYTE_1 src1_sel:DWORD
	v_and_b32_sdwa v73, v10, s33 dst_sel:DWORD dst_unused:UNUSED_PAD src0_sel:WORD_1 src1_sel:DWORD
	v_sub_i16 v73, v73, v47 clamp
	v_lshlrev_b16_sdwa v10, v52, v10 dst_sel:DWORD dst_unused:UNUSED_PAD src0_sel:DWORD src1_sel:WORD_1
	v_and_b32_e32 v73, 0xffffff00, v73
	v_sub_i16 v10, v10, v68 clamp
	v_or_b32_sdwa v10, v10, v73 dst_sel:WORD_1 dst_unused:UNUSED_PAD src0_sel:BYTE_1 src1_sel:DWORD
	v_dot4c_i32_i8_e32 v9, v11, v1
	v_or_b32_sdwa v10, v72, v10 dst_sel:DWORD dst_unused:UNUSED_PAD src0_sel:WORD_0 src1_sel:DWORD
	v_dot4c_i32_i8_e32 v9, v10, v2
	v_and_b32_sdwa v10, s30, v69 dst_sel:DWORD dst_unused:UNUSED_PAD src0_sel:DWORD src1_sel:BYTE_0
	v_lshlrev_b32_e32 v11, 2, v70
	v_and_or_b32 v10, v11, s31, v10
	v_lshlrev_b32_e32 v10, 2, v10
	global_load_dword v10, v10, s[20:21]
	v_lshrrev_b16_e32 v11, 8, v69
	v_lshlrev_b32_e32 v69, 1, v70
	v_and_or_b32 v11, v69, s31, v11
	v_lshlrev_b32_e32 v11, 2, v11
	global_load_dword v11, v11, s[20:21]
	v_lshrrev_b16_e32 v69, 8, v71
	v_bfe_u32 v73, v69, 3, 1
	v_lshlrev_b32_e32 v70, 5, v69
	v_lshrrev_b32_e32 v72, 1, v69
	v_cmp_ne_u16_e32 vcc, 0, v73
	v_lshlrev_b16_e32 v71, 7, v71
	v_bfe_i32 v72, v72, 0, 1
	v_lshrrev_b16_e32 v70, 7, v70
	v_cndmask_b32_e64 v73, 0, -1, vcc
	v_ashrrev_i16_e32 v71, 15, v71
	v_bfe_i32 v70, v70, 0, 1
	v_lshlrev_b16_e32 v72, 8, v72
	v_lshlrev_b16_e32 v73, 8, v73
	v_or_b32_sdwa v74, v71, v72 dst_sel:DWORD dst_unused:UNUSED_PAD src0_sel:BYTE_0 src1_sel:DWORD
	v_or_b32_sdwa v75, v70, v73 dst_sel:WORD_1 dst_unused:UNUSED_PAD src0_sel:BYTE_0 src1_sel:DWORD
	v_bfe_i32 v76, v69, 4, 1
	v_or_b32_sdwa v74, v74, v75 dst_sel:DWORD dst_unused:UNUSED_PAD src0_sel:WORD_0 src1_sel:DWORD
	v_lshlrev_b32_e32 v75, 1, v69
	v_lshrrev_b32_e32 v77, 5, v69
	v_lshrrev_b32_e32 v69, 7, v69
	v_cmp_ne_u16_e32 vcc, 0, v69
	v_bfe_i32 v77, v77, 0, 1
	v_lshrrev_b16_e32 v75, 7, v75
	v_cndmask_b32_e64 v69, 0, -1, vcc
	v_bfe_i32 v75, v75, 0, 1
	v_lshlrev_b16_e32 v77, 8, v77
	v_lshlrev_b16_e32 v79, 8, v69
	v_or_b32_sdwa v78, v76, v77 dst_sel:DWORD dst_unused:UNUSED_PAD src0_sel:BYTE_0 src1_sel:DWORD
	v_or_b32_sdwa v69, v75, v79 dst_sel:WORD_1 dst_unused:UNUSED_PAD src0_sel:BYTE_0 src1_sel:DWORD
	v_lshlrev_b16_e32 v71, 8, v71
	v_or_b32_sdwa v78, v78, v69 dst_sel:DWORD dst_unused:UNUSED_PAD src0_sel:WORD_0 src1_sel:DWORD
	v_lshlrev_b16_e32 v70, 8, v70
	s_waitcnt vmcnt(1)
	v_xor_b32_e32 v10, v10, v74
	v_and_b32_e32 v69, 0xffffff00, v10
	v_sub_i16 v69, v69, v72 clamp
	v_lshlrev_b16_e32 v72, 8, v10
	v_and_b32_e32 v69, 0xffffff00, v69
	v_sub_i16 v71, v72, v71 clamp
	v_or_b32_sdwa v69, v71, v69 dst_sel:DWORD dst_unused:UNUSED_PAD src0_sel:BYTE_1 src1_sel:DWORD
	v_and_b32_sdwa v71, v10, s33 dst_sel:DWORD dst_unused:UNUSED_PAD src0_sel:WORD_1 src1_sel:DWORD
	v_sub_i16 v71, v71, v73 clamp
	v_lshlrev_b16_sdwa v10, v52, v10 dst_sel:DWORD dst_unused:UNUSED_PAD src0_sel:DWORD src1_sel:WORD_1
	v_and_b32_e32 v71, 0xffffff00, v71
	v_sub_i16 v10, v10, v70 clamp
	v_or_b32_sdwa v10, v10, v71 dst_sel:WORD_1 dst_unused:UNUSED_PAD src0_sel:BYTE_1 src1_sel:DWORD
	v_lshlrev_b16_e32 v71, 8, v76
	v_or_b32_sdwa v69, v69, v10 dst_sel:DWORD dst_unused:UNUSED_PAD src0_sel:WORD_0 src1_sel:DWORD
	s_waitcnt vmcnt(0)
	v_xor_b32_e32 v10, v11, v78
	v_and_b32_e32 v11, 0xffffff00, v10
	v_sub_i16 v11, v11, v77 clamp
	v_lshlrev_b16_e32 v70, 8, v10
	v_and_b32_e32 v11, 0xffffff00, v11
	v_sub_i16 v70, v70, v71 clamp
	v_or_b32_sdwa v11, v70, v11 dst_sel:DWORD dst_unused:UNUSED_PAD src0_sel:BYTE_1 src1_sel:DWORD
	v_and_b32_sdwa v70, v10, s33 dst_sel:DWORD dst_unused:UNUSED_PAD src0_sel:WORD_1 src1_sel:DWORD
	v_sub_i16 v70, v70, v79 clamp
	v_lshlrev_b16_sdwa v10, v52, v10 dst_sel:DWORD dst_unused:UNUSED_PAD src0_sel:DWORD src1_sel:WORD_1
	v_lshlrev_b16_e32 v71, 8, v75
	v_and_b32_e32 v70, 0xffffff00, v70
	v_sub_i16 v10, v10, v71 clamp
	v_or_b32_sdwa v10, v10, v70 dst_sel:WORD_1 dst_unused:UNUSED_PAD src0_sel:BYTE_1 src1_sel:DWORD
	v_dot4c_i32_i8_e32 v9, v69, v3
	v_or_b32_sdwa v70, v11, v10 dst_sel:DWORD dst_unused:UNUSED_PAD src0_sel:WORD_0 src1_sel:DWORD
	global_load_ushort v10, v[34:35], off
	global_load_ushort v74, v[36:37], off offset:2
	global_load_ushort v72, v[36:37], off offset:4
	;; [unrolled: 1-line block ×4, first 2 shown]
	global_load_ubyte v79, v[38:39], off offset:66
	global_load_ushort v73, v[40:41], off offset:74
	global_load_ushort v80, v[40:41], off offset:76
	v_dot4c_i32_i8_e32 v9, v70, v8
	s_waitcnt vmcnt(6)
	v_and_b32_sdwa v35, s30, v74 dst_sel:DWORD dst_unused:UNUSED_PAD src0_sel:DWORD src1_sel:BYTE_0
	s_waitcnt vmcnt(2)
	v_lshlrev_b32_e32 v34, 8, v79
	v_and_b32_e32 v34, 0x100, v34
	v_or_b32_e32 v35, v34, v35
	v_lshlrev_b32_e32 v35, 2, v35
	global_load_dword v37, v35, s[20:21]
	v_lshlrev_b32_e32 v35, 7, v79
	v_and_b32_e32 v35, 0x100, v35
	v_or_b32_sdwa v36, v35, v74 dst_sel:DWORD dst_unused:UNUSED_PAD src0_sel:DWORD src1_sel:BYTE_1
	v_lshlrev_b32_e32 v36, 2, v36
	global_load_dword v36, v36, s[20:21]
	s_waitcnt vmcnt(3)
	v_and_b32_sdwa v38, s30, v73 dst_sel:DWORD dst_unused:UNUSED_PAD src0_sel:DWORD src1_sel:BYTE_0
	v_bfe_u32 v74, v38, 3, 1
	v_lshlrev_b32_e32 v39, 5, v38
	v_lshrrev_b32_e32 v41, 1, v38
	v_cmp_ne_u16_e32 vcc, 0, v74
	v_and_b32_e32 v40, 1, v73
	v_bfe_i32 v41, v41, 0, 1
	v_lshrrev_b16_e32 v39, 7, v39
	v_cndmask_b32_e64 v74, 0, -1, vcc
	v_sub_u16_e32 v40, 0, v40
	v_bfe_i32 v39, v39, 0, 1
	v_lshlrev_b16_e32 v41, 8, v41
	v_lshlrev_b16_e32 v74, 8, v74
	v_or_b32_sdwa v75, v40, v41 dst_sel:DWORD dst_unused:UNUSED_PAD src0_sel:BYTE_0 src1_sel:DWORD
	v_or_b32_sdwa v76, v39, v74 dst_sel:WORD_1 dst_unused:UNUSED_PAD src0_sel:BYTE_0 src1_sel:DWORD
	v_bfe_i32 v77, v38, 4, 1
	v_or_b32_sdwa v75, v75, v76 dst_sel:DWORD dst_unused:UNUSED_PAD src0_sel:WORD_0 src1_sel:DWORD
	v_lshlrev_b32_e32 v76, 1, v38
	v_lshrrev_b32_e32 v78, 5, v38
	v_lshrrev_b32_e32 v38, 7, v38
	v_cmp_ne_u16_e32 vcc, 0, v38
	v_bfe_i32 v78, v78, 0, 1
	v_lshrrev_b16_e32 v76, 7, v76
	v_cndmask_b32_e64 v38, 0, -1, vcc
	v_lshlrev_b16_e32 v40, 8, v40
	v_bfe_i32 v76, v76, 0, 1
	v_lshlrev_b16_e32 v78, 8, v78
	v_lshlrev_b16_e32 v38, 8, v38
	v_or_b32_sdwa v83, v77, v78 dst_sel:DWORD dst_unused:UNUSED_PAD src0_sel:BYTE_0 src1_sel:DWORD
	v_or_b32_sdwa v84, v76, v38 dst_sel:WORD_1 dst_unused:UNUSED_PAD src0_sel:BYTE_0 src1_sel:DWORD
	v_lshlrev_b16_e32 v39, 8, v39
	v_or_b32_sdwa v83, v83, v84 dst_sel:DWORD dst_unused:UNUSED_PAD src0_sel:WORD_0 src1_sel:DWORD
	v_and_or_b32 v34, v61, s29, v34
	v_lshlrev_b32_e32 v34, 2, v34
	s_waitcnt vmcnt(1)
	v_xor_b32_e32 v37, v37, v75
	v_and_b32_e32 v75, 0xffffff00, v37
	v_sub_i16 v41, v75, v41 clamp
	v_lshlrev_b16_e32 v75, 8, v37
	v_and_b32_e32 v41, 0xffffff00, v41
	v_sub_i16 v40, v75, v40 clamp
	v_or_b32_sdwa v40, v40, v41 dst_sel:DWORD dst_unused:UNUSED_PAD src0_sel:BYTE_1 src1_sel:DWORD
	v_and_b32_sdwa v41, v37, s33 dst_sel:DWORD dst_unused:UNUSED_PAD src0_sel:WORD_1 src1_sel:DWORD
	v_sub_i16 v41, v41, v74 clamp
	v_lshlrev_b16_sdwa v37, v52, v37 dst_sel:DWORD dst_unused:UNUSED_PAD src0_sel:DWORD src1_sel:WORD_1
	v_and_b32_e32 v41, 0xffffff00, v41
	v_sub_i16 v37, v37, v39 clamp
	s_waitcnt vmcnt(0)
	v_xor_b32_e32 v36, v36, v83
	v_or_b32_sdwa v37, v37, v41 dst_sel:WORD_1 dst_unused:UNUSED_PAD src0_sel:BYTE_1 src1_sel:DWORD
	v_and_b32_e32 v39, 0xffffff00, v36
	v_or_b32_sdwa v37, v40, v37 dst_sel:DWORD dst_unused:UNUSED_PAD src0_sel:WORD_0 src1_sel:DWORD
	v_sub_i16 v39, v39, v78 clamp
	v_lshlrev_b16_e32 v40, 8, v36
	v_lshlrev_b16_e32 v41, 8, v77
	v_and_b32_e32 v39, 0xffffff00, v39
	v_sub_i16 v40, v40, v41 clamp
	v_or_b32_sdwa v39, v40, v39 dst_sel:DWORD dst_unused:UNUSED_PAD src0_sel:BYTE_1 src1_sel:DWORD
	v_and_b32_sdwa v40, v36, s33 dst_sel:DWORD dst_unused:UNUSED_PAD src0_sel:WORD_1 src1_sel:DWORD
	v_sub_i16 v38, v40, v38 clamp
	v_lshlrev_b16_sdwa v36, v52, v36 dst_sel:DWORD dst_unused:UNUSED_PAD src0_sel:DWORD src1_sel:WORD_1
	v_lshlrev_b16_e32 v40, 8, v76
	v_and_b32_e32 v38, 0xffffff00, v38
	v_sub_i16 v36, v36, v40 clamp
	v_or_b32_sdwa v36, v36, v38 dst_sel:WORD_1 dst_unused:UNUSED_PAD src0_sel:BYTE_1 src1_sel:DWORD
	v_mov_b32_e32 v83, 0
	v_or_b32_sdwa v36, v39, v36 dst_sel:DWORD dst_unused:UNUSED_PAD src0_sel:WORD_0 src1_sel:DWORD
	v_dot4c_i32_i8_e32 v83, v37, v5
	v_dot4c_i32_i8_e32 v83, v36, v6
	v_lshlrev_b32_e32 v6, 6, v79
	v_and_b32_sdwa v5, s30, v72 dst_sel:DWORD dst_unused:UNUSED_PAD src0_sel:DWORD src1_sel:BYTE_0
	v_and_b32_e32 v78, 0x100, v6
	v_or_b32_e32 v5, v78, v5
	v_lshlrev_b32_e32 v5, 2, v5
	global_load_dword v5, v5, s[20:21]
	v_lshlrev_b32_e32 v6, 5, v79
	v_and_b32_e32 v77, 0x100, v6
	v_or_b32_sdwa v6, v77, v72 dst_sel:DWORD dst_unused:UNUSED_PAD src0_sel:DWORD src1_sel:BYTE_1
	v_lshlrev_b32_e32 v6, 2, v6
	global_load_dword v6, v6, s[20:21]
	v_lshrrev_b16_e32 v36, 8, v73
	v_bfe_u32 v40, v36, 3, 1
	v_lshlrev_b32_e32 v37, 5, v36
	v_lshrrev_b32_e32 v39, 1, v36
	v_cmp_ne_u16_e32 vcc, 0, v40
	v_lshlrev_b16_e32 v38, 7, v73
	v_bfe_i32 v39, v39, 0, 1
	v_lshrrev_b16_e32 v37, 7, v37
	v_cndmask_b32_e64 v40, 0, -1, vcc
	v_ashrrev_i16_e32 v38, 15, v38
	v_bfe_i32 v37, v37, 0, 1
	v_lshlrev_b16_e32 v39, 8, v39
	v_lshlrev_b16_e32 v40, 8, v40
	v_or_b32_sdwa v41, v38, v39 dst_sel:DWORD dst_unused:UNUSED_PAD src0_sel:BYTE_0 src1_sel:DWORD
	v_or_b32_sdwa v72, v37, v40 dst_sel:WORD_1 dst_unused:UNUSED_PAD src0_sel:BYTE_0 src1_sel:DWORD
	v_bfe_i32 v73, v36, 4, 1
	v_or_b32_sdwa v41, v41, v72 dst_sel:DWORD dst_unused:UNUSED_PAD src0_sel:WORD_0 src1_sel:DWORD
	v_lshlrev_b32_e32 v72, 1, v36
	v_lshrrev_b32_e32 v74, 5, v36
	v_lshrrev_b32_e32 v36, 7, v36
	v_cmp_ne_u16_e32 vcc, 0, v36
	v_bfe_i32 v74, v74, 0, 1
	v_lshrrev_b16_e32 v72, 7, v72
	v_cndmask_b32_e64 v36, 0, -1, vcc
	v_lshlrev_b16_e32 v38, 8, v38
	v_bfe_i32 v72, v72, 0, 1
	v_lshlrev_b16_e32 v74, 8, v74
	v_lshlrev_b16_e32 v36, 8, v36
	v_or_b32_sdwa v75, v73, v74 dst_sel:DWORD dst_unused:UNUSED_PAD src0_sel:BYTE_0 src1_sel:DWORD
	v_or_b32_sdwa v76, v72, v36 dst_sel:WORD_1 dst_unused:UNUSED_PAD src0_sel:BYTE_0 src1_sel:DWORD
	v_lshlrev_b16_e32 v37, 8, v37
	v_or_b32_sdwa v75, v75, v76 dst_sel:DWORD dst_unused:UNUSED_PAD src0_sel:WORD_0 src1_sel:DWORD
	s_waitcnt vmcnt(1)
	v_xor_b32_e32 v5, v5, v41
	v_and_b32_e32 v41, 0xffffff00, v5
	v_sub_i16 v39, v41, v39 clamp
	v_lshlrev_b16_e32 v41, 8, v5
	v_and_b32_e32 v39, 0xffffff00, v39
	v_sub_i16 v38, v41, v38 clamp
	v_or_b32_sdwa v38, v38, v39 dst_sel:DWORD dst_unused:UNUSED_PAD src0_sel:BYTE_1 src1_sel:DWORD
	v_and_b32_sdwa v39, v5, s33 dst_sel:DWORD dst_unused:UNUSED_PAD src0_sel:WORD_1 src1_sel:DWORD
	v_sub_i16 v39, v39, v40 clamp
	v_lshlrev_b16_sdwa v5, v52, v5 dst_sel:DWORD dst_unused:UNUSED_PAD src0_sel:DWORD src1_sel:WORD_1
	v_and_b32_e32 v39, 0xffffff00, v39
	v_sub_i16 v5, v5, v37 clamp
	s_waitcnt vmcnt(0)
	v_xor_b32_e32 v6, v6, v75
	v_or_b32_sdwa v5, v5, v39 dst_sel:WORD_1 dst_unused:UNUSED_PAD src0_sel:BYTE_1 src1_sel:DWORD
	v_and_b32_e32 v37, 0xffffff00, v6
	v_or_b32_sdwa v5, v38, v5 dst_sel:DWORD dst_unused:UNUSED_PAD src0_sel:WORD_0 src1_sel:DWORD
	v_sub_i16 v37, v37, v74 clamp
	v_lshlrev_b16_e32 v38, 8, v6
	v_lshlrev_b16_e32 v39, 8, v73
	v_and_b32_e32 v37, 0xffffff00, v37
	v_sub_i16 v38, v38, v39 clamp
	v_or_b32_sdwa v37, v38, v37 dst_sel:DWORD dst_unused:UNUSED_PAD src0_sel:BYTE_1 src1_sel:DWORD
	v_and_b32_sdwa v38, v6, s33 dst_sel:DWORD dst_unused:UNUSED_PAD src0_sel:WORD_1 src1_sel:DWORD
	v_sub_i16 v36, v38, v36 clamp
	v_lshlrev_b16_sdwa v6, v52, v6 dst_sel:DWORD dst_unused:UNUSED_PAD src0_sel:DWORD src1_sel:WORD_1
	v_lshlrev_b16_e32 v38, 8, v72
	v_and_b32_e32 v36, 0xffffff00, v36
	v_sub_i16 v6, v6, v38 clamp
	v_or_b32_sdwa v6, v6, v36 dst_sel:WORD_1 dst_unused:UNUSED_PAD src0_sel:BYTE_1 src1_sel:DWORD
	v_dot4c_i32_i8_e32 v83, v5, v7
	v_or_b32_sdwa v6, v37, v6 dst_sel:DWORD dst_unused:UNUSED_PAD src0_sel:WORD_0 src1_sel:DWORD
	v_lshlrev_b32_e32 v5, 4, v79
	v_dot4c_i32_i8_e32 v83, v6, v0
	v_and_b32_sdwa v0, s30, v71 dst_sel:DWORD dst_unused:UNUSED_PAD src0_sel:DWORD src1_sel:BYTE_0
	v_and_b32_e32 v75, 0x100, v5
	v_or_b32_e32 v0, v75, v0
	v_lshlrev_b32_e32 v0, 2, v0
	global_load_dword v0, v0, s[20:21]
	v_lshlrev_b32_e32 v5, 3, v79
	v_and_b32_e32 v76, 0x100, v5
	v_or_b32_sdwa v5, v76, v71 dst_sel:DWORD dst_unused:UNUSED_PAD src0_sel:DWORD src1_sel:BYTE_1
	v_lshlrev_b32_e32 v5, 2, v5
	global_load_dword v5, v5, s[20:21]
	v_and_b32_sdwa v6, s30, v80 dst_sel:DWORD dst_unused:UNUSED_PAD src0_sel:DWORD src1_sel:BYTE_0
	v_and_b32_e32 v36, 1, v80
	v_bfe_u32 v37, v6, 3, 1
	v_lshlrev_b32_e32 v7, 5, v6
	v_sub_u16_e32 v71, 0, v36
	v_lshrrev_b32_e32 v36, 1, v6
	v_cmp_ne_u16_e32 vcc, 0, v37
	v_bfe_i32 v36, v36, 0, 1
	v_lshrrev_b16_e32 v7, 7, v7
	v_cndmask_b32_e64 v37, 0, -1, vcc
	v_bfe_i32 v7, v7, 0, 1
	v_lshlrev_b16_e32 v38, 8, v36
	v_lshlrev_b16_e32 v36, 8, v37
	v_or_b32_sdwa v39, v71, v38 dst_sel:DWORD dst_unused:UNUSED_PAD src0_sel:BYTE_0 src1_sel:DWORD
	v_or_b32_sdwa v37, v7, v36 dst_sel:WORD_1 dst_unused:UNUSED_PAD src0_sel:BYTE_0 src1_sel:DWORD
	v_bfe_i32 v73, v6, 4, 1
	v_or_b32_sdwa v40, v39, v37 dst_sel:DWORD dst_unused:UNUSED_PAD src0_sel:WORD_0 src1_sel:DWORD
	v_lshlrev_b32_e32 v37, 1, v6
	v_lshrrev_b32_e32 v39, 5, v6
	v_lshrrev_b32_e32 v6, 7, v6
	v_cmp_ne_u16_e32 vcc, 0, v6
	v_bfe_i32 v39, v39, 0, 1
	v_lshrrev_b16_e32 v37, 7, v37
	v_cndmask_b32_e64 v6, 0, -1, vcc
	v_bfe_i32 v74, v37, 0, 1
	v_lshlrev_b16_e32 v39, 8, v39
	v_lshlrev_b16_e32 v37, 8, v6
	v_or_b32_sdwa v41, v73, v39 dst_sel:DWORD dst_unused:UNUSED_PAD src0_sel:BYTE_0 src1_sel:DWORD
	v_or_b32_sdwa v6, v74, v37 dst_sel:WORD_1 dst_unused:UNUSED_PAD src0_sel:BYTE_0 src1_sel:DWORD
	v_lshlrev_b16_e32 v71, 8, v71
	v_or_b32_sdwa v41, v41, v6 dst_sel:DWORD dst_unused:UNUSED_PAD src0_sel:WORD_0 src1_sel:DWORD
	v_lshlrev_b16_e32 v73, 8, v73
	v_lshlrev_b16_e32 v74, 8, v74
	s_waitcnt vmcnt(1)
	v_xor_b32_e32 v0, v0, v40
	v_and_b32_e32 v6, 0xffffff00, v0
	v_sub_i16 v6, v6, v38 clamp
	v_lshlrev_b16_e32 v72, 8, v0
	v_and_b32_e32 v6, 0xffffff00, v6
	v_sub_i16 v72, v72, v71 clamp
	v_or_b32_sdwa v6, v72, v6 dst_sel:DWORD dst_unused:UNUSED_PAD src0_sel:BYTE_1 src1_sel:DWORD
	v_and_b32_sdwa v72, v0, s33 dst_sel:DWORD dst_unused:UNUSED_PAD src0_sel:WORD_1 src1_sel:DWORD
	v_sub_i16 v72, v72, v36 clamp
	v_and_b32_e32 v84, 0xffffff00, v72
	v_lshlrev_b16_sdwa v0, v52, v0 dst_sel:DWORD dst_unused:UNUSED_PAD src0_sel:DWORD src1_sel:WORD_1
	v_lshlrev_b16_e32 v72, 8, v7
	v_sub_i16 v0, v0, v72 clamp
	v_or_b32_sdwa v0, v0, v84 dst_sel:WORD_1 dst_unused:UNUSED_PAD src0_sel:BYTE_1 src1_sel:DWORD
	s_waitcnt vmcnt(0)
	v_xor_b32_e32 v5, v5, v41
	v_or_b32_sdwa v0, v6, v0 dst_sel:DWORD dst_unused:UNUSED_PAD src0_sel:WORD_0 src1_sel:DWORD
	v_and_b32_e32 v6, 0xffffff00, v5
	v_dot4c_i32_i8_e32 v83, v0, v1
	v_and_b32_sdwa v0, s30, v11 dst_sel:DWORD dst_unused:UNUSED_PAD src0_sel:DWORD src1_sel:BYTE_0
	v_lshlrev_b32_e32 v1, 2, v79
	v_sub_i16 v6, v6, v39 clamp
	v_lshlrev_b16_e32 v7, 8, v5
	v_and_or_b32 v0, v1, s31, v0
	v_and_b32_e32 v6, 0xffffff00, v6
	v_sub_i16 v7, v7, v73 clamp
	v_lshlrev_b32_e32 v0, 2, v0
	v_or_b32_sdwa v6, v7, v6 dst_sel:DWORD dst_unused:UNUSED_PAD src0_sel:BYTE_1 src1_sel:DWORD
	v_and_b32_sdwa v7, v5, s33 dst_sel:DWORD dst_unused:UNUSED_PAD src0_sel:WORD_1 src1_sel:DWORD
	global_load_dword v0, v0, s[20:21]
	v_sub_i16 v7, v7, v37 clamp
	v_lshlrev_b16_sdwa v5, v52, v5 dst_sel:DWORD dst_unused:UNUSED_PAD src0_sel:DWORD src1_sel:WORD_1
	v_and_b32_e32 v7, 0xffffff00, v7
	v_sub_i16 v5, v5, v74 clamp
	v_or_b32_sdwa v5, v5, v7 dst_sel:WORD_1 dst_unused:UNUSED_PAD src0_sel:BYTE_1 src1_sel:DWORD
	v_lshrrev_b16_e32 v1, 8, v11
	v_or_b32_sdwa v5, v6, v5 dst_sel:DWORD dst_unused:UNUSED_PAD src0_sel:WORD_0 src1_sel:DWORD
	v_dot4c_i32_i8_e32 v83, v5, v2
	v_lshlrev_b32_e32 v2, 1, v79
	v_and_or_b32 v1, v2, s31, v1
	v_lshlrev_b32_e32 v1, 2, v1
	global_load_dword v1, v1, s[20:21]
	v_lshrrev_b16_e32 v2, 8, v80
	v_bfe_u32 v11, v2, 3, 1
	v_lshlrev_b32_e32 v5, 5, v2
	v_lshrrev_b32_e32 v7, 1, v2
	v_cmp_ne_u16_e32 vcc, 0, v11
	v_lshlrev_b16_e32 v6, 7, v80
	v_bfe_i32 v7, v7, 0, 1
	v_lshrrev_b16_e32 v5, 7, v5
	v_cndmask_b32_e64 v11, 0, -1, vcc
	v_ashrrev_i16_e32 v6, 15, v6
	v_bfe_i32 v5, v5, 0, 1
	v_lshlrev_b16_e32 v7, 8, v7
	v_lshlrev_b16_e32 v11, 8, v11
	v_or_b32_sdwa v79, v6, v7 dst_sel:DWORD dst_unused:UNUSED_PAD src0_sel:BYTE_0 src1_sel:DWORD
	v_or_b32_sdwa v80, v5, v11 dst_sel:WORD_1 dst_unused:UNUSED_PAD src0_sel:BYTE_0 src1_sel:DWORD
	v_bfe_i32 v84, v2, 4, 1
	v_or_b32_sdwa v79, v79, v80 dst_sel:DWORD dst_unused:UNUSED_PAD src0_sel:WORD_0 src1_sel:DWORD
	v_lshlrev_b32_e32 v80, 1, v2
	v_lshrrev_b32_e32 v85, 5, v2
	v_lshrrev_b32_e32 v2, 7, v2
	v_lshlrev_b16_e32 v6, 8, v6
	v_cmp_ne_u16_e32 vcc, 0, v2
	v_bfe_i32 v85, v85, 0, 1
	v_lshrrev_b16_e32 v80, 7, v80
	v_cndmask_b32_e64 v2, 0, -1, vcc
	v_bfe_i32 v80, v80, 0, 1
	v_lshlrev_b16_e32 v85, 8, v85
	v_lshlrev_b16_e32 v2, 8, v2
	;; [unrolled: 1-line block ×3, first 2 shown]
	v_or_b32_sdwa v86, v84, v85 dst_sel:DWORD dst_unused:UNUSED_PAD src0_sel:BYTE_0 src1_sel:DWORD
	v_or_b32_sdwa v87, v80, v2 dst_sel:WORD_1 dst_unused:UNUSED_PAD src0_sel:BYTE_0 src1_sel:DWORD
	s_waitcnt vmcnt(1)
	v_xor_b32_e32 v0, v0, v79
	v_and_b32_e32 v79, 0xffffff00, v0
	v_sub_i16 v7, v79, v7 clamp
	v_lshlrev_b16_e32 v79, 8, v0
	v_and_b32_e32 v7, 0xffffff00, v7
	v_sub_i16 v6, v79, v6 clamp
	v_or_b32_sdwa v6, v6, v7 dst_sel:DWORD dst_unused:UNUSED_PAD src0_sel:BYTE_1 src1_sel:DWORD
	v_and_b32_sdwa v7, v0, s33 dst_sel:DWORD dst_unused:UNUSED_PAD src0_sel:WORD_1 src1_sel:DWORD
	v_sub_i16 v7, v7, v11 clamp
	v_lshlrev_b16_sdwa v0, v52, v0 dst_sel:DWORD dst_unused:UNUSED_PAD src0_sel:DWORD src1_sel:WORD_1
	v_and_b32_e32 v7, 0xffffff00, v7
	v_sub_i16 v0, v0, v5 clamp
	v_or_b32_sdwa v86, v86, v87 dst_sel:DWORD dst_unused:UNUSED_PAD src0_sel:WORD_0 src1_sel:DWORD
	v_or_b32_sdwa v0, v0, v7 dst_sel:WORD_1 dst_unused:UNUSED_PAD src0_sel:BYTE_1 src1_sel:DWORD
	s_nop 0
	v_or_b32_sdwa v79, v6, v0 dst_sel:DWORD dst_unused:UNUSED_PAD src0_sel:WORD_0 src1_sel:DWORD
	s_waitcnt vmcnt(0)
	v_xor_b32_e32 v0, v1, v86
	v_and_b32_e32 v1, 0xffffff00, v0
	v_sub_i16 v1, v1, v85 clamp
	v_lshlrev_b16_e32 v5, 8, v0
	v_lshlrev_b16_e32 v6, 8, v84
	v_and_b32_e32 v1, 0xffffff00, v1
	v_sub_i16 v5, v5, v6 clamp
	v_or_b32_sdwa v1, v5, v1 dst_sel:DWORD dst_unused:UNUSED_PAD src0_sel:BYTE_1 src1_sel:DWORD
	v_and_b32_sdwa v5, v0, s33 dst_sel:DWORD dst_unused:UNUSED_PAD src0_sel:WORD_1 src1_sel:DWORD
	v_sub_i16 v2, v5, v2 clamp
	v_lshlrev_b16_sdwa v0, v52, v0 dst_sel:DWORD dst_unused:UNUSED_PAD src0_sel:DWORD src1_sel:WORD_1
	v_lshlrev_b16_e32 v5, 8, v80
	v_and_b32_e32 v2, 0xffffff00, v2
	v_sub_i16 v0, v0, v5 clamp
	v_or_b32_sdwa v0, v0, v2 dst_sel:WORD_1 dst_unused:UNUSED_PAD src0_sel:BYTE_1 src1_sel:DWORD
	v_dot4c_i32_i8_e32 v83, v79, v3
	v_or_b32_sdwa v80, v1, v0 dst_sel:DWORD dst_unused:UNUSED_PAD src0_sel:WORD_0 src1_sel:DWORD
	global_load_ushort v0, v[30:31], off
	global_load_ubyte v1, v[28:29], off offset:106
	global_load_ubyte v2, v[32:33], off offset:106
	v_dot4c_i32_i8_e32 v83, v80, v8
	v_cvt_f32_f16_e32 v28, v10
	v_and_or_b32 v33, v62, s29, v81
	v_lshlrev_b32_e32 v33, 2, v33
	v_and_b32_e32 v81, 1, v57
	s_waitcnt vmcnt(2)
	v_cvt_f32_f16_e32 v29, v0
	s_waitcnt vmcnt(1)
	v_lshrrev_b32_e32 v1, v18, v1
	s_waitcnt vmcnt(0)
	v_lshrrev_b32_e32 v2, v13, v2
	v_lshlrev_b32_e32 v1, 1, v1
	v_lshlrev_b32_e32 v2, 1, v2
	v_and_or_b32 v30, v2, 30, 1
	v_and_or_b32 v31, v1, 30, 1
	v_mul_lo_u32 v1, v9, v31
	v_mul_lo_u32 v2, v83, v30
	v_cvt_f32_i32_e32 v7, v2
	v_cvt_f32_i32_e32 v6, v1
	scratch_load_dwordx4 v[0:3], off, off offset:48
	v_pk_mul_f32 v[4:5], v[4:5], v[28:29] op_sel_hi:[0,1]
	s_waitcnt vmcnt(0)
	v_pk_fma_f32 v[0:1], v[4:5], v[6:7], v[0:1]
	v_add_u32_e32 v4, s15, v51
	v_mad_u64_u32 v[4:5], s[34:35], v4, 36, s[24:25]
	v_mad_u64_u32 v[84:85], s[34:35], v14, 36, v[4:5]
	global_load_dword v32, v[84:85], off offset:32
	global_load_dwordx4 v[4:7], v[84:85], off offset:16
	global_load_dwordx4 v[8:11], v[84:85], off
	global_load_dword v83, v33, s[20:21]
	v_sub_u16_e32 v84, 0, v81
	global_load_dword v42, v42, s[20:21]
	v_or_b32_sdwa v33, v82, v62 dst_sel:DWORD dst_unused:UNUSED_PAD src0_sel:DWORD src1_sel:BYTE_1
	v_lshlrev_b32_e32 v33, 2, v33
	global_load_dword v33, v33, s[20:21]
	v_lshlrev_b32_sdwa v62, v53, v57 dst_sel:DWORD dst_unused:UNUSED_PAD src0_sel:DWORD src1_sel:BYTE_0
	global_load_dword v43, v43, s[20:21]
	v_bfe_u32 v81, v57, 1, 7
	v_lshrrev_b16_e32 v62, 7, v62
	v_bfe_i32 v82, v81, 0, 1
	v_bfe_i32 v81, v62, 0, 1
	v_bfe_u32 v62, v57, 3, 1
	v_cmp_ne_u16_e32 vcc, 0, v62
	v_lshlrev_b16_e32 v86, 8, v82
	v_or_b32_sdwa v82, v84, v86 dst_sel:DWORD dst_unused:UNUSED_PAD src0_sel:BYTE_0 src1_sel:DWORD
	v_cndmask_b32_e64 v62, 0, -1, vcc
	v_lshlrev_b16_e32 v85, 8, v62
	v_or_b32_sdwa v62, v81, v85 dst_sel:WORD_1 dst_unused:UNUSED_PAD src0_sel:BYTE_0 src1_sel:DWORD
	v_cmp_ne_u16_e32 vcc, 0, v89
	v_or_b32_sdwa v87, v82, v62 dst_sel:DWORD dst_unused:UNUSED_PAD src0_sel:WORD_0 src1_sel:DWORD
	v_lshlrev_b32_sdwa v62, v54, v57 dst_sel:DWORD dst_unused:UNUSED_PAD src0_sel:DWORD src1_sel:BYTE_0
	v_lshrrev_b16_e32 v62, 7, v62
	v_cndmask_b32_e64 v89, 0, -1, vcc
	v_lshlrev_b16_e32 v84, 8, v84
	v_bfe_i32 v82, v57, 4, 1
	v_bfe_i32 v62, v62, 0, 1
	v_lshlrev_b16_e32 v89, 8, v89
	v_or_b32_sdwa v90, v82, v88 dst_sel:DWORD dst_unused:UNUSED_PAD src0_sel:BYTE_0 src1_sel:DWORD
	v_or_b32_sdwa v91, v62, v89 dst_sel:WORD_1 dst_unused:UNUSED_PAD src0_sel:BYTE_0 src1_sel:DWORD
	v_lshlrev_b16_e32 v81, 8, v81
	v_or_b32_sdwa v90, v90, v91 dst_sel:DWORD dst_unused:UNUSED_PAD src0_sel:WORD_0 src1_sel:DWORD
	v_lshlrev_b16_e32 v82, 8, v82
	v_lshlrev_b16_e32 v62, 8, v62
	;; [unrolled: 1-line block ×3, first 2 shown]
	v_ashrrev_i16_e32 v57, 15, v57
	v_add_u32_e32 v51, 64, v51
	s_waitcnt vmcnt(4)
	v_cvt_f32_f16_e32 v8, v8
	s_waitcnt vmcnt(3)
	v_xor_b32_e32 v83, v83, v87
	v_and_b32_e32 v87, 0xffffff00, v83
	v_sub_i16 v86, v87, v86 clamp
	v_lshlrev_b16_e32 v87, 8, v83
	v_and_b32_e32 v86, 0xffffff00, v86
	v_sub_i16 v84, v87, v84 clamp
	v_or_b32_sdwa v84, v84, v86 dst_sel:DWORD dst_unused:UNUSED_PAD src0_sel:BYTE_1 src1_sel:DWORD
	v_and_b32_sdwa v86, v83, s33 dst_sel:DWORD dst_unused:UNUSED_PAD src0_sel:WORD_1 src1_sel:DWORD
	v_sub_i16 v85, v86, v85 clamp
	v_lshlrev_b16_sdwa v83, v52, v83 dst_sel:DWORD dst_unused:UNUSED_PAD src0_sel:DWORD src1_sel:WORD_1
	v_and_b32_e32 v85, 0xffffff00, v85
	v_sub_i16 v81, v83, v81 clamp
	s_waitcnt vmcnt(1)
	v_xor_b32_e32 v33, v33, v90
	v_or_b32_sdwa v81, v81, v85 dst_sel:WORD_1 dst_unused:UNUSED_PAD src0_sel:BYTE_1 src1_sel:DWORD
	v_and_b32_e32 v83, 0xffffff00, v33
	v_or_b32_sdwa v81, v84, v81 dst_sel:DWORD dst_unused:UNUSED_PAD src0_sel:WORD_0 src1_sel:DWORD
	v_sub_i16 v83, v83, v88 clamp
	v_lshlrev_b16_e32 v84, 8, v33
	v_and_b32_e32 v83, 0xffffff00, v83
	v_sub_i16 v82, v84, v82 clamp
	v_or_b32_sdwa v82, v82, v83 dst_sel:DWORD dst_unused:UNUSED_PAD src0_sel:BYTE_1 src1_sel:DWORD
	v_and_b32_sdwa v83, v33, s33 dst_sel:DWORD dst_unused:UNUSED_PAD src0_sel:WORD_1 src1_sel:DWORD
	v_sub_i16 v83, v83, v89 clamp
	v_lshlrev_b16_sdwa v33, v52, v33 dst_sel:DWORD dst_unused:UNUSED_PAD src0_sel:DWORD src1_sel:WORD_1
	v_and_b32_e32 v83, 0xffffff00, v83
	v_sub_i16 v33, v33, v62 clamp
	v_or_b32_sdwa v33, v33, v83 dst_sel:WORD_1 dst_unused:UNUSED_PAD src0_sel:BYTE_1 src1_sel:DWORD
	v_bfe_i32 v85, v56, 4, 1
	v_or_b32_sdwa v62, v82, v33 dst_sel:DWORD dst_unused:UNUSED_PAD src0_sel:WORD_0 src1_sel:DWORD
	v_mov_b32_e32 v33, 0
	v_dot4c_i32_i8_e32 v33, v81, v9
	v_bfe_u32 v82, v56, 3, 1
	v_dot4c_i32_i8_e32 v33, v62, v10
	v_lshlrev_b32_e32 v62, 5, v56
	v_lshrrev_b32_e32 v81, 1, v56
	v_cmp_ne_u16_e32 vcc, 0, v82
	v_bfe_i32 v81, v81, 0, 1
	v_lshrrev_b16_e32 v62, 7, v62
	v_cndmask_b32_e64 v82, 0, -1, vcc
	v_bfe_i32 v62, v62, 0, 1
	v_lshlrev_b16_e32 v81, 8, v81
	v_lshlrev_b16_e32 v82, 8, v82
	v_or_b32_sdwa v83, v57, v81 dst_sel:DWORD dst_unused:UNUSED_PAD src0_sel:BYTE_0 src1_sel:DWORD
	v_or_b32_sdwa v84, v62, v82 dst_sel:WORD_1 dst_unused:UNUSED_PAD src0_sel:BYTE_0 src1_sel:DWORD
	v_lshlrev_b16_e32 v57, 8, v57
	v_or_b32_sdwa v83, v83, v84 dst_sel:DWORD dst_unused:UNUSED_PAD src0_sel:WORD_0 src1_sel:DWORD
	v_xor_b32_e32 v42, v42, v83
	v_and_b32_e32 v83, 0xffffff00, v42
	v_sub_i16 v81, v83, v81 clamp
	v_lshlrev_b16_e32 v83, 8, v42
	v_and_b32_e32 v81, 0xffffff00, v81
	v_sub_i16 v57, v83, v57 clamp
	v_or_b32_sdwa v57, v57, v81 dst_sel:DWORD dst_unused:UNUSED_PAD src0_sel:BYTE_1 src1_sel:DWORD
	v_and_b32_sdwa v81, v42, s33 dst_sel:DWORD dst_unused:UNUSED_PAD src0_sel:WORD_1 src1_sel:DWORD
	v_sub_i16 v81, v81, v82 clamp
	v_lshlrev_b16_sdwa v42, v52, v42 dst_sel:DWORD dst_unused:UNUSED_PAD src0_sel:DWORD src1_sel:WORD_1
	v_lshlrev_b16_e32 v62, 8, v62
	v_and_b32_e32 v81, 0xffffff00, v81
	v_sub_i16 v42, v42, v62 clamp
	v_or_b32_sdwa v42, v42, v81 dst_sel:WORD_1 dst_unused:UNUSED_PAD src0_sel:BYTE_1 src1_sel:DWORD
	v_lshlrev_b32_e32 v84, 1, v56
	v_or_b32_sdwa v42, v57, v42 dst_sel:DWORD dst_unused:UNUSED_PAD src0_sel:WORD_0 src1_sel:DWORD
	v_dot4c_i32_i8_e32 v33, v42, v11
	v_and_or_b32 v42, v55, s29, v44
	v_lshlrev_b32_e32 v42, 2, v42
	global_load_dword v42, v42, s[20:21]
	v_lshrrev_b32_e32 v86, 5, v56
	v_lshrrev_b32_e32 v56, 7, v56
	v_cmp_ne_u16_e32 vcc, 0, v56
	v_bfe_i32 v86, v86, 0, 1
	v_lshrrev_b16_e32 v84, 7, v84
	v_cndmask_b32_e64 v56, 0, -1, vcc
	v_bfe_i32 v84, v84, 0, 1
	v_lshlrev_b16_e32 v86, 8, v86
	v_lshlrev_b16_e32 v56, 8, v56
	v_or_b32_sdwa v87, v85, v86 dst_sel:DWORD dst_unused:UNUSED_PAD src0_sel:BYTE_0 src1_sel:DWORD
	v_or_b32_sdwa v88, v84, v56 dst_sel:WORD_1 dst_unused:UNUSED_PAD src0_sel:BYTE_0 src1_sel:DWORD
	v_lshlrev_b16_e32 v81, 8, v85
	v_or_b32_sdwa v87, v87, v88 dst_sel:DWORD dst_unused:UNUSED_PAD src0_sel:WORD_0 src1_sel:DWORD
	s_waitcnt vmcnt(1)
	v_xor_b32_e32 v43, v43, v87
	v_and_b32_e32 v57, 0xffffff00, v43
	v_sub_i16 v57, v57, v86 clamp
	v_lshlrev_b16_e32 v62, 8, v43
	v_and_b32_e32 v57, 0xffffff00, v57
	v_sub_i16 v62, v62, v81 clamp
	v_or_b32_sdwa v57, v62, v57 dst_sel:DWORD dst_unused:UNUSED_PAD src0_sel:BYTE_1 src1_sel:DWORD
	v_and_b32_sdwa v62, v43, s33 dst_sel:DWORD dst_unused:UNUSED_PAD src0_sel:WORD_1 src1_sel:DWORD
	v_sub_i16 v56, v62, v56 clamp
	v_lshlrev_b16_sdwa v43, v52, v43 dst_sel:DWORD dst_unused:UNUSED_PAD src0_sel:DWORD src1_sel:WORD_1
	v_lshlrev_b16_e32 v62, 8, v84
	v_and_b32_e32 v56, 0xffffff00, v56
	v_sub_i16 v43, v43, v62 clamp
	v_or_b32_sdwa v43, v43, v56 dst_sel:WORD_1 dst_unused:UNUSED_PAD src0_sel:BYTE_1 src1_sel:DWORD
	s_waitcnt vmcnt(0)
	v_xor_b32_e32 v42, v42, v63
	v_or_b32_sdwa v43, v57, v43 dst_sel:DWORD dst_unused:UNUSED_PAD src0_sel:WORD_0 src1_sel:DWORD
	v_dot4c_i32_i8_e32 v33, v43, v4
	v_or_b32_sdwa v43, v45, v55 dst_sel:DWORD dst_unused:UNUSED_PAD src0_sel:DWORD src1_sel:BYTE_1
	v_lshlrev_b32_e32 v43, 2, v43
	global_load_dword v43, v43, s[20:21]
	v_and_b32_e32 v44, 0xffffff00, v42
	v_sub_i16 v44, v44, v48 clamp
	v_lshlrev_b16_e32 v45, 8, v42
	v_and_b32_e32 v44, 0xffffff00, v44
	v_sub_i16 v45, v45, v65 clamp
	v_or_b32_sdwa v44, v45, v44 dst_sel:DWORD dst_unused:UNUSED_PAD src0_sel:BYTE_1 src1_sel:DWORD
	v_and_b32_sdwa v45, v42, s33 dst_sel:DWORD dst_unused:UNUSED_PAD src0_sel:WORD_1 src1_sel:DWORD
	v_sub_i16 v45, v45, v46 clamp
	v_lshlrev_b16_sdwa v42, v52, v42 dst_sel:DWORD dst_unused:UNUSED_PAD src0_sel:DWORD src1_sel:WORD_1
	v_and_b32_e32 v45, 0xffffff00, v45
	v_sub_i16 v42, v42, v66 clamp
	v_or_b32_sdwa v42, v42, v45 dst_sel:WORD_1 dst_unused:UNUSED_PAD src0_sel:BYTE_1 src1_sel:DWORD
	v_bfe_u32 v55, v60, 7, 1
	v_or_b32_sdwa v42, v44, v42 dst_sel:DWORD dst_unused:UNUSED_PAD src0_sel:WORD_0 src1_sel:DWORD
	v_dot4c_i32_i8_e32 v33, v42, v5
	global_load_dword v42, v34, s[20:21]
	v_or_b32_sdwa v34, v35, v61 dst_sel:DWORD dst_unused:UNUSED_PAD src0_sel:DWORD src1_sel:BYTE_1
	v_lshlrev_b32_e32 v34, 2, v34
	global_load_dword v34, v34, s[20:21]
	v_lshlrev_b32_sdwa v35, v53, v60 dst_sel:DWORD dst_unused:UNUSED_PAD src0_sel:DWORD src1_sel:BYTE_0
	v_lshrrev_b16_e32 v35, 7, v35
	v_bfe_i32 v35, v35, 0, 1
	v_bfe_i32 v48, v60, 4, 1
	s_waitcnt vmcnt(2)
	v_xor_b32_e32 v43, v43, v64
	v_and_b32_e32 v44, 0xffffff00, v43
	v_sub_i16 v44, v44, v49 clamp
	v_lshlrev_b16_e32 v45, 8, v43
	v_and_b32_e32 v44, 0xffffff00, v44
	v_sub_i16 v45, v45, v67 clamp
	v_or_b32_sdwa v44, v45, v44 dst_sel:DWORD dst_unused:UNUSED_PAD src0_sel:BYTE_1 src1_sel:DWORD
	v_and_b32_sdwa v45, v43, s33 dst_sel:DWORD dst_unused:UNUSED_PAD src0_sel:WORD_1 src1_sel:DWORD
	v_sub_i16 v45, v45, v47 clamp
	v_lshlrev_b16_sdwa v43, v52, v43 dst_sel:DWORD dst_unused:UNUSED_PAD src0_sel:DWORD src1_sel:WORD_1
	v_and_b32_e32 v45, 0xffffff00, v45
	v_sub_i16 v43, v43, v68 clamp
	v_or_b32_sdwa v43, v43, v45 dst_sel:WORD_1 dst_unused:UNUSED_PAD src0_sel:BYTE_1 src1_sel:DWORD
	v_bfe_u32 v45, v60, 3, 1
	v_or_b32_sdwa v43, v44, v43 dst_sel:DWORD dst_unused:UNUSED_PAD src0_sel:WORD_0 src1_sel:DWORD
	v_bfe_u32 v44, v60, 1, 7
	v_cmp_ne_u16_e32 vcc, 0, v45
	v_dot4c_i32_i8_e32 v33, v43, v6
	v_and_b32_e32 v43, 1, v60
	v_bfe_i32 v44, v44, 0, 1
	v_cndmask_b32_e64 v45, 0, -1, vcc
	v_sub_u16_e32 v43, 0, v43
	v_lshlrev_b16_e32 v44, 8, v44
	v_lshlrev_b16_e32 v45, 8, v45
	v_or_b32_sdwa v46, v43, v44 dst_sel:DWORD dst_unused:UNUSED_PAD src0_sel:BYTE_0 src1_sel:DWORD
	v_or_b32_sdwa v47, v35, v45 dst_sel:WORD_1 dst_unused:UNUSED_PAD src0_sel:BYTE_0 src1_sel:DWORD
	v_bfe_u32 v49, v60, 5, 3
	v_or_b32_sdwa v46, v46, v47 dst_sel:DWORD dst_unused:UNUSED_PAD src0_sel:WORD_0 src1_sel:DWORD
	s_waitcnt vmcnt(1)
	v_xor_b32_e32 v42, v42, v46
	v_lshlrev_b32_sdwa v47, v54, v60 dst_sel:DWORD dst_unused:UNUSED_PAD src0_sel:DWORD src1_sel:BYTE_0
	v_cmp_ne_u16_e32 vcc, 0, v55
	v_and_b32_e32 v46, 0xffffff00, v42
	v_bfe_i32 v49, v49, 0, 1
	v_lshrrev_b16_e32 v47, 7, v47
	v_cndmask_b32_e64 v55, 0, -1, vcc
	v_sub_i16 v44, v46, v44 clamp
	v_lshlrev_b16_e32 v46, 8, v42
	v_lshlrev_b16_e32 v43, 8, v43
	v_bfe_i32 v47, v47, 0, 1
	v_lshlrev_b16_e32 v49, 8, v49
	v_lshlrev_b16_e32 v55, 8, v55
	v_and_b32_e32 v44, 0xffffff00, v44
	v_sub_i16 v43, v46, v43 clamp
	v_or_b32_sdwa v56, v48, v49 dst_sel:DWORD dst_unused:UNUSED_PAD src0_sel:BYTE_0 src1_sel:DWORD
	v_or_b32_sdwa v57, v47, v55 dst_sel:WORD_1 dst_unused:UNUSED_PAD src0_sel:BYTE_0 src1_sel:DWORD
	v_or_b32_sdwa v43, v43, v44 dst_sel:DWORD dst_unused:UNUSED_PAD src0_sel:BYTE_1 src1_sel:DWORD
	v_and_b32_sdwa v44, v42, s33 dst_sel:DWORD dst_unused:UNUSED_PAD src0_sel:WORD_1 src1_sel:DWORD
	v_or_b32_sdwa v56, v56, v57 dst_sel:DWORD dst_unused:UNUSED_PAD src0_sel:WORD_0 src1_sel:DWORD
	v_sub_i16 v44, v44, v45 clamp
	v_lshlrev_b16_sdwa v42, v52, v42 dst_sel:DWORD dst_unused:UNUSED_PAD src0_sel:DWORD src1_sel:WORD_1
	v_lshlrev_b16_e32 v35, 8, v35
	v_and_b32_e32 v44, 0xffffff00, v44
	v_sub_i16 v35, v42, v35 clamp
	s_waitcnt vmcnt(0)
	v_xor_b32_e32 v34, v34, v56
	v_or_b32_sdwa v35, v35, v44 dst_sel:WORD_1 dst_unused:UNUSED_PAD src0_sel:BYTE_1 src1_sel:DWORD
	v_and_b32_e32 v42, 0xffffff00, v34
	v_or_b32_sdwa v35, v43, v35 dst_sel:DWORD dst_unused:UNUSED_PAD src0_sel:WORD_0 src1_sel:DWORD
	v_sub_i16 v42, v42, v49 clamp
	v_lshlrev_b16_e32 v43, 8, v34
	v_lshlrev_b16_e32 v44, 8, v48
	v_and_b32_e32 v42, 0xffffff00, v42
	v_sub_i16 v43, v43, v44 clamp
	v_or_b32_sdwa v42, v43, v42 dst_sel:DWORD dst_unused:UNUSED_PAD src0_sel:BYTE_1 src1_sel:DWORD
	v_and_b32_sdwa v43, v34, s33 dst_sel:DWORD dst_unused:UNUSED_PAD src0_sel:WORD_1 src1_sel:DWORD
	v_sub_i16 v43, v43, v55 clamp
	v_lshlrev_b16_sdwa v34, v52, v34 dst_sel:DWORD dst_unused:UNUSED_PAD src0_sel:DWORD src1_sel:WORD_1
	v_lshlrev_b16_e32 v44, 8, v47
	v_and_b32_e32 v43, 0xffffff00, v43
	v_sub_i16 v34, v34, v44 clamp
	v_or_b32_sdwa v34, v34, v43 dst_sel:WORD_1 dst_unused:UNUSED_PAD src0_sel:BYTE_1 src1_sel:DWORD
	v_lshlrev_b16_e32 v43, 7, v60
	v_or_b32_sdwa v42, v42, v34 dst_sel:DWORD dst_unused:UNUSED_PAD src0_sel:WORD_0 src1_sel:DWORD
	v_mov_b32_e32 v34, 0
	v_dot4c_i32_i8_e32 v34, v35, v9
	v_and_or_b32 v9, v59, s29, v78
	v_lshlrev_b32_e32 v9, 2, v9
	global_load_dword v9, v9, s[20:21]
	v_dot4c_i32_i8_e32 v34, v42, v10
	v_or_b32_sdwa v10, v77, v59 dst_sel:DWORD dst_unused:UNUSED_PAD src0_sel:DWORD src1_sel:BYTE_1
	v_lshlrev_b32_e32 v10, 2, v10
	global_load_dword v10, v10, s[20:21]
	v_lshrrev_b16_e32 v35, 8, v60
	v_bfe_u32 v45, v35, 3, 1
	v_lshlrev_b32_e32 v42, 5, v35
	v_lshrrev_b32_e32 v44, 1, v35
	v_cmp_ne_u16_e32 vcc, 0, v45
	v_bfe_i32 v44, v44, 0, 1
	v_lshrrev_b16_e32 v42, 7, v42
	v_cndmask_b32_e64 v45, 0, -1, vcc
	v_ashrrev_i16_e32 v43, 15, v43
	v_bfe_i32 v42, v42, 0, 1
	v_lshlrev_b16_e32 v44, 8, v44
	v_lshlrev_b16_e32 v45, 8, v45
	v_or_b32_sdwa v46, v43, v44 dst_sel:DWORD dst_unused:UNUSED_PAD src0_sel:BYTE_0 src1_sel:DWORD
	v_or_b32_sdwa v47, v42, v45 dst_sel:WORD_1 dst_unused:UNUSED_PAD src0_sel:BYTE_0 src1_sel:DWORD
	v_bfe_i32 v48, v35, 4, 1
	v_or_b32_sdwa v46, v46, v47 dst_sel:DWORD dst_unused:UNUSED_PAD src0_sel:WORD_0 src1_sel:DWORD
	v_lshlrev_b32_e32 v47, 1, v35
	v_lshrrev_b32_e32 v49, 5, v35
	v_lshrrev_b32_e32 v35, 7, v35
	v_cmp_ne_u16_e32 vcc, 0, v35
	v_bfe_i32 v49, v49, 0, 1
	v_lshrrev_b16_e32 v47, 7, v47
	v_cndmask_b32_e64 v35, 0, -1, vcc
	v_lshlrev_b16_e32 v43, 8, v43
	v_bfe_i32 v47, v47, 0, 1
	v_lshlrev_b16_e32 v49, 8, v49
	v_lshlrev_b16_e32 v35, 8, v35
	v_or_b32_sdwa v55, v48, v49 dst_sel:DWORD dst_unused:UNUSED_PAD src0_sel:BYTE_0 src1_sel:DWORD
	v_or_b32_sdwa v56, v47, v35 dst_sel:WORD_1 dst_unused:UNUSED_PAD src0_sel:BYTE_0 src1_sel:DWORD
	v_lshlrev_b16_e32 v42, 8, v42
	v_or_b32_sdwa v55, v55, v56 dst_sel:DWORD dst_unused:UNUSED_PAD src0_sel:WORD_0 src1_sel:DWORD
	v_dot4c_i32_i8_e32 v33, v69, v7
	v_dot4c_i32_i8_e32 v33, v70, v32
	v_cmp_le_u32_e32 vcc, s5, v50
	s_or_b64 s[12:13], vcc, s[12:13]
	s_waitcnt vmcnt(1)
	v_xor_b32_e32 v9, v9, v46
	v_and_b32_e32 v46, 0xffffff00, v9
	v_sub_i16 v44, v46, v44 clamp
	v_lshlrev_b16_e32 v46, 8, v9
	v_and_b32_e32 v44, 0xffffff00, v44
	v_sub_i16 v43, v46, v43 clamp
	v_or_b32_sdwa v43, v43, v44 dst_sel:DWORD dst_unused:UNUSED_PAD src0_sel:BYTE_1 src1_sel:DWORD
	v_and_b32_sdwa v44, v9, s33 dst_sel:DWORD dst_unused:UNUSED_PAD src0_sel:WORD_1 src1_sel:DWORD
	v_sub_i16 v44, v44, v45 clamp
	v_lshlrev_b16_sdwa v9, v52, v9 dst_sel:DWORD dst_unused:UNUSED_PAD src0_sel:DWORD src1_sel:WORD_1
	v_and_b32_e32 v44, 0xffffff00, v44
	v_sub_i16 v9, v9, v42 clamp
	s_waitcnt vmcnt(0)
	v_xor_b32_e32 v10, v10, v55
	v_or_b32_sdwa v9, v9, v44 dst_sel:WORD_1 dst_unused:UNUSED_PAD src0_sel:BYTE_1 src1_sel:DWORD
	v_and_b32_e32 v42, 0xffffff00, v10
	v_or_b32_sdwa v9, v43, v9 dst_sel:DWORD dst_unused:UNUSED_PAD src0_sel:WORD_0 src1_sel:DWORD
	v_sub_i16 v42, v42, v49 clamp
	v_lshlrev_b16_e32 v43, 8, v10
	v_lshlrev_b16_e32 v44, 8, v48
	v_and_b32_e32 v42, 0xffffff00, v42
	v_sub_i16 v43, v43, v44 clamp
	v_or_b32_sdwa v42, v43, v42 dst_sel:DWORD dst_unused:UNUSED_PAD src0_sel:BYTE_1 src1_sel:DWORD
	v_and_b32_sdwa v43, v10, s33 dst_sel:DWORD dst_unused:UNUSED_PAD src0_sel:WORD_1 src1_sel:DWORD
	v_sub_i16 v35, v43, v35 clamp
	v_lshlrev_b16_sdwa v10, v52, v10 dst_sel:DWORD dst_unused:UNUSED_PAD src0_sel:DWORD src1_sel:WORD_1
	v_lshlrev_b16_e32 v43, 8, v47
	v_and_b32_e32 v35, 0xffffff00, v35
	v_sub_i16 v10, v10, v43 clamp
	v_or_b32_sdwa v10, v10, v35 dst_sel:WORD_1 dst_unused:UNUSED_PAD src0_sel:BYTE_1 src1_sel:DWORD
	v_dot4c_i32_i8_e32 v34, v9, v11
	v_or_b32_sdwa v10, v42, v10 dst_sel:DWORD dst_unused:UNUSED_PAD src0_sel:WORD_0 src1_sel:DWORD
	v_dot4c_i32_i8_e32 v34, v10, v4
	v_and_or_b32 v4, v58, s29, v75
	v_lshlrev_b32_e32 v4, 2, v4
	global_load_dword v4, v4, s[20:21]
	v_or_b32_sdwa v9, v76, v58 dst_sel:DWORD dst_unused:UNUSED_PAD src0_sel:DWORD src1_sel:BYTE_1
	v_lshlrev_b32_e32 v9, 2, v9
	global_load_dword v9, v9, s[20:21]
	s_waitcnt vmcnt(1)
	v_xor_b32_e32 v4, v4, v40
	v_and_b32_e32 v10, 0xffffff00, v4
	v_sub_i16 v10, v10, v38 clamp
	v_lshlrev_b16_e32 v11, 8, v4
	v_and_b32_e32 v10, 0xffffff00, v10
	v_sub_i16 v11, v11, v71 clamp
	v_or_b32_sdwa v10, v11, v10 dst_sel:DWORD dst_unused:UNUSED_PAD src0_sel:BYTE_1 src1_sel:DWORD
	v_and_b32_sdwa v11, v4, s33 dst_sel:DWORD dst_unused:UNUSED_PAD src0_sel:WORD_1 src1_sel:DWORD
	v_sub_i16 v11, v11, v36 clamp
	v_lshlrev_b16_sdwa v4, v52, v4 dst_sel:DWORD dst_unused:UNUSED_PAD src0_sel:DWORD src1_sel:WORD_1
	v_and_b32_e32 v11, 0xffffff00, v11
	v_sub_i16 v4, v4, v72 clamp
	v_or_b32_sdwa v4, v4, v11 dst_sel:WORD_1 dst_unused:UNUSED_PAD src0_sel:BYTE_1 src1_sel:DWORD
	s_waitcnt vmcnt(0)
	v_xor_b32_e32 v9, v9, v41
	v_or_b32_sdwa v4, v10, v4 dst_sel:DWORD dst_unused:UNUSED_PAD src0_sel:WORD_0 src1_sel:DWORD
	v_and_b32_e32 v10, 0xffffff00, v9
	v_sub_i16 v10, v10, v39 clamp
	v_lshlrev_b16_e32 v11, 8, v9
	v_and_b32_e32 v10, 0xffffff00, v10
	v_sub_i16 v11, v11, v73 clamp
	v_or_b32_sdwa v10, v11, v10 dst_sel:DWORD dst_unused:UNUSED_PAD src0_sel:BYTE_1 src1_sel:DWORD
	v_and_b32_sdwa v11, v9, s33 dst_sel:DWORD dst_unused:UNUSED_PAD src0_sel:WORD_1 src1_sel:DWORD
	v_sub_i16 v11, v11, v37 clamp
	v_lshlrev_b16_sdwa v9, v52, v9 dst_sel:DWORD dst_unused:UNUSED_PAD src0_sel:DWORD src1_sel:WORD_1
	v_and_b32_e32 v11, 0xffffff00, v11
	v_sub_i16 v9, v9, v74 clamp
	v_or_b32_sdwa v9, v9, v11 dst_sel:WORD_1 dst_unused:UNUSED_PAD src0_sel:BYTE_1 src1_sel:DWORD
	v_dot4c_i32_i8_e32 v34, v4, v5
	v_or_b32_sdwa v9, v10, v9 dst_sel:DWORD dst_unused:UNUSED_PAD src0_sel:WORD_0 src1_sel:DWORD
	v_dot4c_i32_i8_e32 v34, v9, v6
	v_dot4c_i32_i8_e32 v34, v79, v7
	;; [unrolled: 1-line block ×3, first 2 shown]
	v_mul_lo_u32 v4, v33, v31
	v_cvt_f32_i32_e32 v4, v4
	v_pk_mul_f32 v[6:7], v[8:9], v[28:29] op_sel_hi:[0,1]
	v_mul_lo_u32 v5, v34, v30
	v_cvt_f32_i32_e32 v5, v5
	v_pk_fma_f32 v[2:3], v[6:7], v[4:5], v[2:3]
	scratch_store_dwordx4 off, v[0:3], off offset:48
	s_andn2_b64 exec, exec, s[12:13]
	s_cbranch_execnz .LBB263_2
.LBB263_3:
	s_or_b64 exec, exec, s[6:7]
	s_mov_b32 s5, 0
	v_cmp_eq_u32_e32 vcc, 0, v19
	s_waitcnt lgkmcnt(0)
	; wave barrier
	s_and_saveexec_b64 s[6:7], vcc
	s_cbranch_execz .LBB263_20
; %bb.4:
	scratch_load_dwordx2 v[2:3], off, off
	v_mbcnt_lo_u32_b32 v0, -1, 0
	v_mbcnt_hi_u32_b32 v13, -1, v0
	s_load_dwordx2 s[6:7], s[0:1], 0x38
	s_mul_i32 s0, s3, s14
	v_or_b32_e32 v1, s2, v12
	v_and_b32_e32 v0, 64, v13
	s_mul_i32 s4, s4, s18
	s_add_i32 s2, s0, s2
	v_cmp_gt_u32_e64 s[0:1], s10, v1
	v_xor_b32_e32 v1, 32, v13
	v_add_u32_e32 v14, 64, v0
	s_add_i32 s4, s2, s4
	v_cmp_lt_i32_e64 s[2:3], v1, v14
	v_cmp_gt_u32_e32 vcc, 2, v12
	s_nop 0
	v_cndmask_b32_e64 v0, v13, v1, s[2:3]
	v_lshlrev_b32_e32 v0, 2, v0
	v_xor_b32_e32 v1, 16, v13
	v_cmp_lt_i32_e64 s[2:3], v1, v14
	s_waitcnt vmcnt(0)
	ds_bpermute_b32 v4, v0, v2
	ds_bpermute_b32 v5, v0, v3
	v_cndmask_b32_e64 v1, v13, v1, s[2:3]
	v_lshlrev_b32_e32 v1, 2, v1
	s_waitcnt lgkmcnt(0)
	v_pk_add_f32 v[4:5], v[2:3], v[4:5]
	ds_bpermute_b32 v6, v1, v4
	ds_bpermute_b32 v7, v1, v5
	v_xor_b32_e32 v2, 8, v13
	v_cmp_lt_i32_e64 s[2:3], v2, v14
	v_xor_b32_e32 v3, 4, v13
	s_waitcnt lgkmcnt(0)
	v_pk_add_f32 v[4:5], v[4:5], v[6:7]
	v_cndmask_b32_e64 v2, v13, v2, s[2:3]
	v_lshlrev_b32_e32 v2, 2, v2
	ds_bpermute_b32 v6, v2, v4
	ds_bpermute_b32 v7, v2, v5
	v_cmp_lt_i32_e64 s[2:3], v3, v14
	s_waitcnt lgkmcnt(0)
	v_pk_add_f32 v[6:7], v[4:5], v[6:7]
	v_cndmask_b32_e64 v3, v13, v3, s[2:3]
	v_lshlrev_b32_e32 v3, 2, v3
	ds_bpermute_b32 v8, v3, v6
	ds_bpermute_b32 v9, v3, v7
	v_xor_b32_e32 v4, 2, v13
	v_cmp_lt_i32_e64 s[2:3], v4, v14
	v_xor_b32_e32 v5, 1, v13
	s_waitcnt lgkmcnt(0)
	v_pk_add_f32 v[8:9], v[6:7], v[8:9]
	v_cndmask_b32_e64 v4, v13, v4, s[2:3]
	v_lshlrev_b32_e32 v4, 2, v4
	ds_bpermute_b32 v10, v4, v8
	ds_bpermute_b32 v11, v4, v9
	v_cmp_lt_i32_e64 s[2:3], v5, v14
	s_waitcnt lgkmcnt(0)
	v_pk_add_f32 v[8:9], v[8:9], v[10:11]
	v_cndmask_b32_e64 v5, v13, v5, s[2:3]
	v_lshlrev_b32_e32 v6, 2, v5
	ds_bpermute_b32 v10, v6, v8
	ds_bpermute_b32 v11, v6, v9
	s_lshl_b64 s[2:3], s[4:5], 2
	s_add_u32 s2, s6, s2
	s_addc_u32 s3, s7, s3
	s_and_b64 s[0:1], vcc, s[0:1]
	s_waitcnt lgkmcnt(0)
	v_pk_add_f32 v[8:9], v[8:9], v[10:11]
	v_lshlrev_b32_e32 v5, 2, v12
	scratch_store_dwordx2 off, v[8:9], off
	s_and_saveexec_b64 s[4:5], s[0:1]
	s_cbranch_execz .LBB263_6
; %bb.5:
	scratch_load_dword v7, v5, off
	s_waitcnt vmcnt(0)
	global_store_dword v5, v7, s[2:3]
.LBB263_6:
	s_or_b64 exec, exec, s[4:5]
	scratch_load_dwordx2 v[8:9], off, off offset:8
	s_waitcnt vmcnt(0)
	ds_bpermute_b32 v10, v0, v8
	ds_bpermute_b32 v11, v0, v9
	s_waitcnt lgkmcnt(0)
	v_pk_add_f32 v[8:9], v[8:9], v[10:11]
	ds_bpermute_b32 v10, v1, v8
	ds_bpermute_b32 v11, v1, v9
	s_waitcnt lgkmcnt(0)
	v_pk_add_f32 v[8:9], v[8:9], v[10:11]
	;; [unrolled: 4-line block ×6, first 2 shown]
	scratch_store_dwordx2 off, v[8:9], off offset:8
	s_and_saveexec_b64 s[4:5], s[0:1]
	s_cbranch_execz .LBB263_8
; %bb.7:
	scratch_load_dword v7, v5, off offset:8
	v_add_u32_e32 v8, s10, v12
	v_mov_b32_e32 v9, 0
	v_lshl_add_u64 v[8:9], v[8:9], 2, s[2:3]
	s_waitcnt vmcnt(0)
	global_store_dword v[8:9], v7, off
.LBB263_8:
	s_or_b64 exec, exec, s[4:5]
	scratch_load_dwordx2 v[8:9], off, off offset:16
	s_waitcnt vmcnt(0)
	ds_bpermute_b32 v10, v0, v8
	ds_bpermute_b32 v11, v0, v9
	s_waitcnt lgkmcnt(0)
	v_pk_add_f32 v[8:9], v[8:9], v[10:11]
	ds_bpermute_b32 v10, v1, v8
	ds_bpermute_b32 v11, v1, v9
	s_waitcnt lgkmcnt(0)
	v_pk_add_f32 v[8:9], v[8:9], v[10:11]
	;; [unrolled: 4-line block ×6, first 2 shown]
	scratch_store_dwordx2 off, v[8:9], off offset:16
	s_and_saveexec_b64 s[4:5], s[0:1]
	s_cbranch_execz .LBB263_10
; %bb.9:
	scratch_load_dword v7, v5, off offset:16
	v_lshl_or_b32 v8, s10, 1, v12
	v_mov_b32_e32 v9, 0
	v_lshl_add_u64 v[8:9], v[8:9], 2, s[2:3]
	s_waitcnt vmcnt(0)
	global_store_dword v[8:9], v7, off
.LBB263_10:
	s_or_b64 exec, exec, s[4:5]
	scratch_load_dwordx2 v[8:9], off, off offset:24
	s_waitcnt vmcnt(0)
	ds_bpermute_b32 v10, v0, v8
	ds_bpermute_b32 v11, v0, v9
	s_waitcnt lgkmcnt(0)
	v_pk_add_f32 v[8:9], v[8:9], v[10:11]
	ds_bpermute_b32 v10, v1, v8
	ds_bpermute_b32 v11, v1, v9
	s_waitcnt lgkmcnt(0)
	v_pk_add_f32 v[8:9], v[8:9], v[10:11]
	;; [unrolled: 4-line block ×6, first 2 shown]
	scratch_store_dwordx2 off, v[8:9], off offset:24
	s_and_saveexec_b64 s[4:5], s[0:1]
	s_cbranch_execz .LBB263_12
; %bb.11:
	scratch_load_dword v7, v5, off offset:24
	v_mad_u64_u32 v[8:9], s[6:7], s10, 3, v[12:13]
	v_mov_b32_e32 v9, 0
	v_lshl_add_u64 v[8:9], v[8:9], 2, s[2:3]
	s_waitcnt vmcnt(0)
	global_store_dword v[8:9], v7, off
.LBB263_12:
	s_or_b64 exec, exec, s[4:5]
	scratch_load_dwordx2 v[8:9], off, off offset:32
	s_waitcnt vmcnt(0)
	ds_bpermute_b32 v10, v0, v8
	ds_bpermute_b32 v11, v0, v9
	s_waitcnt lgkmcnt(0)
	v_pk_add_f32 v[8:9], v[8:9], v[10:11]
	ds_bpermute_b32 v10, v1, v8
	ds_bpermute_b32 v11, v1, v9
	s_waitcnt lgkmcnt(0)
	v_pk_add_f32 v[8:9], v[8:9], v[10:11]
	;; [unrolled: 4-line block ×6, first 2 shown]
	scratch_store_dwordx2 off, v[8:9], off offset:32
	s_and_saveexec_b64 s[4:5], s[0:1]
	s_cbranch_execz .LBB263_14
; %bb.13:
	scratch_load_dword v7, v5, off offset:32
	v_lshl_or_b32 v8, s10, 2, v12
	v_mov_b32_e32 v9, 0
	v_lshl_add_u64 v[8:9], v[8:9], 2, s[2:3]
	s_waitcnt vmcnt(0)
	global_store_dword v[8:9], v7, off
.LBB263_14:
	s_or_b64 exec, exec, s[4:5]
	scratch_load_dwordx2 v[8:9], off, off offset:40
	s_waitcnt vmcnt(0)
	ds_bpermute_b32 v10, v0, v8
	ds_bpermute_b32 v11, v0, v9
	s_waitcnt lgkmcnt(0)
	v_pk_add_f32 v[8:9], v[8:9], v[10:11]
	ds_bpermute_b32 v10, v1, v8
	ds_bpermute_b32 v11, v1, v9
	s_waitcnt lgkmcnt(0)
	v_pk_add_f32 v[8:9], v[8:9], v[10:11]
	ds_bpermute_b32 v10, v2, v8
	ds_bpermute_b32 v11, v2, v9
	s_waitcnt lgkmcnt(0)
	v_pk_add_f32 v[8:9], v[8:9], v[10:11]
	ds_bpermute_b32 v10, v3, v8
	ds_bpermute_b32 v11, v3, v9
	s_waitcnt lgkmcnt(0)
	v_pk_add_f32 v[8:9], v[8:9], v[10:11]
	ds_bpermute_b32 v10, v4, v8
	ds_bpermute_b32 v11, v4, v9
	s_waitcnt lgkmcnt(0)
	v_pk_add_f32 v[8:9], v[8:9], v[10:11]
	ds_bpermute_b32 v10, v6, v8
	ds_bpermute_b32 v11, v6, v9
	s_waitcnt lgkmcnt(0)
	v_pk_add_f32 v[8:9], v[8:9], v[10:11]
	scratch_store_dwordx2 off, v[8:9], off offset:40
	s_and_saveexec_b64 s[4:5], s[0:1]
	s_cbranch_execz .LBB263_16
; %bb.15:
	scratch_load_dword v7, v5, off offset:40
	v_mad_u64_u32 v[8:9], s[6:7], s10, 5, v[12:13]
	v_mov_b32_e32 v9, 0
	v_lshl_add_u64 v[8:9], v[8:9], 2, s[2:3]
	s_waitcnt vmcnt(0)
	global_store_dword v[8:9], v7, off
.LBB263_16:
	s_or_b64 exec, exec, s[4:5]
	scratch_load_dwordx2 v[8:9], off, off offset:48
	s_waitcnt vmcnt(0)
	ds_bpermute_b32 v10, v0, v8
	ds_bpermute_b32 v11, v0, v9
	s_waitcnt lgkmcnt(0)
	v_pk_add_f32 v[8:9], v[8:9], v[10:11]
	ds_bpermute_b32 v10, v1, v8
	ds_bpermute_b32 v11, v1, v9
	s_waitcnt lgkmcnt(0)
	v_pk_add_f32 v[8:9], v[8:9], v[10:11]
	;; [unrolled: 4-line block ×6, first 2 shown]
	scratch_store_dwordx2 off, v[8:9], off offset:48
	s_and_saveexec_b64 s[4:5], s[0:1]
	s_cbranch_execz .LBB263_18
; %bb.17:
	scratch_load_dword v7, v5, off offset:48
	s_mul_i32 s6, s10, 6
	v_or_b32_e32 v8, s6, v12
	v_mov_b32_e32 v9, 0
	v_lshl_add_u64 v[8:9], v[8:9], 2, s[2:3]
	s_waitcnt vmcnt(0)
	global_store_dword v[8:9], v7, off
.LBB263_18:
	s_or_b64 exec, exec, s[4:5]
	scratch_load_dwordx2 v[8:9], off, off offset:56
	s_waitcnt vmcnt(0)
	ds_bpermute_b32 v10, v0, v8
	ds_bpermute_b32 v11, v0, v9
	s_waitcnt lgkmcnt(0)
	v_pk_add_f32 v[8:9], v[8:9], v[10:11]
	ds_bpermute_b32 v0, v1, v8
	ds_bpermute_b32 v1, v1, v9
	s_waitcnt lgkmcnt(0)
	v_pk_add_f32 v[0:1], v[8:9], v[0:1]
	ds_bpermute_b32 v8, v2, v0
	ds_bpermute_b32 v9, v2, v1
	s_waitcnt lgkmcnt(0)
	v_pk_add_f32 v[0:1], v[0:1], v[8:9]
	ds_bpermute_b32 v2, v3, v0
	ds_bpermute_b32 v3, v3, v1
	s_waitcnt lgkmcnt(0)
	v_pk_add_f32 v[0:1], v[0:1], v[2:3]
	ds_bpermute_b32 v2, v4, v0
	ds_bpermute_b32 v3, v4, v1
	s_waitcnt lgkmcnt(0)
	v_pk_add_f32 v[0:1], v[0:1], v[2:3]
	ds_bpermute_b32 v2, v6, v0
	ds_bpermute_b32 v3, v6, v1
	s_waitcnt lgkmcnt(0)
	v_pk_add_f32 v[0:1], v[0:1], v[2:3]
	scratch_store_dwordx2 off, v[0:1], off offset:56
	s_and_b64 exec, exec, s[0:1]
	s_cbranch_execz .LBB263_20
; %bb.19:
	scratch_load_dword v2, v5, off offset:56
	v_mad_u64_u32 v[0:1], s[0:1], s10, 7, v[12:13]
	v_mov_b32_e32 v1, 0
	v_lshl_add_u64 v[0:1], v[0:1], 2, s[2:3]
	s_waitcnt vmcnt(0)
	global_store_dword v[0:1], v2, off
.LBB263_20:
	s_endpgm
	.section	.rodata,"a",@progbits
	.p2align	6, 0x0
	.amdhsa_kernel _ZL13mul_mat_vec_qIL9ggml_type21ELi8ELb0ELb0EEvPKvS2_PKi31ggml_cuda_mm_fusion_args_devicePfj15HIP_vector_typeIjLj3EEjjjS8_jjjS8_jjjj
		.amdhsa_group_segment_fixed_size 0
		.amdhsa_private_segment_fixed_size 80
		.amdhsa_kernarg_size 144
		.amdhsa_user_sgpr_count 2
		.amdhsa_user_sgpr_dispatch_ptr 0
		.amdhsa_user_sgpr_queue_ptr 0
		.amdhsa_user_sgpr_kernarg_segment_ptr 1
		.amdhsa_user_sgpr_dispatch_id 0
		.amdhsa_user_sgpr_kernarg_preload_length 0
		.amdhsa_user_sgpr_kernarg_preload_offset 0
		.amdhsa_user_sgpr_private_segment_size 0
		.amdhsa_uses_dynamic_stack 0
		.amdhsa_enable_private_segment 1
		.amdhsa_system_sgpr_workgroup_id_x 1
		.amdhsa_system_sgpr_workgroup_id_y 1
		.amdhsa_system_sgpr_workgroup_id_z 1
		.amdhsa_system_sgpr_workgroup_info 0
		.amdhsa_system_vgpr_workitem_id 1
		.amdhsa_next_free_vgpr 107
		.amdhsa_next_free_sgpr 36
		.amdhsa_accum_offset 108
		.amdhsa_reserve_vcc 1
		.amdhsa_float_round_mode_32 0
		.amdhsa_float_round_mode_16_64 0
		.amdhsa_float_denorm_mode_32 3
		.amdhsa_float_denorm_mode_16_64 3
		.amdhsa_dx10_clamp 1
		.amdhsa_ieee_mode 1
		.amdhsa_fp16_overflow 0
		.amdhsa_tg_split 0
		.amdhsa_exception_fp_ieee_invalid_op 0
		.amdhsa_exception_fp_denorm_src 0
		.amdhsa_exception_fp_ieee_div_zero 0
		.amdhsa_exception_fp_ieee_overflow 0
		.amdhsa_exception_fp_ieee_underflow 0
		.amdhsa_exception_fp_ieee_inexact 0
		.amdhsa_exception_int_div_zero 0
	.end_amdhsa_kernel
	.section	.text._ZL13mul_mat_vec_qIL9ggml_type21ELi8ELb0ELb0EEvPKvS2_PKi31ggml_cuda_mm_fusion_args_devicePfj15HIP_vector_typeIjLj3EEjjjS8_jjjS8_jjjj,"axG",@progbits,_ZL13mul_mat_vec_qIL9ggml_type21ELi8ELb0ELb0EEvPKvS2_PKi31ggml_cuda_mm_fusion_args_devicePfj15HIP_vector_typeIjLj3EEjjjS8_jjjS8_jjjj,comdat
.Lfunc_end263:
	.size	_ZL13mul_mat_vec_qIL9ggml_type21ELi8ELb0ELb0EEvPKvS2_PKi31ggml_cuda_mm_fusion_args_devicePfj15HIP_vector_typeIjLj3EEjjjS8_jjjS8_jjjj, .Lfunc_end263-_ZL13mul_mat_vec_qIL9ggml_type21ELi8ELb0ELb0EEvPKvS2_PKi31ggml_cuda_mm_fusion_args_devicePfj15HIP_vector_typeIjLj3EEjjjS8_jjjS8_jjjj
                                        ; -- End function
	.section	.AMDGPU.csdata,"",@progbits
; Kernel info:
; codeLenInByte = 24980
; NumSgprs: 42
; NumVgprs: 107
; NumAgprs: 0
; TotalNumVgprs: 107
; ScratchSize: 80
; MemoryBound: 0
; FloatMode: 240
; IeeeMode: 1
; LDSByteSize: 0 bytes/workgroup (compile time only)
; SGPRBlocks: 5
; VGPRBlocks: 13
; NumSGPRsForWavesPerEU: 42
; NumVGPRsForWavesPerEU: 107
; AccumOffset: 108
; Occupancy: 4
; WaveLimiterHint : 0
; COMPUTE_PGM_RSRC2:SCRATCH_EN: 1
; COMPUTE_PGM_RSRC2:USER_SGPR: 2
; COMPUTE_PGM_RSRC2:TRAP_HANDLER: 0
; COMPUTE_PGM_RSRC2:TGID_X_EN: 1
; COMPUTE_PGM_RSRC2:TGID_Y_EN: 1
; COMPUTE_PGM_RSRC2:TGID_Z_EN: 1
; COMPUTE_PGM_RSRC2:TIDIG_COMP_CNT: 1
; COMPUTE_PGM_RSRC3_GFX90A:ACCUM_OFFSET: 26
; COMPUTE_PGM_RSRC3_GFX90A:TG_SPLIT: 0
	.text
	.p2alignl 6, 3212836864
	.fill 256, 4, 3212836864
	.type	_ZL11iq2xxs_grid,@object        ; @_ZL11iq2xxs_grid
	.section	.rodata,"a",@progbits
	.p2align	4, 0x0
_ZL11iq2xxs_grid:
	.quad	578721382704613384              ; 0x808080808080808
	.quad	578721382704613419              ; 0x80808080808082b
	;; [unrolled: 1-line block ×132, first 2 shown]
	.quad	1803700481349388313             ; 0x1908080808080819
	.quad	1803700481349392648             ; 0x1908080808081908
	;; [unrolled: 1-line block ×124, first 2 shown]
	.size	_ZL11iq2xxs_grid, 2048

	.type	_ZL10iq2xs_grid,@object         ; @_ZL10iq2xs_grid
	.p2align	4, 0x0
_ZL10iq2xs_grid:
	.quad	578721382704613384              ; 0x808080808080808
	.quad	578721382704613419              ; 0x80808080808082b
	;; [unrolled: 1-line block ×254, first 2 shown]
	.quad	1803700481349388313             ; 0x1908080808080819
	.quad	1803700481349392648             ; 0x1908080808081908
	;; [unrolled: 1-line block ×258, first 2 shown]
	.size	_ZL10iq2xs_grid, 4096

	.type	_ZL9iq2s_grid,@object           ; @_ZL9iq2s_grid
	.p2align	4, 0x0
_ZL9iq2s_grid:
	.quad	578721382704613384              ; 0x808080808080808
	.quad	578721382704613419              ; 0x80808080808082b
	;; [unrolled: 1-line block ×471, first 2 shown]
	.quad	1803700481349388313             ; 0x1908080808080819
	.quad	1803700481349392648             ; 0x1908080808081908
	;; [unrolled: 1-line block ×553, first 2 shown]
	.size	_ZL9iq2s_grid, 8192

	.type	_ZL11iq3xxs_grid,@object        ; @_ZL11iq3xxs_grid
	.p2align	4, 0x0
_ZL11iq3xxs_grid:
	.long	67372036                        ; 0x4040404
	.long	67372052                        ; 0x4040414
	;; [unrolled: 1-line block ×58, first 2 shown]
	.long	201589772                       ; 0xc04040c
	.long	201589788                       ; 0xc04041c
	;; [unrolled: 1-line block ×177, first 2 shown]
	.long	1040450588                      ; 0x3e04041c
	.long	1040450604                      ; 0x3e04042c
	;; [unrolled: 1-line block ×21, first 2 shown]
	.size	_ZL11iq3xxs_grid, 1024

	.type	_ZL13iq1s_grid_gpu,@object      ; @_ZL13iq1s_grid_gpu
	.p2align	4, 0x0
_ZL13iq1s_grid_gpu:
	.long	0                               ; 0x0
	.long	2                               ; 0x2
	.long	257                             ; 0x101
	.long	512                             ; 0x200
	;; [unrolled: 1-line block ×3, first 2 shown]
	.long	65537                           ; 0x10001
	.long	65793                           ; 0x10101
	.long	131072                          ; 0x20000
	.long	131074                          ; 0x20002
	;; [unrolled: 1-line block ×4, first 2 shown]
	.long	16777473                        ; 0x1000101
	.long	16842753                        ; 0x1010001
	;; [unrolled: 1-line block ×14, first 2 shown]
	.long	272                             ; 0x110
	.long	273                             ; 0x111
	.long	65553                           ; 0x10011
	.long	65808                           ; 0x10110
	;; [unrolled: 1-line block ×5, first 2 shown]
	.long	131345                          ; 0x20111
	.long	16777233                        ; 0x1000011
	.long	16777490                        ; 0x1000112
	;; [unrolled: 1-line block ×15, first 2 shown]
	.long	32                              ; 0x20
	.long	34                              ; 0x22
	.long	544                             ; 0x220
	.long	546                             ; 0x222
	.long	65825                           ; 0x10121
	.long	131104                          ; 0x20020
	.long	131106                          ; 0x20022
	;; [unrolled: 1-line block ×4, first 2 shown]
	.long	16777505                        ; 0x1000121
	.long	16842785                        ; 0x1010021
	;; [unrolled: 1-line block ×16, first 2 shown]
	.long	69633                           ; 0x11001
	.long	69888                           ; 0x11100
	;; [unrolled: 1-line block ×3, first 2 shown]
	.long	135425                          ; 0x21101
	.long	16781313                        ; 0x1001001
	.long	16781825                        ; 0x1001201
	;; [unrolled: 1-line block ×9, first 2 shown]
	.long	4113                            ; 0x1011
	.long	4368                            ; 0x1110
	;; [unrolled: 1-line block ×4, first 2 shown]
	.long	69905                           ; 0x11111
	.long	70160                           ; 0x11210
	;; [unrolled: 1-line block ×3, first 2 shown]
	.long	135697                          ; 0x21211
	.long	16781328                        ; 0x1001010
	.long	16781585                        ; 0x1001111
	;; [unrolled: 1-line block ×24, first 2 shown]
	.long	69920                           ; 0x11120
	.long	70177                           ; 0x11221
	.long	16781345                        ; 0x1001021
	.long	16781600                        ; 0x1001120
	.long	16846880                        ; 0x1011020
	.long	16846882                        ; 0x1011022
	.long	16847137                        ; 0x1011121
	.long	16847392                        ; 0x1011220
	.long	16912416                        ; 0x1021020
	.long	16912417                        ; 0x1021021
	.long	16912674                        ; 0x1021122
	.long	16912929                        ; 0x1021221
	.long	33558817                        ; 0x2001121
	.long	33624097                        ; 0x2011021
	.long	33624352                        ; 0x2011120
	.long	33624609                        ; 0x2011221
	.long	8192                            ; 0x2000
	.long	8194                            ; 0x2002
	;; [unrolled: 1-line block ×4, first 2 shown]
	.long	73985                           ; 0x12101
	.long	139264                          ; 0x22000
	.long	139266                          ; 0x22002
	;; [unrolled: 1-line block ×4, first 2 shown]
	.long	16785665                        ; 0x1002101
	.long	16850945                        ; 0x1012001
	;; [unrolled: 1-line block ×13, first 2 shown]
	.long	8465                            ; 0x2111
	.long	73745                           ; 0x12011
	.long	74000                           ; 0x12110
	;; [unrolled: 1-line block ×3, first 2 shown]
	.long	139536                          ; 0x22110
	.long	139537                          ; 0x22111
	.long	16785425                        ; 0x1002011
	.long	16850960                        ; 0x1012010
	;; [unrolled: 1-line block ×12, first 2 shown]
	.long	8224                            ; 0x2020
	.long	8226                            ; 0x2022
	;; [unrolled: 1-line block ×4, first 2 shown]
	.long	74017                           ; 0x12121
	.long	139296                          ; 0x22020
	.long	139298                          ; 0x22022
	;; [unrolled: 1-line block ×4, first 2 shown]
	.long	16785697                        ; 0x1002121
	.long	16850977                        ; 0x1012021
	;; [unrolled: 1-line block ×15, first 2 shown]
	.long	1114112                         ; 0x110000
	.long	1114113                         ; 0x110001
	;; [unrolled: 1-line block ×6, first 2 shown]
	.long	17825793                        ; 0x1100001
	.long	17826048                        ; 0x1100100
	;; [unrolled: 1-line block ×14, first 2 shown]
	.long	1048593                         ; 0x100011
	.long	1048848                         ; 0x100110
	;; [unrolled: 1-line block ×11, first 2 shown]
	.long	17826065                        ; 0x1100111
	.long	17826322                        ; 0x1100212
	;; [unrolled: 1-line block ×16, first 2 shown]
	.long	1114145                         ; 0x110021
	.long	1114400                         ; 0x110120
	;; [unrolled: 1-line block ×4, first 2 shown]
	.long	17825824                        ; 0x1100020
	.long	17826082                        ; 0x1100122
	.long	17826337                        ; 0x1100221
	.long	17891362                        ; 0x1110022
	.long	17891617                        ; 0x1110121
	.long	17891872                        ; 0x1110220
	.long	17891874                        ; 0x1110222
	.long	17957152                        ; 0x1120120
	.long	17957154                        ; 0x1120122
	.long	34603297                        ; 0x2100121
	.long	34668577                        ; 0x2110021
	.long	34668832                        ; 0x2110120
	.long	34668834                        ; 0x2110122
	.long	34734369                        ; 0x2120121
	.long	1052673                         ; 0x101001
	.long	1052930                         ; 0x101102
	;; [unrolled: 1-line block ×9, first 2 shown]
	.long	17829889                        ; 0x1101001
	.long	17830145                        ; 0x1101101
	;; [unrolled: 1-line block ×25, first 2 shown]
	.long	1052690                         ; 0x101012
	.long	1052945                         ; 0x101111
	;; [unrolled: 1-line block ×13, first 2 shown]
	.long	17829905                        ; 0x1101011
	.long	17830160                        ; 0x1101110
	.long	17830161                        ; 0x1101111
	.long	17830162                        ; 0x1101112
	.long	17895441                        ; 0x1111011
	.long	17895442                        ; 0x1111012
	.long	17895696                        ; 0x1111110
	.long	17895697                        ; 0x1111111
	.long	17895698                        ; 0x1111112
	.long	17895953                        ; 0x1111211
	.long	17895954                        ; 0x1111212
	.long	17960977                        ; 0x1121011
	.long	17961232                        ; 0x1121110
	.long	17961233                        ; 0x1121111
	.long	17961234                        ; 0x1121112
	.long	17961489                        ; 0x1121211
	.long	34607120                        ; 0x2101010
	.long	34607122                        ; 0x2101012
	.long	34607376                        ; 0x2101110
	.long	34607377                        ; 0x2101111
	.long	34607632                        ; 0x2101210
	.long	34607634                        ; 0x2101212
	.long	34672656                        ; 0x2111010
	.long	34672657                        ; 0x2111011
	.long	34672912                        ; 0x2111110
	.long	34672913                        ; 0x2111111
	.long	34672914                        ; 0x2111112
	.long	34673169                        ; 0x2111211
	.long	34673170                        ; 0x2111212
	.long	34738192                        ; 0x2121010
	.long	34738194                        ; 0x2121012
	.long	34738449                        ; 0x2121111
	.long	1052705                         ; 0x101021
	.long	1052960                         ; 0x101120
	;; [unrolled: 1-line block ×10, first 2 shown]
	.long	17829920                        ; 0x1101020
	.long	17829922                        ; 0x1101022
	;; [unrolled: 1-line block ×23, first 2 shown]
	.long	1122305                         ; 0x112001
	.long	1122562                         ; 0x112102
	;; [unrolled: 1-line block ×3, first 2 shown]
	.long	17833985                        ; 0x1102001
	.long	17834240                        ; 0x1102100
	;; [unrolled: 1-line block ×17, first 2 shown]
	.long	1122320                         ; 0x112010
	.long	1122322                         ; 0x112012
	;; [unrolled: 1-line block ×6, first 2 shown]
	.long	17834002                        ; 0x1102012
	.long	17834256                        ; 0x1102110
	;; [unrolled: 1-line block ×21, first 2 shown]
	.long	1057313                         ; 0x102221
	.long	1122594                         ; 0x112122
	;; [unrolled: 1-line block ×4, first 2 shown]
	.long	17834272                        ; 0x1102120
	.long	17834274                        ; 0x1102122
	;; [unrolled: 1-line block ×14, first 2 shown]
	.long	2097152                         ; 0x200000
	.long	2097154                         ; 0x200002
	;; [unrolled: 1-line block ×10, first 2 shown]
	.long	18874625                        ; 0x1200101
	.long	18939905                        ; 0x1210001
	;; [unrolled: 1-line block ×15, first 2 shown]
	.long	2097425                         ; 0x200111
	.long	2162705                         ; 0x210011
	;; [unrolled: 1-line block ×5, first 2 shown]
	.long	18874386                        ; 0x1200012
	.long	18874640                        ; 0x1200110
	;; [unrolled: 1-line block ×15, first 2 shown]
	.long	2097185                         ; 0x200021
	.long	2097696                         ; 0x200220
	;; [unrolled: 1-line block ×9, first 2 shown]
	.long	18874657                        ; 0x1200121
	.long	18939937                        ; 0x1210021
	;; [unrolled: 1-line block ×14, first 2 shown]
	.long	2101505                         ; 0x201101
	.long	2167040                         ; 0x211100
	;; [unrolled: 1-line block ×5, first 2 shown]
	.long	18878720                        ; 0x1201100
	.long	18878721                        ; 0x1201101
	;; [unrolled: 1-line block ×15, first 2 shown]
	.long	2101777                         ; 0x201211
	.long	2167057                         ; 0x211111
	;; [unrolled: 1-line block ×4, first 2 shown]
	.long	18878480                        ; 0x1201010
	.long	18878737                        ; 0x1201111
	;; [unrolled: 1-line block ×20, first 2 shown]
	.long	2101537                         ; 0x201121
	.long	2166816                         ; 0x211020
	;; [unrolled: 1-line block ×5, first 2 shown]
	.long	18878497                        ; 0x1201021
	.long	18879009                        ; 0x1201221
	;; [unrolled: 1-line block ×10, first 2 shown]
	.long	2105344                         ; 0x202000
	.long	2105346                         ; 0x202002
	;; [unrolled: 1-line block ×9, first 2 shown]
	.long	18882817                        ; 0x1202101
	.long	18948097                        ; 0x1212001
	;; [unrolled: 1-line block ×12, first 2 shown]
	.long	2105873                         ; 0x202211
	.long	2170897                         ; 0x212011
	;; [unrolled: 1-line block ×5, first 2 shown]
	.long	18882834                        ; 0x1202112
	.long	18883089                        ; 0x1202211
	.long	18948114                        ; 0x1212012
	.long	18948369                        ; 0x1212111
	.long	19013649                        ; 0x1222011
	.long	19013904                        ; 0x1222110
	.long	19013906                        ; 0x1222112
	.long	19014161                        ; 0x1222211
	.long	35660049                        ; 0x2202111
	.long	35725328                        ; 0x2212010
	.long	35725586                        ; 0x2212112
	.long	35725841                        ; 0x2212211
	.long	35791120                        ; 0x2222110
	.long	35791121                        ; 0x2222111
	.long	2105376                         ; 0x202020
	.long	2105378                         ; 0x202022
	;; [unrolled: 1-line block ×8, first 2 shown]
	.long	18882849                        ; 0x1202121
	.long	18948129                        ; 0x1212021
	.long	18948386                        ; 0x1212122
	.long	18948641                        ; 0x1212221
	.long	19013921                        ; 0x1222121
	.long	35659808                        ; 0x2202020
	.long	35659810                        ; 0x2202022
	.long	35660320                        ; 0x2202220
	.long	35660322                        ; 0x2202222
	.long	35725601                        ; 0x2212121
	.long	35790880                        ; 0x2222020
	.long	35790882                        ; 0x2222022
	.long	35791392                        ; 0x2222220
	.long	35791394                        ; 0x2222222
	.long	268435713                       ; 0x10000101
	.long	268500993                       ; 0x10010001
	;; [unrolled: 1-line block ×1419, first 2 shown]
	.size	_ZL13iq1s_grid_gpu, 8192

	.type	_ZL9iq3s_grid,@object           ; @_ZL9iq3s_grid
	.p2align	4, 0x0
_ZL9iq3s_grid:
	.long	16843009                        ; 0x1010101
	.long	16843011                        ; 0x1010103
	;; [unrolled: 1-line block ×281, first 2 shown]
	.long	117506309                       ; 0x7010105
	.long	117506819                       ; 0x7010303
	;; [unrolled: 1-line block ×231, first 2 shown]
	.size	_ZL9iq3s_grid, 2048

	.type	__hip_cuid_f77a0699dbcdd41c,@object ; @__hip_cuid_f77a0699dbcdd41c
	.section	.bss,"aw",@nobits
	.globl	__hip_cuid_f77a0699dbcdd41c
__hip_cuid_f77a0699dbcdd41c:
	.byte	0                               ; 0x0
	.size	__hip_cuid_f77a0699dbcdd41c, 1

	.ident	"AMD clang version 19.0.0git (https://github.com/RadeonOpenCompute/llvm-project roc-6.4.0 25133 c7fe45cf4b819c5991fe208aaa96edf142730f1d)"
	.section	".note.GNU-stack","",@progbits
	.addrsig
	.addrsig_sym __hip_cuid_f77a0699dbcdd41c
	.amdgpu_metadata
---
amdhsa.kernels:
  - .agpr_count:     0
    .args:
      - .address_space:  global
        .offset:         0
        .size:           8
        .value_kind:     global_buffer
      - .address_space:  global
        .offset:         8
        .size:           8
        .value_kind:     global_buffer
      - .address_space:  global
        .offset:         16
        .size:           8
        .value_kind:     global_buffer
      - .address_space:  global
        .offset:         24
        .size:           8
        .value_kind:     global_buffer
      - .offset:         32
        .size:           4
        .value_kind:     by_value
      - .offset:         36
        .size:           12
        .value_kind:     by_value
      - .offset:         48
        .size:           4
        .value_kind:     by_value
      - .offset:         52
        .size:           4
        .value_kind:     by_value
      - .offset:         56
        .size:           4
        .value_kind:     by_value
      - .offset:         60
        .size:           4
        .value_kind:     by_value
      - .offset:         64
        .size:           4
        .value_kind:     by_value
      - .offset:         68
        .size:           4
        .value_kind:     by_value
      - .offset:         72
        .size:           4
        .value_kind:     by_value
      - .offset:         76
        .size:           4
        .value_kind:     by_value
      - .offset:         80
        .size:           4
        .value_kind:     by_value
    .group_segment_fixed_size: 0
    .kernarg_segment_align: 8
    .kernarg_segment_size: 84
    .language:       OpenCL C
    .language_version:
      - 2
      - 0
    .max_flat_workgroup_size: 512
    .name:           _ZL17mul_mat_vec_q_moeIL9ggml_type41ELi2EEvPKvS2_PKiPfj15HIP_vector_typeIjLj3EEjjjjjjjjj
    .private_segment_fixed_size: 0
    .sgpr_count:     42
    .sgpr_spill_count: 0
    .symbol:         _ZL17mul_mat_vec_q_moeIL9ggml_type41ELi2EEvPKvS2_PKiPfj15HIP_vector_typeIjLj3EEjjjjjjjjj.kd
    .uniform_work_group_size: 1
    .uses_dynamic_stack: false
    .vgpr_count:     60
    .vgpr_spill_count: 0
    .wavefront_size: 64
  - .agpr_count:     0
    .args:
      - .address_space:  global
        .offset:         0
        .size:           8
        .value_kind:     global_buffer
      - .address_space:  global
        .offset:         8
        .size:           8
        .value_kind:     global_buffer
      - .address_space:  global
        .offset:         16
        .size:           8
        .value_kind:     global_buffer
      - .offset:         24
        .size:           32
        .value_kind:     by_value
      - .address_space:  global
        .offset:         56
        .size:           8
        .value_kind:     global_buffer
      - .offset:         64
        .size:           4
        .value_kind:     by_value
      - .offset:         68
        .size:           12
        .value_kind:     by_value
      - .offset:         80
        .size:           4
        .value_kind:     by_value
      - .offset:         84
        .size:           4
        .value_kind:     by_value
      - .offset:         88
        .size:           4
        .value_kind:     by_value
      - .offset:         92
        .size:           12
        .value_kind:     by_value
      - .offset:         104
        .size:           4
        .value_kind:     by_value
      - .offset:         108
        .size:           4
        .value_kind:     by_value
      - .offset:         112
        .size:           4
        .value_kind:     by_value
      - .offset:         116
        .size:           12
        .value_kind:     by_value
      - .offset:         128
        .size:           4
        .value_kind:     by_value
      - .offset:         132
        .size:           4
        .value_kind:     by_value
      - .offset:         136
        .size:           4
        .value_kind:     by_value
      - .offset:         140
        .size:           4
        .value_kind:     by_value
    .group_segment_fixed_size: 3072
    .kernarg_segment_align: 8
    .kernarg_segment_size: 144
    .language:       OpenCL C
    .language_version:
      - 2
      - 0
    .max_flat_workgroup_size: 128
    .name:           _ZL13mul_mat_vec_qIL9ggml_type41ELi1ELb1ELb1EEvPKvS2_PKi31ggml_cuda_mm_fusion_args_devicePfj15HIP_vector_typeIjLj3EEjjjS8_jjjS8_jjjj
    .private_segment_fixed_size: 0
    .sgpr_count:     52
    .sgpr_spill_count: 0
    .symbol:         _ZL13mul_mat_vec_qIL9ggml_type41ELi1ELb1ELb1EEvPKvS2_PKi31ggml_cuda_mm_fusion_args_devicePfj15HIP_vector_typeIjLj3EEjjjS8_jjjS8_jjjj.kd
    .uniform_work_group_size: 1
    .uses_dynamic_stack: false
    .vgpr_count:     63
    .vgpr_spill_count: 0
    .wavefront_size: 64
  - .agpr_count:     0
    .args:
      - .address_space:  global
        .offset:         0
        .size:           8
        .value_kind:     global_buffer
      - .address_space:  global
        .offset:         8
        .size:           8
        .value_kind:     global_buffer
      - .address_space:  global
        .offset:         16
        .size:           8
        .value_kind:     global_buffer
      - .offset:         24
        .size:           32
        .value_kind:     by_value
      - .address_space:  global
        .offset:         56
        .size:           8
        .value_kind:     global_buffer
      - .offset:         64
        .size:           4
        .value_kind:     by_value
      - .offset:         68
        .size:           12
        .value_kind:     by_value
      - .offset:         80
        .size:           4
        .value_kind:     by_value
      - .offset:         84
        .size:           4
        .value_kind:     by_value
      - .offset:         88
        .size:           4
        .value_kind:     by_value
      - .offset:         92
        .size:           12
        .value_kind:     by_value
      - .offset:         104
        .size:           4
        .value_kind:     by_value
      - .offset:         108
        .size:           4
        .value_kind:     by_value
      - .offset:         112
        .size:           4
        .value_kind:     by_value
      - .offset:         116
        .size:           12
        .value_kind:     by_value
      - .offset:         128
        .size:           4
        .value_kind:     by_value
      - .offset:         132
        .size:           4
        .value_kind:     by_value
      - .offset:         136
        .size:           4
        .value_kind:     by_value
      - .offset:         140
        .size:           4
        .value_kind:     by_value
    .group_segment_fixed_size: 1536
    .kernarg_segment_align: 8
    .kernarg_segment_size: 144
    .language:       OpenCL C
    .language_version:
      - 2
      - 0
    .max_flat_workgroup_size: 128
    .name:           _ZL13mul_mat_vec_qIL9ggml_type41ELi1ELb0ELb1EEvPKvS2_PKi31ggml_cuda_mm_fusion_args_devicePfj15HIP_vector_typeIjLj3EEjjjS8_jjjS8_jjjj
    .private_segment_fixed_size: 0
    .sgpr_count:     38
    .sgpr_spill_count: 0
    .symbol:         _ZL13mul_mat_vec_qIL9ggml_type41ELi1ELb0ELb1EEvPKvS2_PKi31ggml_cuda_mm_fusion_args_devicePfj15HIP_vector_typeIjLj3EEjjjS8_jjjS8_jjjj.kd
    .uniform_work_group_size: 1
    .uses_dynamic_stack: false
    .vgpr_count:     61
    .vgpr_spill_count: 0
    .wavefront_size: 64
  - .agpr_count:     0
    .args:
      - .address_space:  global
        .offset:         0
        .size:           8
        .value_kind:     global_buffer
      - .address_space:  global
        .offset:         8
        .size:           8
        .value_kind:     global_buffer
      - .address_space:  global
        .offset:         16
        .size:           8
        .value_kind:     global_buffer
      - .offset:         24
        .size:           32
        .value_kind:     by_value
      - .address_space:  global
        .offset:         56
        .size:           8
        .value_kind:     global_buffer
      - .offset:         64
        .size:           4
        .value_kind:     by_value
      - .offset:         68
        .size:           12
        .value_kind:     by_value
      - .offset:         80
        .size:           4
        .value_kind:     by_value
      - .offset:         84
        .size:           4
        .value_kind:     by_value
      - .offset:         88
        .size:           4
        .value_kind:     by_value
      - .offset:         92
        .size:           12
        .value_kind:     by_value
      - .offset:         104
        .size:           4
        .value_kind:     by_value
      - .offset:         108
        .size:           4
        .value_kind:     by_value
      - .offset:         112
        .size:           4
        .value_kind:     by_value
      - .offset:         116
        .size:           12
        .value_kind:     by_value
      - .offset:         128
        .size:           4
        .value_kind:     by_value
      - .offset:         132
        .size:           4
        .value_kind:     by_value
      - .offset:         136
        .size:           4
        .value_kind:     by_value
      - .offset:         140
        .size:           4
        .value_kind:     by_value
    .group_segment_fixed_size: 512
    .kernarg_segment_align: 8
    .kernarg_segment_size: 144
    .language:       OpenCL C
    .language_version:
      - 2
      - 0
    .max_flat_workgroup_size: 128
    .name:           _ZL13mul_mat_vec_qIL9ggml_type41ELi1ELb1ELb0EEvPKvS2_PKi31ggml_cuda_mm_fusion_args_devicePfj15HIP_vector_typeIjLj3EEjjjS8_jjjS8_jjjj
    .private_segment_fixed_size: 0
    .sgpr_count:     50
    .sgpr_spill_count: 0
    .symbol:         _ZL13mul_mat_vec_qIL9ggml_type41ELi1ELb1ELb0EEvPKvS2_PKi31ggml_cuda_mm_fusion_args_devicePfj15HIP_vector_typeIjLj3EEjjjS8_jjjS8_jjjj.kd
    .uniform_work_group_size: 1
    .uses_dynamic_stack: false
    .vgpr_count:     58
    .vgpr_spill_count: 0
    .wavefront_size: 64
  - .agpr_count:     0
    .args:
      - .address_space:  global
        .offset:         0
        .size:           8
        .value_kind:     global_buffer
      - .address_space:  global
        .offset:         8
        .size:           8
        .value_kind:     global_buffer
      - .address_space:  global
        .offset:         16
        .size:           8
        .value_kind:     global_buffer
      - .offset:         24
        .size:           32
        .value_kind:     by_value
      - .address_space:  global
        .offset:         56
        .size:           8
        .value_kind:     global_buffer
      - .offset:         64
        .size:           4
        .value_kind:     by_value
      - .offset:         68
        .size:           12
        .value_kind:     by_value
      - .offset:         80
        .size:           4
        .value_kind:     by_value
      - .offset:         84
        .size:           4
        .value_kind:     by_value
      - .offset:         88
        .size:           4
        .value_kind:     by_value
      - .offset:         92
        .size:           12
        .value_kind:     by_value
      - .offset:         104
        .size:           4
        .value_kind:     by_value
      - .offset:         108
        .size:           4
        .value_kind:     by_value
      - .offset:         112
        .size:           4
        .value_kind:     by_value
      - .offset:         116
        .size:           12
        .value_kind:     by_value
      - .offset:         128
        .size:           4
        .value_kind:     by_value
      - .offset:         132
        .size:           4
        .value_kind:     by_value
      - .offset:         136
        .size:           4
        .value_kind:     by_value
      - .offset:         140
        .size:           4
        .value_kind:     by_value
    .group_segment_fixed_size: 256
    .kernarg_segment_align: 8
    .kernarg_segment_size: 144
    .language:       OpenCL C
    .language_version:
      - 2
      - 0
    .max_flat_workgroup_size: 128
    .name:           _ZL13mul_mat_vec_qIL9ggml_type41ELi1ELb0ELb0EEvPKvS2_PKi31ggml_cuda_mm_fusion_args_devicePfj15HIP_vector_typeIjLj3EEjjjS8_jjjS8_jjjj
    .private_segment_fixed_size: 0
    .sgpr_count:     30
    .sgpr_spill_count: 0
    .symbol:         _ZL13mul_mat_vec_qIL9ggml_type41ELi1ELb0ELb0EEvPKvS2_PKi31ggml_cuda_mm_fusion_args_devicePfj15HIP_vector_typeIjLj3EEjjjS8_jjjS8_jjjj.kd
    .uniform_work_group_size: 1
    .uses_dynamic_stack: false
    .vgpr_count:     59
    .vgpr_spill_count: 0
    .wavefront_size: 64
  - .agpr_count:     0
    .args:
      - .address_space:  global
        .offset:         0
        .size:           8
        .value_kind:     global_buffer
      - .address_space:  global
        .offset:         8
        .size:           8
        .value_kind:     global_buffer
      - .address_space:  global
        .offset:         16
        .size:           8
        .value_kind:     global_buffer
      - .offset:         24
        .size:           32
        .value_kind:     by_value
      - .address_space:  global
        .offset:         56
        .size:           8
        .value_kind:     global_buffer
      - .offset:         64
        .size:           4
        .value_kind:     by_value
      - .offset:         68
        .size:           12
        .value_kind:     by_value
      - .offset:         80
        .size:           4
        .value_kind:     by_value
      - .offset:         84
        .size:           4
        .value_kind:     by_value
      - .offset:         88
        .size:           4
        .value_kind:     by_value
      - .offset:         92
        .size:           12
        .value_kind:     by_value
      - .offset:         104
        .size:           4
        .value_kind:     by_value
      - .offset:         108
        .size:           4
        .value_kind:     by_value
      - .offset:         112
        .size:           4
        .value_kind:     by_value
      - .offset:         116
        .size:           12
        .value_kind:     by_value
      - .offset:         128
        .size:           4
        .value_kind:     by_value
      - .offset:         132
        .size:           4
        .value_kind:     by_value
      - .offset:         136
        .size:           4
        .value_kind:     by_value
      - .offset:         140
        .size:           4
        .value_kind:     by_value
    .group_segment_fixed_size: 3072
    .kernarg_segment_align: 8
    .kernarg_segment_size: 144
    .language:       OpenCL C
    .language_version:
      - 2
      - 0
    .max_flat_workgroup_size: 128
    .name:           _ZL13mul_mat_vec_qIL9ggml_type41ELi2ELb0ELb0EEvPKvS2_PKi31ggml_cuda_mm_fusion_args_devicePfj15HIP_vector_typeIjLj3EEjjjS8_jjjS8_jjjj
    .private_segment_fixed_size: 0
    .sgpr_count:     34
    .sgpr_spill_count: 0
    .symbol:         _ZL13mul_mat_vec_qIL9ggml_type41ELi2ELb0ELb0EEvPKvS2_PKi31ggml_cuda_mm_fusion_args_devicePfj15HIP_vector_typeIjLj3EEjjjS8_jjjS8_jjjj.kd
    .uniform_work_group_size: 1
    .uses_dynamic_stack: false
    .vgpr_count:     64
    .vgpr_spill_count: 0
    .wavefront_size: 64
  - .agpr_count:     0
    .args:
      - .address_space:  global
        .offset:         0
        .size:           8
        .value_kind:     global_buffer
      - .address_space:  global
        .offset:         8
        .size:           8
        .value_kind:     global_buffer
      - .address_space:  global
        .offset:         16
        .size:           8
        .value_kind:     global_buffer
      - .offset:         24
        .size:           32
        .value_kind:     by_value
      - .address_space:  global
        .offset:         56
        .size:           8
        .value_kind:     global_buffer
      - .offset:         64
        .size:           4
        .value_kind:     by_value
      - .offset:         68
        .size:           12
        .value_kind:     by_value
      - .offset:         80
        .size:           4
        .value_kind:     by_value
      - .offset:         84
        .size:           4
        .value_kind:     by_value
      - .offset:         88
        .size:           4
        .value_kind:     by_value
      - .offset:         92
        .size:           12
        .value_kind:     by_value
      - .offset:         104
        .size:           4
        .value_kind:     by_value
      - .offset:         108
        .size:           4
        .value_kind:     by_value
      - .offset:         112
        .size:           4
        .value_kind:     by_value
      - .offset:         116
        .size:           12
        .value_kind:     by_value
      - .offset:         128
        .size:           4
        .value_kind:     by_value
      - .offset:         132
        .size:           4
        .value_kind:     by_value
      - .offset:         136
        .size:           4
        .value_kind:     by_value
      - .offset:         140
        .size:           4
        .value_kind:     by_value
    .group_segment_fixed_size: 1536
    .kernarg_segment_align: 8
    .kernarg_segment_size: 144
    .language:       OpenCL C
    .language_version:
      - 2
      - 0
    .max_flat_workgroup_size: 128
    .name:           _ZL13mul_mat_vec_qIL9ggml_type41ELi3ELb0ELb0EEvPKvS2_PKi31ggml_cuda_mm_fusion_args_devicePfj15HIP_vector_typeIjLj3EEjjjS8_jjjS8_jjjj
    .private_segment_fixed_size: 32
    .sgpr_count:     32
    .sgpr_spill_count: 0
    .symbol:         _ZL13mul_mat_vec_qIL9ggml_type41ELi3ELb0ELb0EEvPKvS2_PKi31ggml_cuda_mm_fusion_args_devicePfj15HIP_vector_typeIjLj3EEjjjS8_jjjS8_jjjj.kd
    .uniform_work_group_size: 1
    .uses_dynamic_stack: false
    .vgpr_count:     62
    .vgpr_spill_count: 0
    .wavefront_size: 64
  - .agpr_count:     0
    .args:
      - .address_space:  global
        .offset:         0
        .size:           8
        .value_kind:     global_buffer
      - .address_space:  global
        .offset:         8
        .size:           8
        .value_kind:     global_buffer
      - .address_space:  global
        .offset:         16
        .size:           8
        .value_kind:     global_buffer
      - .offset:         24
        .size:           32
        .value_kind:     by_value
      - .address_space:  global
        .offset:         56
        .size:           8
        .value_kind:     global_buffer
      - .offset:         64
        .size:           4
        .value_kind:     by_value
      - .offset:         68
        .size:           12
        .value_kind:     by_value
      - .offset:         80
        .size:           4
        .value_kind:     by_value
      - .offset:         84
        .size:           4
        .value_kind:     by_value
      - .offset:         88
        .size:           4
        .value_kind:     by_value
      - .offset:         92
        .size:           12
        .value_kind:     by_value
      - .offset:         104
        .size:           4
        .value_kind:     by_value
      - .offset:         108
        .size:           4
        .value_kind:     by_value
      - .offset:         112
        .size:           4
        .value_kind:     by_value
      - .offset:         116
        .size:           12
        .value_kind:     by_value
      - .offset:         128
        .size:           4
        .value_kind:     by_value
      - .offset:         132
        .size:           4
        .value_kind:     by_value
      - .offset:         136
        .size:           4
        .value_kind:     by_value
      - .offset:         140
        .size:           4
        .value_kind:     by_value
    .group_segment_fixed_size: 2048
    .kernarg_segment_align: 8
    .kernarg_segment_size: 144
    .language:       OpenCL C
    .language_version:
      - 2
      - 0
    .max_flat_workgroup_size: 128
    .name:           _ZL13mul_mat_vec_qIL9ggml_type41ELi4ELb0ELb0EEvPKvS2_PKi31ggml_cuda_mm_fusion_args_devicePfj15HIP_vector_typeIjLj3EEjjjS8_jjjS8_jjjj
    .private_segment_fixed_size: 48
    .sgpr_count:     32
    .sgpr_spill_count: 0
    .symbol:         _ZL13mul_mat_vec_qIL9ggml_type41ELi4ELb0ELb0EEvPKvS2_PKi31ggml_cuda_mm_fusion_args_devicePfj15HIP_vector_typeIjLj3EEjjjS8_jjjS8_jjjj.kd
    .uniform_work_group_size: 1
    .uses_dynamic_stack: false
    .vgpr_count:     59
    .vgpr_spill_count: 0
    .wavefront_size: 64
  - .agpr_count:     0
    .args:
      - .address_space:  global
        .offset:         0
        .size:           8
        .value_kind:     global_buffer
      - .address_space:  global
        .offset:         8
        .size:           8
        .value_kind:     global_buffer
      - .address_space:  global
        .offset:         16
        .size:           8
        .value_kind:     global_buffer
      - .offset:         24
        .size:           32
        .value_kind:     by_value
      - .address_space:  global
        .offset:         56
        .size:           8
        .value_kind:     global_buffer
      - .offset:         64
        .size:           4
        .value_kind:     by_value
      - .offset:         68
        .size:           12
        .value_kind:     by_value
      - .offset:         80
        .size:           4
        .value_kind:     by_value
      - .offset:         84
        .size:           4
        .value_kind:     by_value
      - .offset:         88
        .size:           4
        .value_kind:     by_value
      - .offset:         92
        .size:           12
        .value_kind:     by_value
      - .offset:         104
        .size:           4
        .value_kind:     by_value
      - .offset:         108
        .size:           4
        .value_kind:     by_value
      - .offset:         112
        .size:           4
        .value_kind:     by_value
      - .offset:         116
        .size:           12
        .value_kind:     by_value
      - .offset:         128
        .size:           4
        .value_kind:     by_value
      - .offset:         132
        .size:           4
        .value_kind:     by_value
      - .offset:         136
        .size:           4
        .value_kind:     by_value
      - .offset:         140
        .size:           4
        .value_kind:     by_value
    .group_segment_fixed_size: 0
    .kernarg_segment_align: 8
    .kernarg_segment_size: 144
    .language:       OpenCL C
    .language_version:
      - 2
      - 0
    .max_flat_workgroup_size: 64
    .name:           _ZL13mul_mat_vec_qIL9ggml_type41ELi5ELb0ELb0EEvPKvS2_PKi31ggml_cuda_mm_fusion_args_devicePfj15HIP_vector_typeIjLj3EEjjjS8_jjjS8_jjjj
    .private_segment_fixed_size: 48
    .sgpr_count:     32
    .sgpr_spill_count: 0
    .symbol:         _ZL13mul_mat_vec_qIL9ggml_type41ELi5ELb0ELb0EEvPKvS2_PKi31ggml_cuda_mm_fusion_args_devicePfj15HIP_vector_typeIjLj3EEjjjS8_jjjS8_jjjj.kd
    .uniform_work_group_size: 1
    .uses_dynamic_stack: false
    .vgpr_count:     59
    .vgpr_spill_count: 0
    .wavefront_size: 64
  - .agpr_count:     0
    .args:
      - .address_space:  global
        .offset:         0
        .size:           8
        .value_kind:     global_buffer
      - .address_space:  global
        .offset:         8
        .size:           8
        .value_kind:     global_buffer
      - .address_space:  global
        .offset:         16
        .size:           8
        .value_kind:     global_buffer
      - .offset:         24
        .size:           32
        .value_kind:     by_value
      - .address_space:  global
        .offset:         56
        .size:           8
        .value_kind:     global_buffer
      - .offset:         64
        .size:           4
        .value_kind:     by_value
      - .offset:         68
        .size:           12
        .value_kind:     by_value
      - .offset:         80
        .size:           4
        .value_kind:     by_value
      - .offset:         84
        .size:           4
        .value_kind:     by_value
      - .offset:         88
        .size:           4
        .value_kind:     by_value
      - .offset:         92
        .size:           12
        .value_kind:     by_value
      - .offset:         104
        .size:           4
        .value_kind:     by_value
      - .offset:         108
        .size:           4
        .value_kind:     by_value
      - .offset:         112
        .size:           4
        .value_kind:     by_value
      - .offset:         116
        .size:           12
        .value_kind:     by_value
      - .offset:         128
        .size:           4
        .value_kind:     by_value
      - .offset:         132
        .size:           4
        .value_kind:     by_value
      - .offset:         136
        .size:           4
        .value_kind:     by_value
      - .offset:         140
        .size:           4
        .value_kind:     by_value
    .group_segment_fixed_size: 0
    .kernarg_segment_align: 8
    .kernarg_segment_size: 144
    .language:       OpenCL C
    .language_version:
      - 2
      - 0
    .max_flat_workgroup_size: 64
    .name:           _ZL13mul_mat_vec_qIL9ggml_type41ELi6ELb0ELb0EEvPKvS2_PKi31ggml_cuda_mm_fusion_args_devicePfj15HIP_vector_typeIjLj3EEjjjS8_jjjS8_jjjj
    .private_segment_fixed_size: 64
    .sgpr_count:     33
    .sgpr_spill_count: 0
    .symbol:         _ZL13mul_mat_vec_qIL9ggml_type41ELi6ELb0ELb0EEvPKvS2_PKi31ggml_cuda_mm_fusion_args_devicePfj15HIP_vector_typeIjLj3EEjjjS8_jjjS8_jjjj.kd
    .uniform_work_group_size: 1
    .uses_dynamic_stack: false
    .vgpr_count:     61
    .vgpr_spill_count: 0
    .wavefront_size: 64
  - .agpr_count:     0
    .args:
      - .address_space:  global
        .offset:         0
        .size:           8
        .value_kind:     global_buffer
      - .address_space:  global
        .offset:         8
        .size:           8
        .value_kind:     global_buffer
      - .address_space:  global
        .offset:         16
        .size:           8
        .value_kind:     global_buffer
      - .offset:         24
        .size:           32
        .value_kind:     by_value
      - .address_space:  global
        .offset:         56
        .size:           8
        .value_kind:     global_buffer
      - .offset:         64
        .size:           4
        .value_kind:     by_value
      - .offset:         68
        .size:           12
        .value_kind:     by_value
      - .offset:         80
        .size:           4
        .value_kind:     by_value
      - .offset:         84
        .size:           4
        .value_kind:     by_value
      - .offset:         88
        .size:           4
        .value_kind:     by_value
      - .offset:         92
        .size:           12
        .value_kind:     by_value
      - .offset:         104
        .size:           4
        .value_kind:     by_value
      - .offset:         108
        .size:           4
        .value_kind:     by_value
      - .offset:         112
        .size:           4
        .value_kind:     by_value
      - .offset:         116
        .size:           12
        .value_kind:     by_value
      - .offset:         128
        .size:           4
        .value_kind:     by_value
      - .offset:         132
        .size:           4
        .value_kind:     by_value
      - .offset:         136
        .size:           4
        .value_kind:     by_value
      - .offset:         140
        .size:           4
        .value_kind:     by_value
    .group_segment_fixed_size: 0
    .kernarg_segment_align: 8
    .kernarg_segment_size: 144
    .language:       OpenCL C
    .language_version:
      - 2
      - 0
    .max_flat_workgroup_size: 64
    .name:           _ZL13mul_mat_vec_qIL9ggml_type41ELi7ELb0ELb0EEvPKvS2_PKi31ggml_cuda_mm_fusion_args_devicePfj15HIP_vector_typeIjLj3EEjjjS8_jjjS8_jjjj
    .private_segment_fixed_size: 64
    .sgpr_count:     34
    .sgpr_spill_count: 0
    .symbol:         _ZL13mul_mat_vec_qIL9ggml_type41ELi7ELb0ELb0EEvPKvS2_PKi31ggml_cuda_mm_fusion_args_devicePfj15HIP_vector_typeIjLj3EEjjjS8_jjjS8_jjjj.kd
    .uniform_work_group_size: 1
    .uses_dynamic_stack: false
    .vgpr_count:     63
    .vgpr_spill_count: 0
    .wavefront_size: 64
  - .agpr_count:     0
    .args:
      - .address_space:  global
        .offset:         0
        .size:           8
        .value_kind:     global_buffer
      - .address_space:  global
        .offset:         8
        .size:           8
        .value_kind:     global_buffer
      - .address_space:  global
        .offset:         16
        .size:           8
        .value_kind:     global_buffer
      - .offset:         24
        .size:           32
        .value_kind:     by_value
      - .address_space:  global
        .offset:         56
        .size:           8
        .value_kind:     global_buffer
      - .offset:         64
        .size:           4
        .value_kind:     by_value
      - .offset:         68
        .size:           12
        .value_kind:     by_value
      - .offset:         80
        .size:           4
        .value_kind:     by_value
      - .offset:         84
        .size:           4
        .value_kind:     by_value
      - .offset:         88
        .size:           4
        .value_kind:     by_value
      - .offset:         92
        .size:           12
        .value_kind:     by_value
      - .offset:         104
        .size:           4
        .value_kind:     by_value
      - .offset:         108
        .size:           4
        .value_kind:     by_value
      - .offset:         112
        .size:           4
        .value_kind:     by_value
      - .offset:         116
        .size:           12
        .value_kind:     by_value
      - .offset:         128
        .size:           4
        .value_kind:     by_value
      - .offset:         132
        .size:           4
        .value_kind:     by_value
      - .offset:         136
        .size:           4
        .value_kind:     by_value
      - .offset:         140
        .size:           4
        .value_kind:     by_value
    .group_segment_fixed_size: 0
    .kernarg_segment_align: 8
    .kernarg_segment_size: 144
    .language:       OpenCL C
    .language_version:
      - 2
      - 0
    .max_flat_workgroup_size: 64
    .name:           _ZL13mul_mat_vec_qIL9ggml_type41ELi8ELb0ELb0EEvPKvS2_PKi31ggml_cuda_mm_fusion_args_devicePfj15HIP_vector_typeIjLj3EEjjjS8_jjjS8_jjjj
    .private_segment_fixed_size: 80
    .sgpr_count:     35
    .sgpr_spill_count: 0
    .symbol:         _ZL13mul_mat_vec_qIL9ggml_type41ELi8ELb0ELb0EEvPKvS2_PKi31ggml_cuda_mm_fusion_args_devicePfj15HIP_vector_typeIjLj3EEjjjS8_jjjS8_jjjj.kd
    .uniform_work_group_size: 1
    .uses_dynamic_stack: false
    .vgpr_count:     65
    .vgpr_spill_count: 0
    .wavefront_size: 64
  - .agpr_count:     0
    .args:
      - .address_space:  global
        .offset:         0
        .size:           8
        .value_kind:     global_buffer
      - .address_space:  global
        .offset:         8
        .size:           8
        .value_kind:     global_buffer
      - .address_space:  global
        .offset:         16
        .size:           8
        .value_kind:     global_buffer
      - .address_space:  global
        .offset:         24
        .size:           8
        .value_kind:     global_buffer
      - .offset:         32
        .size:           4
        .value_kind:     by_value
      - .offset:         36
        .size:           12
        .value_kind:     by_value
      - .offset:         48
        .size:           4
        .value_kind:     by_value
      - .offset:         52
        .size:           4
        .value_kind:     by_value
      - .offset:         56
        .size:           4
        .value_kind:     by_value
      - .offset:         60
        .size:           4
        .value_kind:     by_value
      - .offset:         64
        .size:           4
        .value_kind:     by_value
      - .offset:         68
        .size:           4
        .value_kind:     by_value
      - .offset:         72
        .size:           4
        .value_kind:     by_value
      - .offset:         76
        .size:           4
        .value_kind:     by_value
      - .offset:         80
        .size:           4
        .value_kind:     by_value
    .group_segment_fixed_size: 0
    .kernarg_segment_align: 8
    .kernarg_segment_size: 84
    .language:       OpenCL C
    .language_version:
      - 2
      - 0
    .max_flat_workgroup_size: 512
    .name:           _ZL17mul_mat_vec_q_moeIL9ggml_type2ELi2EEvPKvS2_PKiPfj15HIP_vector_typeIjLj3EEjjjjjjjjj
    .private_segment_fixed_size: 0
    .sgpr_count:     34
    .sgpr_spill_count: 0
    .symbol:         _ZL17mul_mat_vec_q_moeIL9ggml_type2ELi2EEvPKvS2_PKiPfj15HIP_vector_typeIjLj3EEjjjjjjjjj.kd
    .uniform_work_group_size: 1
    .uses_dynamic_stack: false
    .vgpr_count:     33
    .vgpr_spill_count: 0
    .wavefront_size: 64
  - .agpr_count:     0
    .args:
      - .address_space:  global
        .offset:         0
        .size:           8
        .value_kind:     global_buffer
      - .address_space:  global
        .offset:         8
        .size:           8
        .value_kind:     global_buffer
      - .address_space:  global
        .offset:         16
        .size:           8
        .value_kind:     global_buffer
      - .offset:         24
        .size:           32
        .value_kind:     by_value
      - .address_space:  global
        .offset:         56
        .size:           8
        .value_kind:     global_buffer
      - .offset:         64
        .size:           4
        .value_kind:     by_value
      - .offset:         68
        .size:           12
        .value_kind:     by_value
      - .offset:         80
        .size:           4
        .value_kind:     by_value
      - .offset:         84
        .size:           4
        .value_kind:     by_value
      - .offset:         88
        .size:           4
        .value_kind:     by_value
      - .offset:         92
        .size:           12
        .value_kind:     by_value
      - .offset:         104
        .size:           4
        .value_kind:     by_value
      - .offset:         108
        .size:           4
        .value_kind:     by_value
      - .offset:         112
        .size:           4
        .value_kind:     by_value
      - .offset:         116
        .size:           12
        .value_kind:     by_value
      - .offset:         128
        .size:           4
        .value_kind:     by_value
      - .offset:         132
        .size:           4
        .value_kind:     by_value
      - .offset:         136
        .size:           4
        .value_kind:     by_value
      - .offset:         140
        .size:           4
        .value_kind:     by_value
    .group_segment_fixed_size: 3072
    .kernarg_segment_align: 8
    .kernarg_segment_size: 144
    .language:       OpenCL C
    .language_version:
      - 2
      - 0
    .max_flat_workgroup_size: 128
    .name:           _ZL13mul_mat_vec_qIL9ggml_type2ELi1ELb1ELb1EEvPKvS2_PKi31ggml_cuda_mm_fusion_args_devicePfj15HIP_vector_typeIjLj3EEjjjS8_jjjS8_jjjj
    .private_segment_fixed_size: 0
    .sgpr_count:     52
    .sgpr_spill_count: 0
    .symbol:         _ZL13mul_mat_vec_qIL9ggml_type2ELi1ELb1ELb1EEvPKvS2_PKi31ggml_cuda_mm_fusion_args_devicePfj15HIP_vector_typeIjLj3EEjjjS8_jjjS8_jjjj.kd
    .uniform_work_group_size: 1
    .uses_dynamic_stack: false
    .vgpr_count:     38
    .vgpr_spill_count: 0
    .wavefront_size: 64
  - .agpr_count:     0
    .args:
      - .address_space:  global
        .offset:         0
        .size:           8
        .value_kind:     global_buffer
      - .address_space:  global
        .offset:         8
        .size:           8
        .value_kind:     global_buffer
      - .address_space:  global
        .offset:         16
        .size:           8
        .value_kind:     global_buffer
      - .offset:         24
        .size:           32
        .value_kind:     by_value
      - .address_space:  global
        .offset:         56
        .size:           8
        .value_kind:     global_buffer
      - .offset:         64
        .size:           4
        .value_kind:     by_value
      - .offset:         68
        .size:           12
        .value_kind:     by_value
      - .offset:         80
        .size:           4
        .value_kind:     by_value
      - .offset:         84
        .size:           4
        .value_kind:     by_value
      - .offset:         88
        .size:           4
        .value_kind:     by_value
      - .offset:         92
        .size:           12
        .value_kind:     by_value
      - .offset:         104
        .size:           4
        .value_kind:     by_value
      - .offset:         108
        .size:           4
        .value_kind:     by_value
      - .offset:         112
        .size:           4
        .value_kind:     by_value
      - .offset:         116
        .size:           12
        .value_kind:     by_value
      - .offset:         128
        .size:           4
        .value_kind:     by_value
      - .offset:         132
        .size:           4
        .value_kind:     by_value
      - .offset:         136
        .size:           4
        .value_kind:     by_value
      - .offset:         140
        .size:           4
        .value_kind:     by_value
    .group_segment_fixed_size: 1536
    .kernarg_segment_align: 8
    .kernarg_segment_size: 144
    .language:       OpenCL C
    .language_version:
      - 2
      - 0
    .max_flat_workgroup_size: 128
    .name:           _ZL13mul_mat_vec_qIL9ggml_type2ELi1ELb0ELb1EEvPKvS2_PKi31ggml_cuda_mm_fusion_args_devicePfj15HIP_vector_typeIjLj3EEjjjS8_jjjS8_jjjj
    .private_segment_fixed_size: 0
    .sgpr_count:     30
    .sgpr_spill_count: 0
    .symbol:         _ZL13mul_mat_vec_qIL9ggml_type2ELi1ELb0ELb1EEvPKvS2_PKi31ggml_cuda_mm_fusion_args_devicePfj15HIP_vector_typeIjLj3EEjjjS8_jjjS8_jjjj.kd
    .uniform_work_group_size: 1
    .uses_dynamic_stack: false
    .vgpr_count:     32
    .vgpr_spill_count: 0
    .wavefront_size: 64
  - .agpr_count:     0
    .args:
      - .address_space:  global
        .offset:         0
        .size:           8
        .value_kind:     global_buffer
      - .address_space:  global
        .offset:         8
        .size:           8
        .value_kind:     global_buffer
      - .address_space:  global
        .offset:         16
        .size:           8
        .value_kind:     global_buffer
      - .offset:         24
        .size:           32
        .value_kind:     by_value
      - .address_space:  global
        .offset:         56
        .size:           8
        .value_kind:     global_buffer
      - .offset:         64
        .size:           4
        .value_kind:     by_value
      - .offset:         68
        .size:           12
        .value_kind:     by_value
      - .offset:         80
        .size:           4
        .value_kind:     by_value
      - .offset:         84
        .size:           4
        .value_kind:     by_value
      - .offset:         88
        .size:           4
        .value_kind:     by_value
      - .offset:         92
        .size:           12
        .value_kind:     by_value
      - .offset:         104
        .size:           4
        .value_kind:     by_value
      - .offset:         108
        .size:           4
        .value_kind:     by_value
      - .offset:         112
        .size:           4
        .value_kind:     by_value
      - .offset:         116
        .size:           12
        .value_kind:     by_value
      - .offset:         128
        .size:           4
        .value_kind:     by_value
      - .offset:         132
        .size:           4
        .value_kind:     by_value
      - .offset:         136
        .size:           4
        .value_kind:     by_value
      - .offset:         140
        .size:           4
        .value_kind:     by_value
    .group_segment_fixed_size: 512
    .kernarg_segment_align: 8
    .kernarg_segment_size: 144
    .language:       OpenCL C
    .language_version:
      - 2
      - 0
    .max_flat_workgroup_size: 128
    .name:           _ZL13mul_mat_vec_qIL9ggml_type2ELi1ELb1ELb0EEvPKvS2_PKi31ggml_cuda_mm_fusion_args_devicePfj15HIP_vector_typeIjLj3EEjjjS8_jjjS8_jjjj
    .private_segment_fixed_size: 0
    .sgpr_count:     50
    .sgpr_spill_count: 0
    .symbol:         _ZL13mul_mat_vec_qIL9ggml_type2ELi1ELb1ELb0EEvPKvS2_PKi31ggml_cuda_mm_fusion_args_devicePfj15HIP_vector_typeIjLj3EEjjjS8_jjjS8_jjjj.kd
    .uniform_work_group_size: 1
    .uses_dynamic_stack: false
    .vgpr_count:     30
    .vgpr_spill_count: 0
    .wavefront_size: 64
  - .agpr_count:     0
    .args:
      - .address_space:  global
        .offset:         0
        .size:           8
        .value_kind:     global_buffer
      - .address_space:  global
        .offset:         8
        .size:           8
        .value_kind:     global_buffer
      - .address_space:  global
        .offset:         16
        .size:           8
        .value_kind:     global_buffer
      - .offset:         24
        .size:           32
        .value_kind:     by_value
      - .address_space:  global
        .offset:         56
        .size:           8
        .value_kind:     global_buffer
      - .offset:         64
        .size:           4
        .value_kind:     by_value
      - .offset:         68
        .size:           12
        .value_kind:     by_value
      - .offset:         80
        .size:           4
        .value_kind:     by_value
      - .offset:         84
        .size:           4
        .value_kind:     by_value
      - .offset:         88
        .size:           4
        .value_kind:     by_value
      - .offset:         92
        .size:           12
        .value_kind:     by_value
      - .offset:         104
        .size:           4
        .value_kind:     by_value
      - .offset:         108
        .size:           4
        .value_kind:     by_value
      - .offset:         112
        .size:           4
        .value_kind:     by_value
      - .offset:         116
        .size:           12
        .value_kind:     by_value
      - .offset:         128
        .size:           4
        .value_kind:     by_value
      - .offset:         132
        .size:           4
        .value_kind:     by_value
      - .offset:         136
        .size:           4
        .value_kind:     by_value
      - .offset:         140
        .size:           4
        .value_kind:     by_value
    .group_segment_fixed_size: 256
    .kernarg_segment_align: 8
    .kernarg_segment_size: 144
    .language:       OpenCL C
    .language_version:
      - 2
      - 0
    .max_flat_workgroup_size: 128
    .name:           _ZL13mul_mat_vec_qIL9ggml_type2ELi1ELb0ELb0EEvPKvS2_PKi31ggml_cuda_mm_fusion_args_devicePfj15HIP_vector_typeIjLj3EEjjjS8_jjjS8_jjjj
    .private_segment_fixed_size: 0
    .sgpr_count:     30
    .sgpr_spill_count: 0
    .symbol:         _ZL13mul_mat_vec_qIL9ggml_type2ELi1ELb0ELb0EEvPKvS2_PKi31ggml_cuda_mm_fusion_args_devicePfj15HIP_vector_typeIjLj3EEjjjS8_jjjS8_jjjj.kd
    .uniform_work_group_size: 1
    .uses_dynamic_stack: false
    .vgpr_count:     24
    .vgpr_spill_count: 0
    .wavefront_size: 64
  - .agpr_count:     0
    .args:
      - .address_space:  global
        .offset:         0
        .size:           8
        .value_kind:     global_buffer
      - .address_space:  global
        .offset:         8
        .size:           8
        .value_kind:     global_buffer
      - .address_space:  global
        .offset:         16
        .size:           8
        .value_kind:     global_buffer
      - .offset:         24
        .size:           32
        .value_kind:     by_value
      - .address_space:  global
        .offset:         56
        .size:           8
        .value_kind:     global_buffer
      - .offset:         64
        .size:           4
        .value_kind:     by_value
      - .offset:         68
        .size:           12
        .value_kind:     by_value
      - .offset:         80
        .size:           4
        .value_kind:     by_value
      - .offset:         84
        .size:           4
        .value_kind:     by_value
      - .offset:         88
        .size:           4
        .value_kind:     by_value
      - .offset:         92
        .size:           12
        .value_kind:     by_value
      - .offset:         104
        .size:           4
        .value_kind:     by_value
      - .offset:         108
        .size:           4
        .value_kind:     by_value
      - .offset:         112
        .size:           4
        .value_kind:     by_value
      - .offset:         116
        .size:           12
        .value_kind:     by_value
      - .offset:         128
        .size:           4
        .value_kind:     by_value
      - .offset:         132
        .size:           4
        .value_kind:     by_value
      - .offset:         136
        .size:           4
        .value_kind:     by_value
      - .offset:         140
        .size:           4
        .value_kind:     by_value
    .group_segment_fixed_size: 3072
    .kernarg_segment_align: 8
    .kernarg_segment_size: 144
    .language:       OpenCL C
    .language_version:
      - 2
      - 0
    .max_flat_workgroup_size: 128
    .name:           _ZL13mul_mat_vec_qIL9ggml_type2ELi2ELb0ELb0EEvPKvS2_PKi31ggml_cuda_mm_fusion_args_devicePfj15HIP_vector_typeIjLj3EEjjjS8_jjjS8_jjjj
    .private_segment_fixed_size: 0
    .sgpr_count:     32
    .sgpr_spill_count: 0
    .symbol:         _ZL13mul_mat_vec_qIL9ggml_type2ELi2ELb0ELb0EEvPKvS2_PKi31ggml_cuda_mm_fusion_args_devicePfj15HIP_vector_typeIjLj3EEjjjS8_jjjS8_jjjj.kd
    .uniform_work_group_size: 1
    .uses_dynamic_stack: false
    .vgpr_count:     44
    .vgpr_spill_count: 0
    .wavefront_size: 64
  - .agpr_count:     0
    .args:
      - .address_space:  global
        .offset:         0
        .size:           8
        .value_kind:     global_buffer
      - .address_space:  global
        .offset:         8
        .size:           8
        .value_kind:     global_buffer
      - .address_space:  global
        .offset:         16
        .size:           8
        .value_kind:     global_buffer
      - .offset:         24
        .size:           32
        .value_kind:     by_value
      - .address_space:  global
        .offset:         56
        .size:           8
        .value_kind:     global_buffer
      - .offset:         64
        .size:           4
        .value_kind:     by_value
      - .offset:         68
        .size:           12
        .value_kind:     by_value
      - .offset:         80
        .size:           4
        .value_kind:     by_value
      - .offset:         84
        .size:           4
        .value_kind:     by_value
      - .offset:         88
        .size:           4
        .value_kind:     by_value
      - .offset:         92
        .size:           12
        .value_kind:     by_value
      - .offset:         104
        .size:           4
        .value_kind:     by_value
      - .offset:         108
        .size:           4
        .value_kind:     by_value
      - .offset:         112
        .size:           4
        .value_kind:     by_value
      - .offset:         116
        .size:           12
        .value_kind:     by_value
      - .offset:         128
        .size:           4
        .value_kind:     by_value
      - .offset:         132
        .size:           4
        .value_kind:     by_value
      - .offset:         136
        .size:           4
        .value_kind:     by_value
      - .offset:         140
        .size:           4
        .value_kind:     by_value
    .group_segment_fixed_size: 1536
    .kernarg_segment_align: 8
    .kernarg_segment_size: 144
    .language:       OpenCL C
    .language_version:
      - 2
      - 0
    .max_flat_workgroup_size: 128
    .name:           _ZL13mul_mat_vec_qIL9ggml_type2ELi3ELb0ELb0EEvPKvS2_PKi31ggml_cuda_mm_fusion_args_devicePfj15HIP_vector_typeIjLj3EEjjjS8_jjjS8_jjjj
    .private_segment_fixed_size: 32
    .sgpr_count:     32
    .sgpr_spill_count: 0
    .symbol:         _ZL13mul_mat_vec_qIL9ggml_type2ELi3ELb0ELb0EEvPKvS2_PKi31ggml_cuda_mm_fusion_args_devicePfj15HIP_vector_typeIjLj3EEjjjS8_jjjS8_jjjj.kd
    .uniform_work_group_size: 1
    .uses_dynamic_stack: false
    .vgpr_count:     54
    .vgpr_spill_count: 0
    .wavefront_size: 64
  - .agpr_count:     0
    .args:
      - .address_space:  global
        .offset:         0
        .size:           8
        .value_kind:     global_buffer
      - .address_space:  global
        .offset:         8
        .size:           8
        .value_kind:     global_buffer
      - .address_space:  global
        .offset:         16
        .size:           8
        .value_kind:     global_buffer
      - .offset:         24
        .size:           32
        .value_kind:     by_value
      - .address_space:  global
        .offset:         56
        .size:           8
        .value_kind:     global_buffer
      - .offset:         64
        .size:           4
        .value_kind:     by_value
      - .offset:         68
        .size:           12
        .value_kind:     by_value
      - .offset:         80
        .size:           4
        .value_kind:     by_value
      - .offset:         84
        .size:           4
        .value_kind:     by_value
      - .offset:         88
        .size:           4
        .value_kind:     by_value
      - .offset:         92
        .size:           12
        .value_kind:     by_value
      - .offset:         104
        .size:           4
        .value_kind:     by_value
      - .offset:         108
        .size:           4
        .value_kind:     by_value
      - .offset:         112
        .size:           4
        .value_kind:     by_value
      - .offset:         116
        .size:           12
        .value_kind:     by_value
      - .offset:         128
        .size:           4
        .value_kind:     by_value
      - .offset:         132
        .size:           4
        .value_kind:     by_value
      - .offset:         136
        .size:           4
        .value_kind:     by_value
      - .offset:         140
        .size:           4
        .value_kind:     by_value
    .group_segment_fixed_size: 2048
    .kernarg_segment_align: 8
    .kernarg_segment_size: 144
    .language:       OpenCL C
    .language_version:
      - 2
      - 0
    .max_flat_workgroup_size: 128
    .name:           _ZL13mul_mat_vec_qIL9ggml_type2ELi4ELb0ELb0EEvPKvS2_PKi31ggml_cuda_mm_fusion_args_devicePfj15HIP_vector_typeIjLj3EEjjjS8_jjjS8_jjjj
    .private_segment_fixed_size: 48
    .sgpr_count:     32
    .sgpr_spill_count: 0
    .symbol:         _ZL13mul_mat_vec_qIL9ggml_type2ELi4ELb0ELb0EEvPKvS2_PKi31ggml_cuda_mm_fusion_args_devicePfj15HIP_vector_typeIjLj3EEjjjS8_jjjS8_jjjj.kd
    .uniform_work_group_size: 1
    .uses_dynamic_stack: false
    .vgpr_count:     65
    .vgpr_spill_count: 0
    .wavefront_size: 64
  - .agpr_count:     0
    .args:
      - .address_space:  global
        .offset:         0
        .size:           8
        .value_kind:     global_buffer
      - .address_space:  global
        .offset:         8
        .size:           8
        .value_kind:     global_buffer
      - .address_space:  global
        .offset:         16
        .size:           8
        .value_kind:     global_buffer
      - .offset:         24
        .size:           32
        .value_kind:     by_value
      - .address_space:  global
        .offset:         56
        .size:           8
        .value_kind:     global_buffer
      - .offset:         64
        .size:           4
        .value_kind:     by_value
      - .offset:         68
        .size:           12
        .value_kind:     by_value
      - .offset:         80
        .size:           4
        .value_kind:     by_value
      - .offset:         84
        .size:           4
        .value_kind:     by_value
      - .offset:         88
        .size:           4
        .value_kind:     by_value
      - .offset:         92
        .size:           12
        .value_kind:     by_value
      - .offset:         104
        .size:           4
        .value_kind:     by_value
      - .offset:         108
        .size:           4
        .value_kind:     by_value
      - .offset:         112
        .size:           4
        .value_kind:     by_value
      - .offset:         116
        .size:           12
        .value_kind:     by_value
      - .offset:         128
        .size:           4
        .value_kind:     by_value
      - .offset:         132
        .size:           4
        .value_kind:     by_value
      - .offset:         136
        .size:           4
        .value_kind:     by_value
      - .offset:         140
        .size:           4
        .value_kind:     by_value
    .group_segment_fixed_size: 0
    .kernarg_segment_align: 8
    .kernarg_segment_size: 144
    .language:       OpenCL C
    .language_version:
      - 2
      - 0
    .max_flat_workgroup_size: 64
    .name:           _ZL13mul_mat_vec_qIL9ggml_type2ELi5ELb0ELb0EEvPKvS2_PKi31ggml_cuda_mm_fusion_args_devicePfj15HIP_vector_typeIjLj3EEjjjS8_jjjS8_jjjj
    .private_segment_fixed_size: 48
    .sgpr_count:     34
    .sgpr_spill_count: 0
    .symbol:         _ZL13mul_mat_vec_qIL9ggml_type2ELi5ELb0ELb0EEvPKvS2_PKi31ggml_cuda_mm_fusion_args_devicePfj15HIP_vector_typeIjLj3EEjjjS8_jjjS8_jjjj.kd
    .uniform_work_group_size: 1
    .uses_dynamic_stack: false
    .vgpr_count:     68
    .vgpr_spill_count: 0
    .wavefront_size: 64
  - .agpr_count:     0
    .args:
      - .address_space:  global
        .offset:         0
        .size:           8
        .value_kind:     global_buffer
      - .address_space:  global
        .offset:         8
        .size:           8
        .value_kind:     global_buffer
      - .address_space:  global
        .offset:         16
        .size:           8
        .value_kind:     global_buffer
      - .offset:         24
        .size:           32
        .value_kind:     by_value
      - .address_space:  global
        .offset:         56
        .size:           8
        .value_kind:     global_buffer
      - .offset:         64
        .size:           4
        .value_kind:     by_value
      - .offset:         68
        .size:           12
        .value_kind:     by_value
      - .offset:         80
        .size:           4
        .value_kind:     by_value
      - .offset:         84
        .size:           4
        .value_kind:     by_value
      - .offset:         88
        .size:           4
        .value_kind:     by_value
      - .offset:         92
        .size:           12
        .value_kind:     by_value
      - .offset:         104
        .size:           4
        .value_kind:     by_value
      - .offset:         108
        .size:           4
        .value_kind:     by_value
      - .offset:         112
        .size:           4
        .value_kind:     by_value
      - .offset:         116
        .size:           12
        .value_kind:     by_value
      - .offset:         128
        .size:           4
        .value_kind:     by_value
      - .offset:         132
        .size:           4
        .value_kind:     by_value
      - .offset:         136
        .size:           4
        .value_kind:     by_value
      - .offset:         140
        .size:           4
        .value_kind:     by_value
    .group_segment_fixed_size: 0
    .kernarg_segment_align: 8
    .kernarg_segment_size: 144
    .language:       OpenCL C
    .language_version:
      - 2
      - 0
    .max_flat_workgroup_size: 64
    .name:           _ZL13mul_mat_vec_qIL9ggml_type2ELi6ELb0ELb0EEvPKvS2_PKi31ggml_cuda_mm_fusion_args_devicePfj15HIP_vector_typeIjLj3EEjjjS8_jjjS8_jjjj
    .private_segment_fixed_size: 64
    .sgpr_count:     34
    .sgpr_spill_count: 0
    .symbol:         _ZL13mul_mat_vec_qIL9ggml_type2ELi6ELb0ELb0EEvPKvS2_PKi31ggml_cuda_mm_fusion_args_devicePfj15HIP_vector_typeIjLj3EEjjjS8_jjjS8_jjjj.kd
    .uniform_work_group_size: 1
    .uses_dynamic_stack: false
    .vgpr_count:     72
    .vgpr_spill_count: 0
    .wavefront_size: 64
  - .agpr_count:     0
    .args:
      - .address_space:  global
        .offset:         0
        .size:           8
        .value_kind:     global_buffer
      - .address_space:  global
        .offset:         8
        .size:           8
        .value_kind:     global_buffer
      - .address_space:  global
        .offset:         16
        .size:           8
        .value_kind:     global_buffer
      - .offset:         24
        .size:           32
        .value_kind:     by_value
      - .address_space:  global
        .offset:         56
        .size:           8
        .value_kind:     global_buffer
      - .offset:         64
        .size:           4
        .value_kind:     by_value
      - .offset:         68
        .size:           12
        .value_kind:     by_value
      - .offset:         80
        .size:           4
        .value_kind:     by_value
      - .offset:         84
        .size:           4
        .value_kind:     by_value
      - .offset:         88
        .size:           4
        .value_kind:     by_value
      - .offset:         92
        .size:           12
        .value_kind:     by_value
      - .offset:         104
        .size:           4
        .value_kind:     by_value
      - .offset:         108
        .size:           4
        .value_kind:     by_value
      - .offset:         112
        .size:           4
        .value_kind:     by_value
      - .offset:         116
        .size:           12
        .value_kind:     by_value
      - .offset:         128
        .size:           4
        .value_kind:     by_value
      - .offset:         132
        .size:           4
        .value_kind:     by_value
      - .offset:         136
        .size:           4
        .value_kind:     by_value
      - .offset:         140
        .size:           4
        .value_kind:     by_value
    .group_segment_fixed_size: 0
    .kernarg_segment_align: 8
    .kernarg_segment_size: 144
    .language:       OpenCL C
    .language_version:
      - 2
      - 0
    .max_flat_workgroup_size: 64
    .name:           _ZL13mul_mat_vec_qIL9ggml_type2ELi7ELb0ELb0EEvPKvS2_PKi31ggml_cuda_mm_fusion_args_devicePfj15HIP_vector_typeIjLj3EEjjjS8_jjjS8_jjjj
    .private_segment_fixed_size: 64
    .sgpr_count:     36
    .sgpr_spill_count: 0
    .symbol:         _ZL13mul_mat_vec_qIL9ggml_type2ELi7ELb0ELb0EEvPKvS2_PKi31ggml_cuda_mm_fusion_args_devicePfj15HIP_vector_typeIjLj3EEjjjS8_jjjS8_jjjj.kd
    .uniform_work_group_size: 1
    .uses_dynamic_stack: false
    .vgpr_count:     69
    .vgpr_spill_count: 0
    .wavefront_size: 64
  - .agpr_count:     0
    .args:
      - .address_space:  global
        .offset:         0
        .size:           8
        .value_kind:     global_buffer
      - .address_space:  global
        .offset:         8
        .size:           8
        .value_kind:     global_buffer
      - .address_space:  global
        .offset:         16
        .size:           8
        .value_kind:     global_buffer
      - .offset:         24
        .size:           32
        .value_kind:     by_value
      - .address_space:  global
        .offset:         56
        .size:           8
        .value_kind:     global_buffer
      - .offset:         64
        .size:           4
        .value_kind:     by_value
      - .offset:         68
        .size:           12
        .value_kind:     by_value
      - .offset:         80
        .size:           4
        .value_kind:     by_value
      - .offset:         84
        .size:           4
        .value_kind:     by_value
      - .offset:         88
        .size:           4
        .value_kind:     by_value
      - .offset:         92
        .size:           12
        .value_kind:     by_value
      - .offset:         104
        .size:           4
        .value_kind:     by_value
      - .offset:         108
        .size:           4
        .value_kind:     by_value
      - .offset:         112
        .size:           4
        .value_kind:     by_value
      - .offset:         116
        .size:           12
        .value_kind:     by_value
      - .offset:         128
        .size:           4
        .value_kind:     by_value
      - .offset:         132
        .size:           4
        .value_kind:     by_value
      - .offset:         136
        .size:           4
        .value_kind:     by_value
      - .offset:         140
        .size:           4
        .value_kind:     by_value
    .group_segment_fixed_size: 0
    .kernarg_segment_align: 8
    .kernarg_segment_size: 144
    .language:       OpenCL C
    .language_version:
      - 2
      - 0
    .max_flat_workgroup_size: 64
    .name:           _ZL13mul_mat_vec_qIL9ggml_type2ELi8ELb0ELb0EEvPKvS2_PKi31ggml_cuda_mm_fusion_args_devicePfj15HIP_vector_typeIjLj3EEjjjS8_jjjS8_jjjj
    .private_segment_fixed_size: 80
    .sgpr_count:     36
    .sgpr_spill_count: 0
    .symbol:         _ZL13mul_mat_vec_qIL9ggml_type2ELi8ELb0ELb0EEvPKvS2_PKi31ggml_cuda_mm_fusion_args_devicePfj15HIP_vector_typeIjLj3EEjjjS8_jjjS8_jjjj.kd
    .uniform_work_group_size: 1
    .uses_dynamic_stack: false
    .vgpr_count:     71
    .vgpr_spill_count: 0
    .wavefront_size: 64
  - .agpr_count:     0
    .args:
      - .address_space:  global
        .offset:         0
        .size:           8
        .value_kind:     global_buffer
      - .address_space:  global
        .offset:         8
        .size:           8
        .value_kind:     global_buffer
      - .address_space:  global
        .offset:         16
        .size:           8
        .value_kind:     global_buffer
      - .address_space:  global
        .offset:         24
        .size:           8
        .value_kind:     global_buffer
      - .offset:         32
        .size:           4
        .value_kind:     by_value
      - .offset:         36
        .size:           12
        .value_kind:     by_value
      - .offset:         48
        .size:           4
        .value_kind:     by_value
      - .offset:         52
        .size:           4
        .value_kind:     by_value
      - .offset:         56
        .size:           4
        .value_kind:     by_value
      - .offset:         60
        .size:           4
        .value_kind:     by_value
      - .offset:         64
        .size:           4
        .value_kind:     by_value
      - .offset:         68
        .size:           4
        .value_kind:     by_value
      - .offset:         72
        .size:           4
        .value_kind:     by_value
      - .offset:         76
        .size:           4
        .value_kind:     by_value
      - .offset:         80
        .size:           4
        .value_kind:     by_value
    .group_segment_fixed_size: 0
    .kernarg_segment_align: 8
    .kernarg_segment_size: 84
    .language:       OpenCL C
    .language_version:
      - 2
      - 0
    .max_flat_workgroup_size: 512
    .name:           _ZL17mul_mat_vec_q_moeIL9ggml_type3ELi2EEvPKvS2_PKiPfj15HIP_vector_typeIjLj3EEjjjjjjjjj
    .private_segment_fixed_size: 0
    .sgpr_count:     34
    .sgpr_spill_count: 0
    .symbol:         _ZL17mul_mat_vec_q_moeIL9ggml_type3ELi2EEvPKvS2_PKiPfj15HIP_vector_typeIjLj3EEjjjjjjjjj.kd
    .uniform_work_group_size: 1
    .uses_dynamic_stack: false
    .vgpr_count:     32
    .vgpr_spill_count: 0
    .wavefront_size: 64
  - .agpr_count:     0
    .args:
      - .address_space:  global
        .offset:         0
        .size:           8
        .value_kind:     global_buffer
      - .address_space:  global
        .offset:         8
        .size:           8
        .value_kind:     global_buffer
      - .address_space:  global
        .offset:         16
        .size:           8
        .value_kind:     global_buffer
      - .offset:         24
        .size:           32
        .value_kind:     by_value
      - .address_space:  global
        .offset:         56
        .size:           8
        .value_kind:     global_buffer
      - .offset:         64
        .size:           4
        .value_kind:     by_value
      - .offset:         68
        .size:           12
        .value_kind:     by_value
      - .offset:         80
        .size:           4
        .value_kind:     by_value
      - .offset:         84
        .size:           4
        .value_kind:     by_value
      - .offset:         88
        .size:           4
        .value_kind:     by_value
      - .offset:         92
        .size:           12
        .value_kind:     by_value
      - .offset:         104
        .size:           4
        .value_kind:     by_value
      - .offset:         108
        .size:           4
        .value_kind:     by_value
      - .offset:         112
        .size:           4
        .value_kind:     by_value
      - .offset:         116
        .size:           12
        .value_kind:     by_value
      - .offset:         128
        .size:           4
        .value_kind:     by_value
      - .offset:         132
        .size:           4
        .value_kind:     by_value
      - .offset:         136
        .size:           4
        .value_kind:     by_value
      - .offset:         140
        .size:           4
        .value_kind:     by_value
    .group_segment_fixed_size: 3072
    .kernarg_segment_align: 8
    .kernarg_segment_size: 144
    .language:       OpenCL C
    .language_version:
      - 2
      - 0
    .max_flat_workgroup_size: 128
    .name:           _ZL13mul_mat_vec_qIL9ggml_type3ELi1ELb1ELb1EEvPKvS2_PKi31ggml_cuda_mm_fusion_args_devicePfj15HIP_vector_typeIjLj3EEjjjS8_jjjS8_jjjj
    .private_segment_fixed_size: 0
    .sgpr_count:     52
    .sgpr_spill_count: 0
    .symbol:         _ZL13mul_mat_vec_qIL9ggml_type3ELi1ELb1ELb1EEvPKvS2_PKi31ggml_cuda_mm_fusion_args_devicePfj15HIP_vector_typeIjLj3EEjjjS8_jjjS8_jjjj.kd
    .uniform_work_group_size: 1
    .uses_dynamic_stack: false
    .vgpr_count:     35
    .vgpr_spill_count: 0
    .wavefront_size: 64
  - .agpr_count:     0
    .args:
      - .address_space:  global
        .offset:         0
        .size:           8
        .value_kind:     global_buffer
      - .address_space:  global
        .offset:         8
        .size:           8
        .value_kind:     global_buffer
      - .address_space:  global
        .offset:         16
        .size:           8
        .value_kind:     global_buffer
      - .offset:         24
        .size:           32
        .value_kind:     by_value
      - .address_space:  global
        .offset:         56
        .size:           8
        .value_kind:     global_buffer
      - .offset:         64
        .size:           4
        .value_kind:     by_value
      - .offset:         68
        .size:           12
        .value_kind:     by_value
      - .offset:         80
        .size:           4
        .value_kind:     by_value
      - .offset:         84
        .size:           4
        .value_kind:     by_value
      - .offset:         88
        .size:           4
        .value_kind:     by_value
      - .offset:         92
        .size:           12
        .value_kind:     by_value
      - .offset:         104
        .size:           4
        .value_kind:     by_value
      - .offset:         108
        .size:           4
        .value_kind:     by_value
      - .offset:         112
        .size:           4
        .value_kind:     by_value
      - .offset:         116
        .size:           12
        .value_kind:     by_value
      - .offset:         128
        .size:           4
        .value_kind:     by_value
      - .offset:         132
        .size:           4
        .value_kind:     by_value
      - .offset:         136
        .size:           4
        .value_kind:     by_value
      - .offset:         140
        .size:           4
        .value_kind:     by_value
    .group_segment_fixed_size: 1536
    .kernarg_segment_align: 8
    .kernarg_segment_size: 144
    .language:       OpenCL C
    .language_version:
      - 2
      - 0
    .max_flat_workgroup_size: 128
    .name:           _ZL13mul_mat_vec_qIL9ggml_type3ELi1ELb0ELb1EEvPKvS2_PKi31ggml_cuda_mm_fusion_args_devicePfj15HIP_vector_typeIjLj3EEjjjS8_jjjS8_jjjj
    .private_segment_fixed_size: 0
    .sgpr_count:     30
    .sgpr_spill_count: 0
    .symbol:         _ZL13mul_mat_vec_qIL9ggml_type3ELi1ELb0ELb1EEvPKvS2_PKi31ggml_cuda_mm_fusion_args_devicePfj15HIP_vector_typeIjLj3EEjjjS8_jjjS8_jjjj.kd
    .uniform_work_group_size: 1
    .uses_dynamic_stack: false
    .vgpr_count:     31
    .vgpr_spill_count: 0
    .wavefront_size: 64
  - .agpr_count:     0
    .args:
      - .address_space:  global
        .offset:         0
        .size:           8
        .value_kind:     global_buffer
      - .address_space:  global
        .offset:         8
        .size:           8
        .value_kind:     global_buffer
      - .address_space:  global
        .offset:         16
        .size:           8
        .value_kind:     global_buffer
      - .offset:         24
        .size:           32
        .value_kind:     by_value
      - .address_space:  global
        .offset:         56
        .size:           8
        .value_kind:     global_buffer
      - .offset:         64
        .size:           4
        .value_kind:     by_value
      - .offset:         68
        .size:           12
        .value_kind:     by_value
      - .offset:         80
        .size:           4
        .value_kind:     by_value
      - .offset:         84
        .size:           4
        .value_kind:     by_value
      - .offset:         88
        .size:           4
        .value_kind:     by_value
      - .offset:         92
        .size:           12
        .value_kind:     by_value
      - .offset:         104
        .size:           4
        .value_kind:     by_value
      - .offset:         108
        .size:           4
        .value_kind:     by_value
      - .offset:         112
        .size:           4
        .value_kind:     by_value
      - .offset:         116
        .size:           12
        .value_kind:     by_value
      - .offset:         128
        .size:           4
        .value_kind:     by_value
      - .offset:         132
        .size:           4
        .value_kind:     by_value
      - .offset:         136
        .size:           4
        .value_kind:     by_value
      - .offset:         140
        .size:           4
        .value_kind:     by_value
    .group_segment_fixed_size: 512
    .kernarg_segment_align: 8
    .kernarg_segment_size: 144
    .language:       OpenCL C
    .language_version:
      - 2
      - 0
    .max_flat_workgroup_size: 128
    .name:           _ZL13mul_mat_vec_qIL9ggml_type3ELi1ELb1ELb0EEvPKvS2_PKi31ggml_cuda_mm_fusion_args_devicePfj15HIP_vector_typeIjLj3EEjjjS8_jjjS8_jjjj
    .private_segment_fixed_size: 0
    .sgpr_count:     50
    .sgpr_spill_count: 0
    .symbol:         _ZL13mul_mat_vec_qIL9ggml_type3ELi1ELb1ELb0EEvPKvS2_PKi31ggml_cuda_mm_fusion_args_devicePfj15HIP_vector_typeIjLj3EEjjjS8_jjjS8_jjjj.kd
    .uniform_work_group_size: 1
    .uses_dynamic_stack: false
    .vgpr_count:     30
    .vgpr_spill_count: 0
    .wavefront_size: 64
  - .agpr_count:     0
    .args:
      - .address_space:  global
        .offset:         0
        .size:           8
        .value_kind:     global_buffer
      - .address_space:  global
        .offset:         8
        .size:           8
        .value_kind:     global_buffer
      - .address_space:  global
        .offset:         16
        .size:           8
        .value_kind:     global_buffer
      - .offset:         24
        .size:           32
        .value_kind:     by_value
      - .address_space:  global
        .offset:         56
        .size:           8
        .value_kind:     global_buffer
      - .offset:         64
        .size:           4
        .value_kind:     by_value
      - .offset:         68
        .size:           12
        .value_kind:     by_value
      - .offset:         80
        .size:           4
        .value_kind:     by_value
      - .offset:         84
        .size:           4
        .value_kind:     by_value
      - .offset:         88
        .size:           4
        .value_kind:     by_value
      - .offset:         92
        .size:           12
        .value_kind:     by_value
      - .offset:         104
        .size:           4
        .value_kind:     by_value
      - .offset:         108
        .size:           4
        .value_kind:     by_value
      - .offset:         112
        .size:           4
        .value_kind:     by_value
      - .offset:         116
        .size:           12
        .value_kind:     by_value
      - .offset:         128
        .size:           4
        .value_kind:     by_value
      - .offset:         132
        .size:           4
        .value_kind:     by_value
      - .offset:         136
        .size:           4
        .value_kind:     by_value
      - .offset:         140
        .size:           4
        .value_kind:     by_value
    .group_segment_fixed_size: 256
    .kernarg_segment_align: 8
    .kernarg_segment_size: 144
    .language:       OpenCL C
    .language_version:
      - 2
      - 0
    .max_flat_workgroup_size: 128
    .name:           _ZL13mul_mat_vec_qIL9ggml_type3ELi1ELb0ELb0EEvPKvS2_PKi31ggml_cuda_mm_fusion_args_devicePfj15HIP_vector_typeIjLj3EEjjjS8_jjjS8_jjjj
    .private_segment_fixed_size: 0
    .sgpr_count:     30
    .sgpr_spill_count: 0
    .symbol:         _ZL13mul_mat_vec_qIL9ggml_type3ELi1ELb0ELb0EEvPKvS2_PKi31ggml_cuda_mm_fusion_args_devicePfj15HIP_vector_typeIjLj3EEjjjS8_jjjS8_jjjj.kd
    .uniform_work_group_size: 1
    .uses_dynamic_stack: false
    .vgpr_count:     22
    .vgpr_spill_count: 0
    .wavefront_size: 64
  - .agpr_count:     0
    .args:
      - .address_space:  global
        .offset:         0
        .size:           8
        .value_kind:     global_buffer
      - .address_space:  global
        .offset:         8
        .size:           8
        .value_kind:     global_buffer
      - .address_space:  global
        .offset:         16
        .size:           8
        .value_kind:     global_buffer
      - .offset:         24
        .size:           32
        .value_kind:     by_value
      - .address_space:  global
        .offset:         56
        .size:           8
        .value_kind:     global_buffer
      - .offset:         64
        .size:           4
        .value_kind:     by_value
      - .offset:         68
        .size:           12
        .value_kind:     by_value
      - .offset:         80
        .size:           4
        .value_kind:     by_value
      - .offset:         84
        .size:           4
        .value_kind:     by_value
      - .offset:         88
        .size:           4
        .value_kind:     by_value
      - .offset:         92
        .size:           12
        .value_kind:     by_value
      - .offset:         104
        .size:           4
        .value_kind:     by_value
      - .offset:         108
        .size:           4
        .value_kind:     by_value
      - .offset:         112
        .size:           4
        .value_kind:     by_value
      - .offset:         116
        .size:           12
        .value_kind:     by_value
      - .offset:         128
        .size:           4
        .value_kind:     by_value
      - .offset:         132
        .size:           4
        .value_kind:     by_value
      - .offset:         136
        .size:           4
        .value_kind:     by_value
      - .offset:         140
        .size:           4
        .value_kind:     by_value
    .group_segment_fixed_size: 3072
    .kernarg_segment_align: 8
    .kernarg_segment_size: 144
    .language:       OpenCL C
    .language_version:
      - 2
      - 0
    .max_flat_workgroup_size: 128
    .name:           _ZL13mul_mat_vec_qIL9ggml_type3ELi2ELb0ELb0EEvPKvS2_PKi31ggml_cuda_mm_fusion_args_devicePfj15HIP_vector_typeIjLj3EEjjjS8_jjjS8_jjjj
    .private_segment_fixed_size: 0
    .sgpr_count:     32
    .sgpr_spill_count: 0
    .symbol:         _ZL13mul_mat_vec_qIL9ggml_type3ELi2ELb0ELb0EEvPKvS2_PKi31ggml_cuda_mm_fusion_args_devicePfj15HIP_vector_typeIjLj3EEjjjS8_jjjS8_jjjj.kd
    .uniform_work_group_size: 1
    .uses_dynamic_stack: false
    .vgpr_count:     42
    .vgpr_spill_count: 0
    .wavefront_size: 64
  - .agpr_count:     0
    .args:
      - .address_space:  global
        .offset:         0
        .size:           8
        .value_kind:     global_buffer
      - .address_space:  global
        .offset:         8
        .size:           8
        .value_kind:     global_buffer
      - .address_space:  global
        .offset:         16
        .size:           8
        .value_kind:     global_buffer
      - .offset:         24
        .size:           32
        .value_kind:     by_value
      - .address_space:  global
        .offset:         56
        .size:           8
        .value_kind:     global_buffer
      - .offset:         64
        .size:           4
        .value_kind:     by_value
      - .offset:         68
        .size:           12
        .value_kind:     by_value
      - .offset:         80
        .size:           4
        .value_kind:     by_value
      - .offset:         84
        .size:           4
        .value_kind:     by_value
      - .offset:         88
        .size:           4
        .value_kind:     by_value
      - .offset:         92
        .size:           12
        .value_kind:     by_value
      - .offset:         104
        .size:           4
        .value_kind:     by_value
      - .offset:         108
        .size:           4
        .value_kind:     by_value
      - .offset:         112
        .size:           4
        .value_kind:     by_value
      - .offset:         116
        .size:           12
        .value_kind:     by_value
      - .offset:         128
        .size:           4
        .value_kind:     by_value
      - .offset:         132
        .size:           4
        .value_kind:     by_value
      - .offset:         136
        .size:           4
        .value_kind:     by_value
      - .offset:         140
        .size:           4
        .value_kind:     by_value
    .group_segment_fixed_size: 1536
    .kernarg_segment_align: 8
    .kernarg_segment_size: 144
    .language:       OpenCL C
    .language_version:
      - 2
      - 0
    .max_flat_workgroup_size: 128
    .name:           _ZL13mul_mat_vec_qIL9ggml_type3ELi3ELb0ELb0EEvPKvS2_PKi31ggml_cuda_mm_fusion_args_devicePfj15HIP_vector_typeIjLj3EEjjjS8_jjjS8_jjjj
    .private_segment_fixed_size: 32
    .sgpr_count:     32
    .sgpr_spill_count: 0
    .symbol:         _ZL13mul_mat_vec_qIL9ggml_type3ELi3ELb0ELb0EEvPKvS2_PKi31ggml_cuda_mm_fusion_args_devicePfj15HIP_vector_typeIjLj3EEjjjS8_jjjS8_jjjj.kd
    .uniform_work_group_size: 1
    .uses_dynamic_stack: false
    .vgpr_count:     54
    .vgpr_spill_count: 0
    .wavefront_size: 64
  - .agpr_count:     0
    .args:
      - .address_space:  global
        .offset:         0
        .size:           8
        .value_kind:     global_buffer
      - .address_space:  global
        .offset:         8
        .size:           8
        .value_kind:     global_buffer
      - .address_space:  global
        .offset:         16
        .size:           8
        .value_kind:     global_buffer
      - .offset:         24
        .size:           32
        .value_kind:     by_value
      - .address_space:  global
        .offset:         56
        .size:           8
        .value_kind:     global_buffer
      - .offset:         64
        .size:           4
        .value_kind:     by_value
      - .offset:         68
        .size:           12
        .value_kind:     by_value
      - .offset:         80
        .size:           4
        .value_kind:     by_value
      - .offset:         84
        .size:           4
        .value_kind:     by_value
      - .offset:         88
        .size:           4
        .value_kind:     by_value
      - .offset:         92
        .size:           12
        .value_kind:     by_value
      - .offset:         104
        .size:           4
        .value_kind:     by_value
      - .offset:         108
        .size:           4
        .value_kind:     by_value
      - .offset:         112
        .size:           4
        .value_kind:     by_value
      - .offset:         116
        .size:           12
        .value_kind:     by_value
      - .offset:         128
        .size:           4
        .value_kind:     by_value
      - .offset:         132
        .size:           4
        .value_kind:     by_value
      - .offset:         136
        .size:           4
        .value_kind:     by_value
      - .offset:         140
        .size:           4
        .value_kind:     by_value
    .group_segment_fixed_size: 2048
    .kernarg_segment_align: 8
    .kernarg_segment_size: 144
    .language:       OpenCL C
    .language_version:
      - 2
      - 0
    .max_flat_workgroup_size: 128
    .name:           _ZL13mul_mat_vec_qIL9ggml_type3ELi4ELb0ELb0EEvPKvS2_PKi31ggml_cuda_mm_fusion_args_devicePfj15HIP_vector_typeIjLj3EEjjjS8_jjjS8_jjjj
    .private_segment_fixed_size: 48
    .sgpr_count:     32
    .sgpr_spill_count: 0
    .symbol:         _ZL13mul_mat_vec_qIL9ggml_type3ELi4ELb0ELb0EEvPKvS2_PKi31ggml_cuda_mm_fusion_args_devicePfj15HIP_vector_typeIjLj3EEjjjS8_jjjS8_jjjj.kd
    .uniform_work_group_size: 1
    .uses_dynamic_stack: false
    .vgpr_count:     69
    .vgpr_spill_count: 0
    .wavefront_size: 64
  - .agpr_count:     0
    .args:
      - .address_space:  global
        .offset:         0
        .size:           8
        .value_kind:     global_buffer
      - .address_space:  global
        .offset:         8
        .size:           8
        .value_kind:     global_buffer
      - .address_space:  global
        .offset:         16
        .size:           8
        .value_kind:     global_buffer
      - .offset:         24
        .size:           32
        .value_kind:     by_value
      - .address_space:  global
        .offset:         56
        .size:           8
        .value_kind:     global_buffer
      - .offset:         64
        .size:           4
        .value_kind:     by_value
      - .offset:         68
        .size:           12
        .value_kind:     by_value
      - .offset:         80
        .size:           4
        .value_kind:     by_value
      - .offset:         84
        .size:           4
        .value_kind:     by_value
      - .offset:         88
        .size:           4
        .value_kind:     by_value
      - .offset:         92
        .size:           12
        .value_kind:     by_value
      - .offset:         104
        .size:           4
        .value_kind:     by_value
      - .offset:         108
        .size:           4
        .value_kind:     by_value
      - .offset:         112
        .size:           4
        .value_kind:     by_value
      - .offset:         116
        .size:           12
        .value_kind:     by_value
      - .offset:         128
        .size:           4
        .value_kind:     by_value
      - .offset:         132
        .size:           4
        .value_kind:     by_value
      - .offset:         136
        .size:           4
        .value_kind:     by_value
      - .offset:         140
        .size:           4
        .value_kind:     by_value
    .group_segment_fixed_size: 0
    .kernarg_segment_align: 8
    .kernarg_segment_size: 144
    .language:       OpenCL C
    .language_version:
      - 2
      - 0
    .max_flat_workgroup_size: 64
    .name:           _ZL13mul_mat_vec_qIL9ggml_type3ELi5ELb0ELb0EEvPKvS2_PKi31ggml_cuda_mm_fusion_args_devicePfj15HIP_vector_typeIjLj3EEjjjS8_jjjS8_jjjj
    .private_segment_fixed_size: 48
    .sgpr_count:     34
    .sgpr_spill_count: 0
    .symbol:         _ZL13mul_mat_vec_qIL9ggml_type3ELi5ELb0ELb0EEvPKvS2_PKi31ggml_cuda_mm_fusion_args_devicePfj15HIP_vector_typeIjLj3EEjjjS8_jjjS8_jjjj.kd
    .uniform_work_group_size: 1
    .uses_dynamic_stack: false
    .vgpr_count:     68
    .vgpr_spill_count: 0
    .wavefront_size: 64
  - .agpr_count:     0
    .args:
      - .address_space:  global
        .offset:         0
        .size:           8
        .value_kind:     global_buffer
      - .address_space:  global
        .offset:         8
        .size:           8
        .value_kind:     global_buffer
      - .address_space:  global
        .offset:         16
        .size:           8
        .value_kind:     global_buffer
      - .offset:         24
        .size:           32
        .value_kind:     by_value
      - .address_space:  global
        .offset:         56
        .size:           8
        .value_kind:     global_buffer
      - .offset:         64
        .size:           4
        .value_kind:     by_value
      - .offset:         68
        .size:           12
        .value_kind:     by_value
      - .offset:         80
        .size:           4
        .value_kind:     by_value
      - .offset:         84
        .size:           4
        .value_kind:     by_value
      - .offset:         88
        .size:           4
        .value_kind:     by_value
      - .offset:         92
        .size:           12
        .value_kind:     by_value
      - .offset:         104
        .size:           4
        .value_kind:     by_value
      - .offset:         108
        .size:           4
        .value_kind:     by_value
      - .offset:         112
        .size:           4
        .value_kind:     by_value
      - .offset:         116
        .size:           12
        .value_kind:     by_value
      - .offset:         128
        .size:           4
        .value_kind:     by_value
      - .offset:         132
        .size:           4
        .value_kind:     by_value
      - .offset:         136
        .size:           4
        .value_kind:     by_value
      - .offset:         140
        .size:           4
        .value_kind:     by_value
    .group_segment_fixed_size: 0
    .kernarg_segment_align: 8
    .kernarg_segment_size: 144
    .language:       OpenCL C
    .language_version:
      - 2
      - 0
    .max_flat_workgroup_size: 64
    .name:           _ZL13mul_mat_vec_qIL9ggml_type3ELi6ELb0ELb0EEvPKvS2_PKi31ggml_cuda_mm_fusion_args_devicePfj15HIP_vector_typeIjLj3EEjjjS8_jjjS8_jjjj
    .private_segment_fixed_size: 64
    .sgpr_count:     34
    .sgpr_spill_count: 0
    .symbol:         _ZL13mul_mat_vec_qIL9ggml_type3ELi6ELb0ELb0EEvPKvS2_PKi31ggml_cuda_mm_fusion_args_devicePfj15HIP_vector_typeIjLj3EEjjjS8_jjjS8_jjjj.kd
    .uniform_work_group_size: 1
    .uses_dynamic_stack: false
    .vgpr_count:     67
    .vgpr_spill_count: 0
    .wavefront_size: 64
  - .agpr_count:     0
    .args:
      - .address_space:  global
        .offset:         0
        .size:           8
        .value_kind:     global_buffer
      - .address_space:  global
        .offset:         8
        .size:           8
        .value_kind:     global_buffer
      - .address_space:  global
        .offset:         16
        .size:           8
        .value_kind:     global_buffer
      - .offset:         24
        .size:           32
        .value_kind:     by_value
      - .address_space:  global
        .offset:         56
        .size:           8
        .value_kind:     global_buffer
      - .offset:         64
        .size:           4
        .value_kind:     by_value
      - .offset:         68
        .size:           12
        .value_kind:     by_value
      - .offset:         80
        .size:           4
        .value_kind:     by_value
      - .offset:         84
        .size:           4
        .value_kind:     by_value
      - .offset:         88
        .size:           4
        .value_kind:     by_value
      - .offset:         92
        .size:           12
        .value_kind:     by_value
      - .offset:         104
        .size:           4
        .value_kind:     by_value
      - .offset:         108
        .size:           4
        .value_kind:     by_value
      - .offset:         112
        .size:           4
        .value_kind:     by_value
      - .offset:         116
        .size:           12
        .value_kind:     by_value
      - .offset:         128
        .size:           4
        .value_kind:     by_value
      - .offset:         132
        .size:           4
        .value_kind:     by_value
      - .offset:         136
        .size:           4
        .value_kind:     by_value
      - .offset:         140
        .size:           4
        .value_kind:     by_value
    .group_segment_fixed_size: 0
    .kernarg_segment_align: 8
    .kernarg_segment_size: 144
    .language:       OpenCL C
    .language_version:
      - 2
      - 0
    .max_flat_workgroup_size: 64
    .name:           _ZL13mul_mat_vec_qIL9ggml_type3ELi7ELb0ELb0EEvPKvS2_PKi31ggml_cuda_mm_fusion_args_devicePfj15HIP_vector_typeIjLj3EEjjjS8_jjjS8_jjjj
    .private_segment_fixed_size: 64
    .sgpr_count:     36
    .sgpr_spill_count: 0
    .symbol:         _ZL13mul_mat_vec_qIL9ggml_type3ELi7ELb0ELb0EEvPKvS2_PKi31ggml_cuda_mm_fusion_args_devicePfj15HIP_vector_typeIjLj3EEjjjS8_jjjS8_jjjj.kd
    .uniform_work_group_size: 1
    .uses_dynamic_stack: false
    .vgpr_count:     75
    .vgpr_spill_count: 0
    .wavefront_size: 64
  - .agpr_count:     0
    .args:
      - .address_space:  global
        .offset:         0
        .size:           8
        .value_kind:     global_buffer
      - .address_space:  global
        .offset:         8
        .size:           8
        .value_kind:     global_buffer
      - .address_space:  global
        .offset:         16
        .size:           8
        .value_kind:     global_buffer
      - .offset:         24
        .size:           32
        .value_kind:     by_value
      - .address_space:  global
        .offset:         56
        .size:           8
        .value_kind:     global_buffer
      - .offset:         64
        .size:           4
        .value_kind:     by_value
      - .offset:         68
        .size:           12
        .value_kind:     by_value
      - .offset:         80
        .size:           4
        .value_kind:     by_value
      - .offset:         84
        .size:           4
        .value_kind:     by_value
      - .offset:         88
        .size:           4
        .value_kind:     by_value
      - .offset:         92
        .size:           12
        .value_kind:     by_value
      - .offset:         104
        .size:           4
        .value_kind:     by_value
      - .offset:         108
        .size:           4
        .value_kind:     by_value
      - .offset:         112
        .size:           4
        .value_kind:     by_value
      - .offset:         116
        .size:           12
        .value_kind:     by_value
      - .offset:         128
        .size:           4
        .value_kind:     by_value
      - .offset:         132
        .size:           4
        .value_kind:     by_value
      - .offset:         136
        .size:           4
        .value_kind:     by_value
      - .offset:         140
        .size:           4
        .value_kind:     by_value
    .group_segment_fixed_size: 0
    .kernarg_segment_align: 8
    .kernarg_segment_size: 144
    .language:       OpenCL C
    .language_version:
      - 2
      - 0
    .max_flat_workgroup_size: 64
    .name:           _ZL13mul_mat_vec_qIL9ggml_type3ELi8ELb0ELb0EEvPKvS2_PKi31ggml_cuda_mm_fusion_args_devicePfj15HIP_vector_typeIjLj3EEjjjS8_jjjS8_jjjj
    .private_segment_fixed_size: 80
    .sgpr_count:     36
    .sgpr_spill_count: 0
    .symbol:         _ZL13mul_mat_vec_qIL9ggml_type3ELi8ELb0ELb0EEvPKvS2_PKi31ggml_cuda_mm_fusion_args_devicePfj15HIP_vector_typeIjLj3EEjjjS8_jjjS8_jjjj.kd
    .uniform_work_group_size: 1
    .uses_dynamic_stack: false
    .vgpr_count:     46
    .vgpr_spill_count: 0
    .wavefront_size: 64
  - .agpr_count:     0
    .args:
      - .address_space:  global
        .offset:         0
        .size:           8
        .value_kind:     global_buffer
      - .address_space:  global
        .offset:         8
        .size:           8
        .value_kind:     global_buffer
      - .address_space:  global
        .offset:         16
        .size:           8
        .value_kind:     global_buffer
      - .address_space:  global
        .offset:         24
        .size:           8
        .value_kind:     global_buffer
      - .offset:         32
        .size:           4
        .value_kind:     by_value
      - .offset:         36
        .size:           12
        .value_kind:     by_value
      - .offset:         48
        .size:           4
        .value_kind:     by_value
      - .offset:         52
        .size:           4
        .value_kind:     by_value
      - .offset:         56
        .size:           4
        .value_kind:     by_value
      - .offset:         60
        .size:           4
        .value_kind:     by_value
      - .offset:         64
        .size:           4
        .value_kind:     by_value
      - .offset:         68
        .size:           4
        .value_kind:     by_value
      - .offset:         72
        .size:           4
        .value_kind:     by_value
      - .offset:         76
        .size:           4
        .value_kind:     by_value
      - .offset:         80
        .size:           4
        .value_kind:     by_value
    .group_segment_fixed_size: 0
    .kernarg_segment_align: 8
    .kernarg_segment_size: 84
    .language:       OpenCL C
    .language_version:
      - 2
      - 0
    .max_flat_workgroup_size: 512
    .name:           _ZL17mul_mat_vec_q_moeIL9ggml_type6ELi2EEvPKvS2_PKiPfj15HIP_vector_typeIjLj3EEjjjjjjjjj
    .private_segment_fixed_size: 0
    .sgpr_count:     34
    .sgpr_spill_count: 0
    .symbol:         _ZL17mul_mat_vec_q_moeIL9ggml_type6ELi2EEvPKvS2_PKiPfj15HIP_vector_typeIjLj3EEjjjjjjjjj.kd
    .uniform_work_group_size: 1
    .uses_dynamic_stack: false
    .vgpr_count:     61
    .vgpr_spill_count: 0
    .wavefront_size: 64
  - .agpr_count:     0
    .args:
      - .address_space:  global
        .offset:         0
        .size:           8
        .value_kind:     global_buffer
      - .address_space:  global
        .offset:         8
        .size:           8
        .value_kind:     global_buffer
      - .address_space:  global
        .offset:         16
        .size:           8
        .value_kind:     global_buffer
      - .offset:         24
        .size:           32
        .value_kind:     by_value
      - .address_space:  global
        .offset:         56
        .size:           8
        .value_kind:     global_buffer
      - .offset:         64
        .size:           4
        .value_kind:     by_value
      - .offset:         68
        .size:           12
        .value_kind:     by_value
      - .offset:         80
        .size:           4
        .value_kind:     by_value
      - .offset:         84
        .size:           4
        .value_kind:     by_value
      - .offset:         88
        .size:           4
        .value_kind:     by_value
      - .offset:         92
        .size:           12
        .value_kind:     by_value
      - .offset:         104
        .size:           4
        .value_kind:     by_value
      - .offset:         108
        .size:           4
        .value_kind:     by_value
      - .offset:         112
        .size:           4
        .value_kind:     by_value
      - .offset:         116
        .size:           12
        .value_kind:     by_value
      - .offset:         128
        .size:           4
        .value_kind:     by_value
      - .offset:         132
        .size:           4
        .value_kind:     by_value
      - .offset:         136
        .size:           4
        .value_kind:     by_value
      - .offset:         140
        .size:           4
        .value_kind:     by_value
    .group_segment_fixed_size: 3072
    .kernarg_segment_align: 8
    .kernarg_segment_size: 144
    .language:       OpenCL C
    .language_version:
      - 2
      - 0
    .max_flat_workgroup_size: 128
    .name:           _ZL13mul_mat_vec_qIL9ggml_type6ELi1ELb1ELb1EEvPKvS2_PKi31ggml_cuda_mm_fusion_args_devicePfj15HIP_vector_typeIjLj3EEjjjS8_jjjS8_jjjj
    .private_segment_fixed_size: 0
    .sgpr_count:     52
    .sgpr_spill_count: 0
    .symbol:         _ZL13mul_mat_vec_qIL9ggml_type6ELi1ELb1ELb1EEvPKvS2_PKi31ggml_cuda_mm_fusion_args_devicePfj15HIP_vector_typeIjLj3EEjjjS8_jjjS8_jjjj.kd
    .uniform_work_group_size: 1
    .uses_dynamic_stack: false
    .vgpr_count:     54
    .vgpr_spill_count: 0
    .wavefront_size: 64
  - .agpr_count:     0
    .args:
      - .address_space:  global
        .offset:         0
        .size:           8
        .value_kind:     global_buffer
      - .address_space:  global
        .offset:         8
        .size:           8
        .value_kind:     global_buffer
      - .address_space:  global
        .offset:         16
        .size:           8
        .value_kind:     global_buffer
      - .offset:         24
        .size:           32
        .value_kind:     by_value
      - .address_space:  global
        .offset:         56
        .size:           8
        .value_kind:     global_buffer
      - .offset:         64
        .size:           4
        .value_kind:     by_value
      - .offset:         68
        .size:           12
        .value_kind:     by_value
      - .offset:         80
        .size:           4
        .value_kind:     by_value
      - .offset:         84
        .size:           4
        .value_kind:     by_value
      - .offset:         88
        .size:           4
        .value_kind:     by_value
      - .offset:         92
        .size:           12
        .value_kind:     by_value
      - .offset:         104
        .size:           4
        .value_kind:     by_value
      - .offset:         108
        .size:           4
        .value_kind:     by_value
      - .offset:         112
        .size:           4
        .value_kind:     by_value
      - .offset:         116
        .size:           12
        .value_kind:     by_value
      - .offset:         128
        .size:           4
        .value_kind:     by_value
      - .offset:         132
        .size:           4
        .value_kind:     by_value
      - .offset:         136
        .size:           4
        .value_kind:     by_value
      - .offset:         140
        .size:           4
        .value_kind:     by_value
    .group_segment_fixed_size: 1536
    .kernarg_segment_align: 8
    .kernarg_segment_size: 144
    .language:       OpenCL C
    .language_version:
      - 2
      - 0
    .max_flat_workgroup_size: 128
    .name:           _ZL13mul_mat_vec_qIL9ggml_type6ELi1ELb0ELb1EEvPKvS2_PKi31ggml_cuda_mm_fusion_args_devicePfj15HIP_vector_typeIjLj3EEjjjS8_jjjS8_jjjj
    .private_segment_fixed_size: 0
    .sgpr_count:     30
    .sgpr_spill_count: 0
    .symbol:         _ZL13mul_mat_vec_qIL9ggml_type6ELi1ELb0ELb1EEvPKvS2_PKi31ggml_cuda_mm_fusion_args_devicePfj15HIP_vector_typeIjLj3EEjjjS8_jjjS8_jjjj.kd
    .uniform_work_group_size: 1
    .uses_dynamic_stack: false
    .vgpr_count:     61
    .vgpr_spill_count: 0
    .wavefront_size: 64
  - .agpr_count:     0
    .args:
      - .address_space:  global
        .offset:         0
        .size:           8
        .value_kind:     global_buffer
      - .address_space:  global
        .offset:         8
        .size:           8
        .value_kind:     global_buffer
      - .address_space:  global
        .offset:         16
        .size:           8
        .value_kind:     global_buffer
      - .offset:         24
        .size:           32
        .value_kind:     by_value
      - .address_space:  global
        .offset:         56
        .size:           8
        .value_kind:     global_buffer
      - .offset:         64
        .size:           4
        .value_kind:     by_value
      - .offset:         68
        .size:           12
        .value_kind:     by_value
      - .offset:         80
        .size:           4
        .value_kind:     by_value
      - .offset:         84
        .size:           4
        .value_kind:     by_value
      - .offset:         88
        .size:           4
        .value_kind:     by_value
      - .offset:         92
        .size:           12
        .value_kind:     by_value
      - .offset:         104
        .size:           4
        .value_kind:     by_value
      - .offset:         108
        .size:           4
        .value_kind:     by_value
      - .offset:         112
        .size:           4
        .value_kind:     by_value
      - .offset:         116
        .size:           12
        .value_kind:     by_value
      - .offset:         128
        .size:           4
        .value_kind:     by_value
      - .offset:         132
        .size:           4
        .value_kind:     by_value
      - .offset:         136
        .size:           4
        .value_kind:     by_value
      - .offset:         140
        .size:           4
        .value_kind:     by_value
    .group_segment_fixed_size: 512
    .kernarg_segment_align: 8
    .kernarg_segment_size: 144
    .language:       OpenCL C
    .language_version:
      - 2
      - 0
    .max_flat_workgroup_size: 128
    .name:           _ZL13mul_mat_vec_qIL9ggml_type6ELi1ELb1ELb0EEvPKvS2_PKi31ggml_cuda_mm_fusion_args_devicePfj15HIP_vector_typeIjLj3EEjjjS8_jjjS8_jjjj
    .private_segment_fixed_size: 0
    .sgpr_count:     50
    .sgpr_spill_count: 0
    .symbol:         _ZL13mul_mat_vec_qIL9ggml_type6ELi1ELb1ELb0EEvPKvS2_PKi31ggml_cuda_mm_fusion_args_devicePfj15HIP_vector_typeIjLj3EEjjjS8_jjjS8_jjjj.kd
    .uniform_work_group_size: 1
    .uses_dynamic_stack: false
    .vgpr_count:     47
    .vgpr_spill_count: 0
    .wavefront_size: 64
  - .agpr_count:     0
    .args:
      - .address_space:  global
        .offset:         0
        .size:           8
        .value_kind:     global_buffer
      - .address_space:  global
        .offset:         8
        .size:           8
        .value_kind:     global_buffer
      - .address_space:  global
        .offset:         16
        .size:           8
        .value_kind:     global_buffer
      - .offset:         24
        .size:           32
        .value_kind:     by_value
      - .address_space:  global
        .offset:         56
        .size:           8
        .value_kind:     global_buffer
      - .offset:         64
        .size:           4
        .value_kind:     by_value
      - .offset:         68
        .size:           12
        .value_kind:     by_value
      - .offset:         80
        .size:           4
        .value_kind:     by_value
      - .offset:         84
        .size:           4
        .value_kind:     by_value
      - .offset:         88
        .size:           4
        .value_kind:     by_value
      - .offset:         92
        .size:           12
        .value_kind:     by_value
      - .offset:         104
        .size:           4
        .value_kind:     by_value
      - .offset:         108
        .size:           4
        .value_kind:     by_value
      - .offset:         112
        .size:           4
        .value_kind:     by_value
      - .offset:         116
        .size:           12
        .value_kind:     by_value
      - .offset:         128
        .size:           4
        .value_kind:     by_value
      - .offset:         132
        .size:           4
        .value_kind:     by_value
      - .offset:         136
        .size:           4
        .value_kind:     by_value
      - .offset:         140
        .size:           4
        .value_kind:     by_value
    .group_segment_fixed_size: 256
    .kernarg_segment_align: 8
    .kernarg_segment_size: 144
    .language:       OpenCL C
    .language_version:
      - 2
      - 0
    .max_flat_workgroup_size: 128
    .name:           _ZL13mul_mat_vec_qIL9ggml_type6ELi1ELb0ELb0EEvPKvS2_PKi31ggml_cuda_mm_fusion_args_devicePfj15HIP_vector_typeIjLj3EEjjjS8_jjjS8_jjjj
    .private_segment_fixed_size: 0
    .sgpr_count:     30
    .sgpr_spill_count: 0
    .symbol:         _ZL13mul_mat_vec_qIL9ggml_type6ELi1ELb0ELb0EEvPKvS2_PKi31ggml_cuda_mm_fusion_args_devicePfj15HIP_vector_typeIjLj3EEjjjS8_jjjS8_jjjj.kd
    .uniform_work_group_size: 1
    .uses_dynamic_stack: false
    .vgpr_count:     41
    .vgpr_spill_count: 0
    .wavefront_size: 64
  - .agpr_count:     0
    .args:
      - .address_space:  global
        .offset:         0
        .size:           8
        .value_kind:     global_buffer
      - .address_space:  global
        .offset:         8
        .size:           8
        .value_kind:     global_buffer
      - .address_space:  global
        .offset:         16
        .size:           8
        .value_kind:     global_buffer
      - .offset:         24
        .size:           32
        .value_kind:     by_value
      - .address_space:  global
        .offset:         56
        .size:           8
        .value_kind:     global_buffer
      - .offset:         64
        .size:           4
        .value_kind:     by_value
      - .offset:         68
        .size:           12
        .value_kind:     by_value
      - .offset:         80
        .size:           4
        .value_kind:     by_value
      - .offset:         84
        .size:           4
        .value_kind:     by_value
      - .offset:         88
        .size:           4
        .value_kind:     by_value
      - .offset:         92
        .size:           12
        .value_kind:     by_value
      - .offset:         104
        .size:           4
        .value_kind:     by_value
      - .offset:         108
        .size:           4
        .value_kind:     by_value
      - .offset:         112
        .size:           4
        .value_kind:     by_value
      - .offset:         116
        .size:           12
        .value_kind:     by_value
      - .offset:         128
        .size:           4
        .value_kind:     by_value
      - .offset:         132
        .size:           4
        .value_kind:     by_value
      - .offset:         136
        .size:           4
        .value_kind:     by_value
      - .offset:         140
        .size:           4
        .value_kind:     by_value
    .group_segment_fixed_size: 3072
    .kernarg_segment_align: 8
    .kernarg_segment_size: 144
    .language:       OpenCL C
    .language_version:
      - 2
      - 0
    .max_flat_workgroup_size: 128
    .name:           _ZL13mul_mat_vec_qIL9ggml_type6ELi2ELb0ELb0EEvPKvS2_PKi31ggml_cuda_mm_fusion_args_devicePfj15HIP_vector_typeIjLj3EEjjjS8_jjjS8_jjjj
    .private_segment_fixed_size: 0
    .sgpr_count:     32
    .sgpr_spill_count: 0
    .symbol:         _ZL13mul_mat_vec_qIL9ggml_type6ELi2ELb0ELb0EEvPKvS2_PKi31ggml_cuda_mm_fusion_args_devicePfj15HIP_vector_typeIjLj3EEjjjS8_jjjS8_jjjj.kd
    .uniform_work_group_size: 1
    .uses_dynamic_stack: false
    .vgpr_count:     56
    .vgpr_spill_count: 0
    .wavefront_size: 64
  - .agpr_count:     0
    .args:
      - .address_space:  global
        .offset:         0
        .size:           8
        .value_kind:     global_buffer
      - .address_space:  global
        .offset:         8
        .size:           8
        .value_kind:     global_buffer
      - .address_space:  global
        .offset:         16
        .size:           8
        .value_kind:     global_buffer
      - .offset:         24
        .size:           32
        .value_kind:     by_value
      - .address_space:  global
        .offset:         56
        .size:           8
        .value_kind:     global_buffer
      - .offset:         64
        .size:           4
        .value_kind:     by_value
      - .offset:         68
        .size:           12
        .value_kind:     by_value
      - .offset:         80
        .size:           4
        .value_kind:     by_value
      - .offset:         84
        .size:           4
        .value_kind:     by_value
      - .offset:         88
        .size:           4
        .value_kind:     by_value
      - .offset:         92
        .size:           12
        .value_kind:     by_value
      - .offset:         104
        .size:           4
        .value_kind:     by_value
      - .offset:         108
        .size:           4
        .value_kind:     by_value
      - .offset:         112
        .size:           4
        .value_kind:     by_value
      - .offset:         116
        .size:           12
        .value_kind:     by_value
      - .offset:         128
        .size:           4
        .value_kind:     by_value
      - .offset:         132
        .size:           4
        .value_kind:     by_value
      - .offset:         136
        .size:           4
        .value_kind:     by_value
      - .offset:         140
        .size:           4
        .value_kind:     by_value
    .group_segment_fixed_size: 1536
    .kernarg_segment_align: 8
    .kernarg_segment_size: 144
    .language:       OpenCL C
    .language_version:
      - 2
      - 0
    .max_flat_workgroup_size: 128
    .name:           _ZL13mul_mat_vec_qIL9ggml_type6ELi3ELb0ELb0EEvPKvS2_PKi31ggml_cuda_mm_fusion_args_devicePfj15HIP_vector_typeIjLj3EEjjjS8_jjjS8_jjjj
    .private_segment_fixed_size: 32
    .sgpr_count:     32
    .sgpr_spill_count: 0
    .symbol:         _ZL13mul_mat_vec_qIL9ggml_type6ELi3ELb0ELb0EEvPKvS2_PKi31ggml_cuda_mm_fusion_args_devicePfj15HIP_vector_typeIjLj3EEjjjS8_jjjS8_jjjj.kd
    .uniform_work_group_size: 1
    .uses_dynamic_stack: false
    .vgpr_count:     62
    .vgpr_spill_count: 0
    .wavefront_size: 64
  - .agpr_count:     0
    .args:
      - .address_space:  global
        .offset:         0
        .size:           8
        .value_kind:     global_buffer
      - .address_space:  global
        .offset:         8
        .size:           8
        .value_kind:     global_buffer
      - .address_space:  global
        .offset:         16
        .size:           8
        .value_kind:     global_buffer
      - .offset:         24
        .size:           32
        .value_kind:     by_value
      - .address_space:  global
        .offset:         56
        .size:           8
        .value_kind:     global_buffer
      - .offset:         64
        .size:           4
        .value_kind:     by_value
      - .offset:         68
        .size:           12
        .value_kind:     by_value
      - .offset:         80
        .size:           4
        .value_kind:     by_value
      - .offset:         84
        .size:           4
        .value_kind:     by_value
      - .offset:         88
        .size:           4
        .value_kind:     by_value
      - .offset:         92
        .size:           12
        .value_kind:     by_value
      - .offset:         104
        .size:           4
        .value_kind:     by_value
      - .offset:         108
        .size:           4
        .value_kind:     by_value
      - .offset:         112
        .size:           4
        .value_kind:     by_value
      - .offset:         116
        .size:           12
        .value_kind:     by_value
      - .offset:         128
        .size:           4
        .value_kind:     by_value
      - .offset:         132
        .size:           4
        .value_kind:     by_value
      - .offset:         136
        .size:           4
        .value_kind:     by_value
      - .offset:         140
        .size:           4
        .value_kind:     by_value
    .group_segment_fixed_size: 2048
    .kernarg_segment_align: 8
    .kernarg_segment_size: 144
    .language:       OpenCL C
    .language_version:
      - 2
      - 0
    .max_flat_workgroup_size: 128
    .name:           _ZL13mul_mat_vec_qIL9ggml_type6ELi4ELb0ELb0EEvPKvS2_PKi31ggml_cuda_mm_fusion_args_devicePfj15HIP_vector_typeIjLj3EEjjjS8_jjjS8_jjjj
    .private_segment_fixed_size: 48
    .sgpr_count:     34
    .sgpr_spill_count: 0
    .symbol:         _ZL13mul_mat_vec_qIL9ggml_type6ELi4ELb0ELb0EEvPKvS2_PKi31ggml_cuda_mm_fusion_args_devicePfj15HIP_vector_typeIjLj3EEjjjS8_jjjS8_jjjj.kd
    .uniform_work_group_size: 1
    .uses_dynamic_stack: false
    .vgpr_count:     65
    .vgpr_spill_count: 0
    .wavefront_size: 64
  - .agpr_count:     0
    .args:
      - .address_space:  global
        .offset:         0
        .size:           8
        .value_kind:     global_buffer
      - .address_space:  global
        .offset:         8
        .size:           8
        .value_kind:     global_buffer
      - .address_space:  global
        .offset:         16
        .size:           8
        .value_kind:     global_buffer
      - .offset:         24
        .size:           32
        .value_kind:     by_value
      - .address_space:  global
        .offset:         56
        .size:           8
        .value_kind:     global_buffer
      - .offset:         64
        .size:           4
        .value_kind:     by_value
      - .offset:         68
        .size:           12
        .value_kind:     by_value
      - .offset:         80
        .size:           4
        .value_kind:     by_value
      - .offset:         84
        .size:           4
        .value_kind:     by_value
      - .offset:         88
        .size:           4
        .value_kind:     by_value
      - .offset:         92
        .size:           12
        .value_kind:     by_value
      - .offset:         104
        .size:           4
        .value_kind:     by_value
      - .offset:         108
        .size:           4
        .value_kind:     by_value
      - .offset:         112
        .size:           4
        .value_kind:     by_value
      - .offset:         116
        .size:           12
        .value_kind:     by_value
      - .offset:         128
        .size:           4
        .value_kind:     by_value
      - .offset:         132
        .size:           4
        .value_kind:     by_value
      - .offset:         136
        .size:           4
        .value_kind:     by_value
      - .offset:         140
        .size:           4
        .value_kind:     by_value
    .group_segment_fixed_size: 0
    .kernarg_segment_align: 8
    .kernarg_segment_size: 144
    .language:       OpenCL C
    .language_version:
      - 2
      - 0
    .max_flat_workgroup_size: 64
    .name:           _ZL13mul_mat_vec_qIL9ggml_type6ELi5ELb0ELb0EEvPKvS2_PKi31ggml_cuda_mm_fusion_args_devicePfj15HIP_vector_typeIjLj3EEjjjS8_jjjS8_jjjj
    .private_segment_fixed_size: 48
    .sgpr_count:     34
    .sgpr_spill_count: 0
    .symbol:         _ZL13mul_mat_vec_qIL9ggml_type6ELi5ELb0ELb0EEvPKvS2_PKi31ggml_cuda_mm_fusion_args_devicePfj15HIP_vector_typeIjLj3EEjjjS8_jjjS8_jjjj.kd
    .uniform_work_group_size: 1
    .uses_dynamic_stack: false
    .vgpr_count:     67
    .vgpr_spill_count: 0
    .wavefront_size: 64
  - .agpr_count:     0
    .args:
      - .address_space:  global
        .offset:         0
        .size:           8
        .value_kind:     global_buffer
      - .address_space:  global
        .offset:         8
        .size:           8
        .value_kind:     global_buffer
      - .address_space:  global
        .offset:         16
        .size:           8
        .value_kind:     global_buffer
      - .offset:         24
        .size:           32
        .value_kind:     by_value
      - .address_space:  global
        .offset:         56
        .size:           8
        .value_kind:     global_buffer
      - .offset:         64
        .size:           4
        .value_kind:     by_value
      - .offset:         68
        .size:           12
        .value_kind:     by_value
      - .offset:         80
        .size:           4
        .value_kind:     by_value
      - .offset:         84
        .size:           4
        .value_kind:     by_value
      - .offset:         88
        .size:           4
        .value_kind:     by_value
      - .offset:         92
        .size:           12
        .value_kind:     by_value
      - .offset:         104
        .size:           4
        .value_kind:     by_value
      - .offset:         108
        .size:           4
        .value_kind:     by_value
      - .offset:         112
        .size:           4
        .value_kind:     by_value
      - .offset:         116
        .size:           12
        .value_kind:     by_value
      - .offset:         128
        .size:           4
        .value_kind:     by_value
      - .offset:         132
        .size:           4
        .value_kind:     by_value
      - .offset:         136
        .size:           4
        .value_kind:     by_value
      - .offset:         140
        .size:           4
        .value_kind:     by_value
    .group_segment_fixed_size: 0
    .kernarg_segment_align: 8
    .kernarg_segment_size: 144
    .language:       OpenCL C
    .language_version:
      - 2
      - 0
    .max_flat_workgroup_size: 64
    .name:           _ZL13mul_mat_vec_qIL9ggml_type6ELi6ELb0ELb0EEvPKvS2_PKi31ggml_cuda_mm_fusion_args_devicePfj15HIP_vector_typeIjLj3EEjjjS8_jjjS8_jjjj
    .private_segment_fixed_size: 64
    .sgpr_count:     36
    .sgpr_spill_count: 0
    .symbol:         _ZL13mul_mat_vec_qIL9ggml_type6ELi6ELb0ELb0EEvPKvS2_PKi31ggml_cuda_mm_fusion_args_devicePfj15HIP_vector_typeIjLj3EEjjjS8_jjjS8_jjjj.kd
    .uniform_work_group_size: 1
    .uses_dynamic_stack: false
    .vgpr_count:     69
    .vgpr_spill_count: 0
    .wavefront_size: 64
  - .agpr_count:     0
    .args:
      - .address_space:  global
        .offset:         0
        .size:           8
        .value_kind:     global_buffer
      - .address_space:  global
        .offset:         8
        .size:           8
        .value_kind:     global_buffer
      - .address_space:  global
        .offset:         16
        .size:           8
        .value_kind:     global_buffer
      - .offset:         24
        .size:           32
        .value_kind:     by_value
      - .address_space:  global
        .offset:         56
        .size:           8
        .value_kind:     global_buffer
      - .offset:         64
        .size:           4
        .value_kind:     by_value
      - .offset:         68
        .size:           12
        .value_kind:     by_value
      - .offset:         80
        .size:           4
        .value_kind:     by_value
      - .offset:         84
        .size:           4
        .value_kind:     by_value
      - .offset:         88
        .size:           4
        .value_kind:     by_value
      - .offset:         92
        .size:           12
        .value_kind:     by_value
      - .offset:         104
        .size:           4
        .value_kind:     by_value
      - .offset:         108
        .size:           4
        .value_kind:     by_value
      - .offset:         112
        .size:           4
        .value_kind:     by_value
      - .offset:         116
        .size:           12
        .value_kind:     by_value
      - .offset:         128
        .size:           4
        .value_kind:     by_value
      - .offset:         132
        .size:           4
        .value_kind:     by_value
      - .offset:         136
        .size:           4
        .value_kind:     by_value
      - .offset:         140
        .size:           4
        .value_kind:     by_value
    .group_segment_fixed_size: 0
    .kernarg_segment_align: 8
    .kernarg_segment_size: 144
    .language:       OpenCL C
    .language_version:
      - 2
      - 0
    .max_flat_workgroup_size: 64
    .name:           _ZL13mul_mat_vec_qIL9ggml_type6ELi7ELb0ELb0EEvPKvS2_PKi31ggml_cuda_mm_fusion_args_devicePfj15HIP_vector_typeIjLj3EEjjjS8_jjjS8_jjjj
    .private_segment_fixed_size: 64
    .sgpr_count:     36
    .sgpr_spill_count: 0
    .symbol:         _ZL13mul_mat_vec_qIL9ggml_type6ELi7ELb0ELb0EEvPKvS2_PKi31ggml_cuda_mm_fusion_args_devicePfj15HIP_vector_typeIjLj3EEjjjS8_jjjS8_jjjj.kd
    .uniform_work_group_size: 1
    .uses_dynamic_stack: false
    .vgpr_count:     65
    .vgpr_spill_count: 0
    .wavefront_size: 64
  - .agpr_count:     0
    .args:
      - .address_space:  global
        .offset:         0
        .size:           8
        .value_kind:     global_buffer
      - .address_space:  global
        .offset:         8
        .size:           8
        .value_kind:     global_buffer
      - .address_space:  global
        .offset:         16
        .size:           8
        .value_kind:     global_buffer
      - .offset:         24
        .size:           32
        .value_kind:     by_value
      - .address_space:  global
        .offset:         56
        .size:           8
        .value_kind:     global_buffer
      - .offset:         64
        .size:           4
        .value_kind:     by_value
      - .offset:         68
        .size:           12
        .value_kind:     by_value
      - .offset:         80
        .size:           4
        .value_kind:     by_value
      - .offset:         84
        .size:           4
        .value_kind:     by_value
      - .offset:         88
        .size:           4
        .value_kind:     by_value
      - .offset:         92
        .size:           12
        .value_kind:     by_value
      - .offset:         104
        .size:           4
        .value_kind:     by_value
      - .offset:         108
        .size:           4
        .value_kind:     by_value
      - .offset:         112
        .size:           4
        .value_kind:     by_value
      - .offset:         116
        .size:           12
        .value_kind:     by_value
      - .offset:         128
        .size:           4
        .value_kind:     by_value
      - .offset:         132
        .size:           4
        .value_kind:     by_value
      - .offset:         136
        .size:           4
        .value_kind:     by_value
      - .offset:         140
        .size:           4
        .value_kind:     by_value
    .group_segment_fixed_size: 0
    .kernarg_segment_align: 8
    .kernarg_segment_size: 144
    .language:       OpenCL C
    .language_version:
      - 2
      - 0
    .max_flat_workgroup_size: 64
    .name:           _ZL13mul_mat_vec_qIL9ggml_type6ELi8ELb0ELb0EEvPKvS2_PKi31ggml_cuda_mm_fusion_args_devicePfj15HIP_vector_typeIjLj3EEjjjS8_jjjS8_jjjj
    .private_segment_fixed_size: 80
    .sgpr_count:     38
    .sgpr_spill_count: 0
    .symbol:         _ZL13mul_mat_vec_qIL9ggml_type6ELi8ELb0ELb0EEvPKvS2_PKi31ggml_cuda_mm_fusion_args_devicePfj15HIP_vector_typeIjLj3EEjjjS8_jjjS8_jjjj.kd
    .uniform_work_group_size: 1
    .uses_dynamic_stack: false
    .vgpr_count:     50
    .vgpr_spill_count: 0
    .wavefront_size: 64
  - .agpr_count:     0
    .args:
      - .address_space:  global
        .offset:         0
        .size:           8
        .value_kind:     global_buffer
      - .address_space:  global
        .offset:         8
        .size:           8
        .value_kind:     global_buffer
      - .address_space:  global
        .offset:         16
        .size:           8
        .value_kind:     global_buffer
      - .address_space:  global
        .offset:         24
        .size:           8
        .value_kind:     global_buffer
      - .offset:         32
        .size:           4
        .value_kind:     by_value
      - .offset:         36
        .size:           12
        .value_kind:     by_value
      - .offset:         48
        .size:           4
        .value_kind:     by_value
      - .offset:         52
        .size:           4
        .value_kind:     by_value
      - .offset:         56
        .size:           4
        .value_kind:     by_value
      - .offset:         60
        .size:           4
        .value_kind:     by_value
      - .offset:         64
        .size:           4
        .value_kind:     by_value
      - .offset:         68
        .size:           4
        .value_kind:     by_value
      - .offset:         72
        .size:           4
        .value_kind:     by_value
      - .offset:         76
        .size:           4
        .value_kind:     by_value
      - .offset:         80
        .size:           4
        .value_kind:     by_value
    .group_segment_fixed_size: 0
    .kernarg_segment_align: 8
    .kernarg_segment_size: 84
    .language:       OpenCL C
    .language_version:
      - 2
      - 0
    .max_flat_workgroup_size: 512
    .name:           _ZL17mul_mat_vec_q_moeIL9ggml_type7ELi2EEvPKvS2_PKiPfj15HIP_vector_typeIjLj3EEjjjjjjjjj
    .private_segment_fixed_size: 0
    .sgpr_count:     34
    .sgpr_spill_count: 0
    .symbol:         _ZL17mul_mat_vec_q_moeIL9ggml_type7ELi2EEvPKvS2_PKiPfj15HIP_vector_typeIjLj3EEjjjjjjjjj.kd
    .uniform_work_group_size: 1
    .uses_dynamic_stack: false
    .vgpr_count:     62
    .vgpr_spill_count: 0
    .wavefront_size: 64
  - .agpr_count:     0
    .args:
      - .address_space:  global
        .offset:         0
        .size:           8
        .value_kind:     global_buffer
      - .address_space:  global
        .offset:         8
        .size:           8
        .value_kind:     global_buffer
      - .address_space:  global
        .offset:         16
        .size:           8
        .value_kind:     global_buffer
      - .offset:         24
        .size:           32
        .value_kind:     by_value
      - .address_space:  global
        .offset:         56
        .size:           8
        .value_kind:     global_buffer
      - .offset:         64
        .size:           4
        .value_kind:     by_value
      - .offset:         68
        .size:           12
        .value_kind:     by_value
      - .offset:         80
        .size:           4
        .value_kind:     by_value
      - .offset:         84
        .size:           4
        .value_kind:     by_value
      - .offset:         88
        .size:           4
        .value_kind:     by_value
      - .offset:         92
        .size:           12
        .value_kind:     by_value
      - .offset:         104
        .size:           4
        .value_kind:     by_value
      - .offset:         108
        .size:           4
        .value_kind:     by_value
      - .offset:         112
        .size:           4
        .value_kind:     by_value
      - .offset:         116
        .size:           12
        .value_kind:     by_value
      - .offset:         128
        .size:           4
        .value_kind:     by_value
      - .offset:         132
        .size:           4
        .value_kind:     by_value
      - .offset:         136
        .size:           4
        .value_kind:     by_value
      - .offset:         140
        .size:           4
        .value_kind:     by_value
    .group_segment_fixed_size: 3072
    .kernarg_segment_align: 8
    .kernarg_segment_size: 144
    .language:       OpenCL C
    .language_version:
      - 2
      - 0
    .max_flat_workgroup_size: 128
    .name:           _ZL13mul_mat_vec_qIL9ggml_type7ELi1ELb1ELb1EEvPKvS2_PKi31ggml_cuda_mm_fusion_args_devicePfj15HIP_vector_typeIjLj3EEjjjS8_jjjS8_jjjj
    .private_segment_fixed_size: 0
    .sgpr_count:     52
    .sgpr_spill_count: 0
    .symbol:         _ZL13mul_mat_vec_qIL9ggml_type7ELi1ELb1ELb1EEvPKvS2_PKi31ggml_cuda_mm_fusion_args_devicePfj15HIP_vector_typeIjLj3EEjjjS8_jjjS8_jjjj.kd
    .uniform_work_group_size: 1
    .uses_dynamic_stack: false
    .vgpr_count:     54
    .vgpr_spill_count: 0
    .wavefront_size: 64
  - .agpr_count:     0
    .args:
      - .address_space:  global
        .offset:         0
        .size:           8
        .value_kind:     global_buffer
      - .address_space:  global
        .offset:         8
        .size:           8
        .value_kind:     global_buffer
      - .address_space:  global
        .offset:         16
        .size:           8
        .value_kind:     global_buffer
      - .offset:         24
        .size:           32
        .value_kind:     by_value
      - .address_space:  global
        .offset:         56
        .size:           8
        .value_kind:     global_buffer
      - .offset:         64
        .size:           4
        .value_kind:     by_value
      - .offset:         68
        .size:           12
        .value_kind:     by_value
      - .offset:         80
        .size:           4
        .value_kind:     by_value
      - .offset:         84
        .size:           4
        .value_kind:     by_value
      - .offset:         88
        .size:           4
        .value_kind:     by_value
      - .offset:         92
        .size:           12
        .value_kind:     by_value
      - .offset:         104
        .size:           4
        .value_kind:     by_value
      - .offset:         108
        .size:           4
        .value_kind:     by_value
      - .offset:         112
        .size:           4
        .value_kind:     by_value
      - .offset:         116
        .size:           12
        .value_kind:     by_value
      - .offset:         128
        .size:           4
        .value_kind:     by_value
      - .offset:         132
        .size:           4
        .value_kind:     by_value
      - .offset:         136
        .size:           4
        .value_kind:     by_value
      - .offset:         140
        .size:           4
        .value_kind:     by_value
    .group_segment_fixed_size: 1536
    .kernarg_segment_align: 8
    .kernarg_segment_size: 144
    .language:       OpenCL C
    .language_version:
      - 2
      - 0
    .max_flat_workgroup_size: 128
    .name:           _ZL13mul_mat_vec_qIL9ggml_type7ELi1ELb0ELb1EEvPKvS2_PKi31ggml_cuda_mm_fusion_args_devicePfj15HIP_vector_typeIjLj3EEjjjS8_jjjS8_jjjj
    .private_segment_fixed_size: 0
    .sgpr_count:     30
    .sgpr_spill_count: 0
    .symbol:         _ZL13mul_mat_vec_qIL9ggml_type7ELi1ELb0ELb1EEvPKvS2_PKi31ggml_cuda_mm_fusion_args_devicePfj15HIP_vector_typeIjLj3EEjjjS8_jjjS8_jjjj.kd
    .uniform_work_group_size: 1
    .uses_dynamic_stack: false
    .vgpr_count:     63
    .vgpr_spill_count: 0
    .wavefront_size: 64
  - .agpr_count:     0
    .args:
      - .address_space:  global
        .offset:         0
        .size:           8
        .value_kind:     global_buffer
      - .address_space:  global
        .offset:         8
        .size:           8
        .value_kind:     global_buffer
      - .address_space:  global
        .offset:         16
        .size:           8
        .value_kind:     global_buffer
      - .offset:         24
        .size:           32
        .value_kind:     by_value
      - .address_space:  global
        .offset:         56
        .size:           8
        .value_kind:     global_buffer
      - .offset:         64
        .size:           4
        .value_kind:     by_value
      - .offset:         68
        .size:           12
        .value_kind:     by_value
      - .offset:         80
        .size:           4
        .value_kind:     by_value
      - .offset:         84
        .size:           4
        .value_kind:     by_value
      - .offset:         88
        .size:           4
        .value_kind:     by_value
      - .offset:         92
        .size:           12
        .value_kind:     by_value
      - .offset:         104
        .size:           4
        .value_kind:     by_value
      - .offset:         108
        .size:           4
        .value_kind:     by_value
      - .offset:         112
        .size:           4
        .value_kind:     by_value
      - .offset:         116
        .size:           12
        .value_kind:     by_value
      - .offset:         128
        .size:           4
        .value_kind:     by_value
      - .offset:         132
        .size:           4
        .value_kind:     by_value
      - .offset:         136
        .size:           4
        .value_kind:     by_value
      - .offset:         140
        .size:           4
        .value_kind:     by_value
    .group_segment_fixed_size: 512
    .kernarg_segment_align: 8
    .kernarg_segment_size: 144
    .language:       OpenCL C
    .language_version:
      - 2
      - 0
    .max_flat_workgroup_size: 128
    .name:           _ZL13mul_mat_vec_qIL9ggml_type7ELi1ELb1ELb0EEvPKvS2_PKi31ggml_cuda_mm_fusion_args_devicePfj15HIP_vector_typeIjLj3EEjjjS8_jjjS8_jjjj
    .private_segment_fixed_size: 0
    .sgpr_count:     50
    .sgpr_spill_count: 0
    .symbol:         _ZL13mul_mat_vec_qIL9ggml_type7ELi1ELb1ELb0EEvPKvS2_PKi31ggml_cuda_mm_fusion_args_devicePfj15HIP_vector_typeIjLj3EEjjjS8_jjjS8_jjjj.kd
    .uniform_work_group_size: 1
    .uses_dynamic_stack: false
    .vgpr_count:     47
    .vgpr_spill_count: 0
    .wavefront_size: 64
  - .agpr_count:     0
    .args:
      - .address_space:  global
        .offset:         0
        .size:           8
        .value_kind:     global_buffer
      - .address_space:  global
        .offset:         8
        .size:           8
        .value_kind:     global_buffer
      - .address_space:  global
        .offset:         16
        .size:           8
        .value_kind:     global_buffer
      - .offset:         24
        .size:           32
        .value_kind:     by_value
      - .address_space:  global
        .offset:         56
        .size:           8
        .value_kind:     global_buffer
      - .offset:         64
        .size:           4
        .value_kind:     by_value
      - .offset:         68
        .size:           12
        .value_kind:     by_value
      - .offset:         80
        .size:           4
        .value_kind:     by_value
      - .offset:         84
        .size:           4
        .value_kind:     by_value
      - .offset:         88
        .size:           4
        .value_kind:     by_value
      - .offset:         92
        .size:           12
        .value_kind:     by_value
      - .offset:         104
        .size:           4
        .value_kind:     by_value
      - .offset:         108
        .size:           4
        .value_kind:     by_value
      - .offset:         112
        .size:           4
        .value_kind:     by_value
      - .offset:         116
        .size:           12
        .value_kind:     by_value
      - .offset:         128
        .size:           4
        .value_kind:     by_value
      - .offset:         132
        .size:           4
        .value_kind:     by_value
      - .offset:         136
        .size:           4
        .value_kind:     by_value
      - .offset:         140
        .size:           4
        .value_kind:     by_value
    .group_segment_fixed_size: 256
    .kernarg_segment_align: 8
    .kernarg_segment_size: 144
    .language:       OpenCL C
    .language_version:
      - 2
      - 0
    .max_flat_workgroup_size: 128
    .name:           _ZL13mul_mat_vec_qIL9ggml_type7ELi1ELb0ELb0EEvPKvS2_PKi31ggml_cuda_mm_fusion_args_devicePfj15HIP_vector_typeIjLj3EEjjjS8_jjjS8_jjjj
    .private_segment_fixed_size: 0
    .sgpr_count:     30
    .sgpr_spill_count: 0
    .symbol:         _ZL13mul_mat_vec_qIL9ggml_type7ELi1ELb0ELb0EEvPKvS2_PKi31ggml_cuda_mm_fusion_args_devicePfj15HIP_vector_typeIjLj3EEjjjS8_jjjS8_jjjj.kd
    .uniform_work_group_size: 1
    .uses_dynamic_stack: false
    .vgpr_count:     39
    .vgpr_spill_count: 0
    .wavefront_size: 64
  - .agpr_count:     0
    .args:
      - .address_space:  global
        .offset:         0
        .size:           8
        .value_kind:     global_buffer
      - .address_space:  global
        .offset:         8
        .size:           8
        .value_kind:     global_buffer
      - .address_space:  global
        .offset:         16
        .size:           8
        .value_kind:     global_buffer
      - .offset:         24
        .size:           32
        .value_kind:     by_value
      - .address_space:  global
        .offset:         56
        .size:           8
        .value_kind:     global_buffer
      - .offset:         64
        .size:           4
        .value_kind:     by_value
      - .offset:         68
        .size:           12
        .value_kind:     by_value
      - .offset:         80
        .size:           4
        .value_kind:     by_value
      - .offset:         84
        .size:           4
        .value_kind:     by_value
      - .offset:         88
        .size:           4
        .value_kind:     by_value
      - .offset:         92
        .size:           12
        .value_kind:     by_value
      - .offset:         104
        .size:           4
        .value_kind:     by_value
      - .offset:         108
        .size:           4
        .value_kind:     by_value
      - .offset:         112
        .size:           4
        .value_kind:     by_value
      - .offset:         116
        .size:           12
        .value_kind:     by_value
      - .offset:         128
        .size:           4
        .value_kind:     by_value
      - .offset:         132
        .size:           4
        .value_kind:     by_value
      - .offset:         136
        .size:           4
        .value_kind:     by_value
      - .offset:         140
        .size:           4
        .value_kind:     by_value
    .group_segment_fixed_size: 3072
    .kernarg_segment_align: 8
    .kernarg_segment_size: 144
    .language:       OpenCL C
    .language_version:
      - 2
      - 0
    .max_flat_workgroup_size: 128
    .name:           _ZL13mul_mat_vec_qIL9ggml_type7ELi2ELb0ELb0EEvPKvS2_PKi31ggml_cuda_mm_fusion_args_devicePfj15HIP_vector_typeIjLj3EEjjjS8_jjjS8_jjjj
    .private_segment_fixed_size: 0
    .sgpr_count:     32
    .sgpr_spill_count: 0
    .symbol:         _ZL13mul_mat_vec_qIL9ggml_type7ELi2ELb0ELb0EEvPKvS2_PKi31ggml_cuda_mm_fusion_args_devicePfj15HIP_vector_typeIjLj3EEjjjS8_jjjS8_jjjj.kd
    .uniform_work_group_size: 1
    .uses_dynamic_stack: false
    .vgpr_count:     63
    .vgpr_spill_count: 0
    .wavefront_size: 64
  - .agpr_count:     0
    .args:
      - .address_space:  global
        .offset:         0
        .size:           8
        .value_kind:     global_buffer
      - .address_space:  global
        .offset:         8
        .size:           8
        .value_kind:     global_buffer
      - .address_space:  global
        .offset:         16
        .size:           8
        .value_kind:     global_buffer
      - .offset:         24
        .size:           32
        .value_kind:     by_value
      - .address_space:  global
        .offset:         56
        .size:           8
        .value_kind:     global_buffer
      - .offset:         64
        .size:           4
        .value_kind:     by_value
      - .offset:         68
        .size:           12
        .value_kind:     by_value
      - .offset:         80
        .size:           4
        .value_kind:     by_value
      - .offset:         84
        .size:           4
        .value_kind:     by_value
      - .offset:         88
        .size:           4
        .value_kind:     by_value
      - .offset:         92
        .size:           12
        .value_kind:     by_value
      - .offset:         104
        .size:           4
        .value_kind:     by_value
      - .offset:         108
        .size:           4
        .value_kind:     by_value
      - .offset:         112
        .size:           4
        .value_kind:     by_value
      - .offset:         116
        .size:           12
        .value_kind:     by_value
      - .offset:         128
        .size:           4
        .value_kind:     by_value
      - .offset:         132
        .size:           4
        .value_kind:     by_value
      - .offset:         136
        .size:           4
        .value_kind:     by_value
      - .offset:         140
        .size:           4
        .value_kind:     by_value
    .group_segment_fixed_size: 1536
    .kernarg_segment_align: 8
    .kernarg_segment_size: 144
    .language:       OpenCL C
    .language_version:
      - 2
      - 0
    .max_flat_workgroup_size: 128
    .name:           _ZL13mul_mat_vec_qIL9ggml_type7ELi3ELb0ELb0EEvPKvS2_PKi31ggml_cuda_mm_fusion_args_devicePfj15HIP_vector_typeIjLj3EEjjjS8_jjjS8_jjjj
    .private_segment_fixed_size: 32
    .sgpr_count:     32
    .sgpr_spill_count: 0
    .symbol:         _ZL13mul_mat_vec_qIL9ggml_type7ELi3ELb0ELb0EEvPKvS2_PKi31ggml_cuda_mm_fusion_args_devicePfj15HIP_vector_typeIjLj3EEjjjS8_jjjS8_jjjj.kd
    .uniform_work_group_size: 1
    .uses_dynamic_stack: false
    .vgpr_count:     62
    .vgpr_spill_count: 0
    .wavefront_size: 64
  - .agpr_count:     0
    .args:
      - .address_space:  global
        .offset:         0
        .size:           8
        .value_kind:     global_buffer
      - .address_space:  global
        .offset:         8
        .size:           8
        .value_kind:     global_buffer
      - .address_space:  global
        .offset:         16
        .size:           8
        .value_kind:     global_buffer
      - .offset:         24
        .size:           32
        .value_kind:     by_value
      - .address_space:  global
        .offset:         56
        .size:           8
        .value_kind:     global_buffer
      - .offset:         64
        .size:           4
        .value_kind:     by_value
      - .offset:         68
        .size:           12
        .value_kind:     by_value
      - .offset:         80
        .size:           4
        .value_kind:     by_value
      - .offset:         84
        .size:           4
        .value_kind:     by_value
      - .offset:         88
        .size:           4
        .value_kind:     by_value
      - .offset:         92
        .size:           12
        .value_kind:     by_value
      - .offset:         104
        .size:           4
        .value_kind:     by_value
      - .offset:         108
        .size:           4
        .value_kind:     by_value
      - .offset:         112
        .size:           4
        .value_kind:     by_value
      - .offset:         116
        .size:           12
        .value_kind:     by_value
      - .offset:         128
        .size:           4
        .value_kind:     by_value
      - .offset:         132
        .size:           4
        .value_kind:     by_value
      - .offset:         136
        .size:           4
        .value_kind:     by_value
      - .offset:         140
        .size:           4
        .value_kind:     by_value
    .group_segment_fixed_size: 2048
    .kernarg_segment_align: 8
    .kernarg_segment_size: 144
    .language:       OpenCL C
    .language_version:
      - 2
      - 0
    .max_flat_workgroup_size: 128
    .name:           _ZL13mul_mat_vec_qIL9ggml_type7ELi4ELb0ELb0EEvPKvS2_PKi31ggml_cuda_mm_fusion_args_devicePfj15HIP_vector_typeIjLj3EEjjjS8_jjjS8_jjjj
    .private_segment_fixed_size: 48
    .sgpr_count:     32
    .sgpr_spill_count: 0
    .symbol:         _ZL13mul_mat_vec_qIL9ggml_type7ELi4ELb0ELb0EEvPKvS2_PKi31ggml_cuda_mm_fusion_args_devicePfj15HIP_vector_typeIjLj3EEjjjS8_jjjS8_jjjj.kd
    .uniform_work_group_size: 1
    .uses_dynamic_stack: false
    .vgpr_count:     65
    .vgpr_spill_count: 0
    .wavefront_size: 64
  - .agpr_count:     0
    .args:
      - .address_space:  global
        .offset:         0
        .size:           8
        .value_kind:     global_buffer
      - .address_space:  global
        .offset:         8
        .size:           8
        .value_kind:     global_buffer
      - .address_space:  global
        .offset:         16
        .size:           8
        .value_kind:     global_buffer
      - .offset:         24
        .size:           32
        .value_kind:     by_value
      - .address_space:  global
        .offset:         56
        .size:           8
        .value_kind:     global_buffer
      - .offset:         64
        .size:           4
        .value_kind:     by_value
      - .offset:         68
        .size:           12
        .value_kind:     by_value
      - .offset:         80
        .size:           4
        .value_kind:     by_value
      - .offset:         84
        .size:           4
        .value_kind:     by_value
      - .offset:         88
        .size:           4
        .value_kind:     by_value
      - .offset:         92
        .size:           12
        .value_kind:     by_value
      - .offset:         104
        .size:           4
        .value_kind:     by_value
      - .offset:         108
        .size:           4
        .value_kind:     by_value
      - .offset:         112
        .size:           4
        .value_kind:     by_value
      - .offset:         116
        .size:           12
        .value_kind:     by_value
      - .offset:         128
        .size:           4
        .value_kind:     by_value
      - .offset:         132
        .size:           4
        .value_kind:     by_value
      - .offset:         136
        .size:           4
        .value_kind:     by_value
      - .offset:         140
        .size:           4
        .value_kind:     by_value
    .group_segment_fixed_size: 0
    .kernarg_segment_align: 8
    .kernarg_segment_size: 144
    .language:       OpenCL C
    .language_version:
      - 2
      - 0
    .max_flat_workgroup_size: 64
    .name:           _ZL13mul_mat_vec_qIL9ggml_type7ELi5ELb0ELb0EEvPKvS2_PKi31ggml_cuda_mm_fusion_args_devicePfj15HIP_vector_typeIjLj3EEjjjS8_jjjS8_jjjj
    .private_segment_fixed_size: 48
    .sgpr_count:     34
    .sgpr_spill_count: 0
    .symbol:         _ZL13mul_mat_vec_qIL9ggml_type7ELi5ELb0ELb0EEvPKvS2_PKi31ggml_cuda_mm_fusion_args_devicePfj15HIP_vector_typeIjLj3EEjjjS8_jjjS8_jjjj.kd
    .uniform_work_group_size: 1
    .uses_dynamic_stack: false
    .vgpr_count:     70
    .vgpr_spill_count: 0
    .wavefront_size: 64
  - .agpr_count:     0
    .args:
      - .address_space:  global
        .offset:         0
        .size:           8
        .value_kind:     global_buffer
      - .address_space:  global
        .offset:         8
        .size:           8
        .value_kind:     global_buffer
      - .address_space:  global
        .offset:         16
        .size:           8
        .value_kind:     global_buffer
      - .offset:         24
        .size:           32
        .value_kind:     by_value
      - .address_space:  global
        .offset:         56
        .size:           8
        .value_kind:     global_buffer
      - .offset:         64
        .size:           4
        .value_kind:     by_value
      - .offset:         68
        .size:           12
        .value_kind:     by_value
      - .offset:         80
        .size:           4
        .value_kind:     by_value
      - .offset:         84
        .size:           4
        .value_kind:     by_value
      - .offset:         88
        .size:           4
        .value_kind:     by_value
      - .offset:         92
        .size:           12
        .value_kind:     by_value
      - .offset:         104
        .size:           4
        .value_kind:     by_value
      - .offset:         108
        .size:           4
        .value_kind:     by_value
      - .offset:         112
        .size:           4
        .value_kind:     by_value
      - .offset:         116
        .size:           12
        .value_kind:     by_value
      - .offset:         128
        .size:           4
        .value_kind:     by_value
      - .offset:         132
        .size:           4
        .value_kind:     by_value
      - .offset:         136
        .size:           4
        .value_kind:     by_value
      - .offset:         140
        .size:           4
        .value_kind:     by_value
    .group_segment_fixed_size: 0
    .kernarg_segment_align: 8
    .kernarg_segment_size: 144
    .language:       OpenCL C
    .language_version:
      - 2
      - 0
    .max_flat_workgroup_size: 64
    .name:           _ZL13mul_mat_vec_qIL9ggml_type7ELi6ELb0ELb0EEvPKvS2_PKi31ggml_cuda_mm_fusion_args_devicePfj15HIP_vector_typeIjLj3EEjjjS8_jjjS8_jjjj
    .private_segment_fixed_size: 64
    .sgpr_count:     34
    .sgpr_spill_count: 0
    .symbol:         _ZL13mul_mat_vec_qIL9ggml_type7ELi6ELb0ELb0EEvPKvS2_PKi31ggml_cuda_mm_fusion_args_devicePfj15HIP_vector_typeIjLj3EEjjjS8_jjjS8_jjjj.kd
    .uniform_work_group_size: 1
    .uses_dynamic_stack: false
    .vgpr_count:     69
    .vgpr_spill_count: 0
    .wavefront_size: 64
  - .agpr_count:     0
    .args:
      - .address_space:  global
        .offset:         0
        .size:           8
        .value_kind:     global_buffer
      - .address_space:  global
        .offset:         8
        .size:           8
        .value_kind:     global_buffer
      - .address_space:  global
        .offset:         16
        .size:           8
        .value_kind:     global_buffer
      - .offset:         24
        .size:           32
        .value_kind:     by_value
      - .address_space:  global
        .offset:         56
        .size:           8
        .value_kind:     global_buffer
      - .offset:         64
        .size:           4
        .value_kind:     by_value
      - .offset:         68
        .size:           12
        .value_kind:     by_value
      - .offset:         80
        .size:           4
        .value_kind:     by_value
      - .offset:         84
        .size:           4
        .value_kind:     by_value
      - .offset:         88
        .size:           4
        .value_kind:     by_value
      - .offset:         92
        .size:           12
        .value_kind:     by_value
      - .offset:         104
        .size:           4
        .value_kind:     by_value
      - .offset:         108
        .size:           4
        .value_kind:     by_value
      - .offset:         112
        .size:           4
        .value_kind:     by_value
      - .offset:         116
        .size:           12
        .value_kind:     by_value
      - .offset:         128
        .size:           4
        .value_kind:     by_value
      - .offset:         132
        .size:           4
        .value_kind:     by_value
      - .offset:         136
        .size:           4
        .value_kind:     by_value
      - .offset:         140
        .size:           4
        .value_kind:     by_value
    .group_segment_fixed_size: 0
    .kernarg_segment_align: 8
    .kernarg_segment_size: 144
    .language:       OpenCL C
    .language_version:
      - 2
      - 0
    .max_flat_workgroup_size: 64
    .name:           _ZL13mul_mat_vec_qIL9ggml_type7ELi7ELb0ELb0EEvPKvS2_PKi31ggml_cuda_mm_fusion_args_devicePfj15HIP_vector_typeIjLj3EEjjjS8_jjjS8_jjjj
    .private_segment_fixed_size: 64
    .sgpr_count:     36
    .sgpr_spill_count: 0
    .symbol:         _ZL13mul_mat_vec_qIL9ggml_type7ELi7ELb0ELb0EEvPKvS2_PKi31ggml_cuda_mm_fusion_args_devicePfj15HIP_vector_typeIjLj3EEjjjS8_jjjS8_jjjj.kd
    .uniform_work_group_size: 1
    .uses_dynamic_stack: false
    .vgpr_count:     46
    .vgpr_spill_count: 0
    .wavefront_size: 64
  - .agpr_count:     0
    .args:
      - .address_space:  global
        .offset:         0
        .size:           8
        .value_kind:     global_buffer
      - .address_space:  global
        .offset:         8
        .size:           8
        .value_kind:     global_buffer
      - .address_space:  global
        .offset:         16
        .size:           8
        .value_kind:     global_buffer
      - .offset:         24
        .size:           32
        .value_kind:     by_value
      - .address_space:  global
        .offset:         56
        .size:           8
        .value_kind:     global_buffer
      - .offset:         64
        .size:           4
        .value_kind:     by_value
      - .offset:         68
        .size:           12
        .value_kind:     by_value
      - .offset:         80
        .size:           4
        .value_kind:     by_value
      - .offset:         84
        .size:           4
        .value_kind:     by_value
      - .offset:         88
        .size:           4
        .value_kind:     by_value
      - .offset:         92
        .size:           12
        .value_kind:     by_value
      - .offset:         104
        .size:           4
        .value_kind:     by_value
      - .offset:         108
        .size:           4
        .value_kind:     by_value
      - .offset:         112
        .size:           4
        .value_kind:     by_value
      - .offset:         116
        .size:           12
        .value_kind:     by_value
      - .offset:         128
        .size:           4
        .value_kind:     by_value
      - .offset:         132
        .size:           4
        .value_kind:     by_value
      - .offset:         136
        .size:           4
        .value_kind:     by_value
      - .offset:         140
        .size:           4
        .value_kind:     by_value
    .group_segment_fixed_size: 0
    .kernarg_segment_align: 8
    .kernarg_segment_size: 144
    .language:       OpenCL C
    .language_version:
      - 2
      - 0
    .max_flat_workgroup_size: 64
    .name:           _ZL13mul_mat_vec_qIL9ggml_type7ELi8ELb0ELb0EEvPKvS2_PKi31ggml_cuda_mm_fusion_args_devicePfj15HIP_vector_typeIjLj3EEjjjS8_jjjS8_jjjj
    .private_segment_fixed_size: 80
    .sgpr_count:     36
    .sgpr_spill_count: 0
    .symbol:         _ZL13mul_mat_vec_qIL9ggml_type7ELi8ELb0ELb0EEvPKvS2_PKi31ggml_cuda_mm_fusion_args_devicePfj15HIP_vector_typeIjLj3EEjjjS8_jjjS8_jjjj.kd
    .uniform_work_group_size: 1
    .uses_dynamic_stack: false
    .vgpr_count:     48
    .vgpr_spill_count: 0
    .wavefront_size: 64
  - .agpr_count:     0
    .args:
      - .address_space:  global
        .offset:         0
        .size:           8
        .value_kind:     global_buffer
      - .address_space:  global
        .offset:         8
        .size:           8
        .value_kind:     global_buffer
      - .address_space:  global
        .offset:         16
        .size:           8
        .value_kind:     global_buffer
      - .address_space:  global
        .offset:         24
        .size:           8
        .value_kind:     global_buffer
      - .offset:         32
        .size:           4
        .value_kind:     by_value
      - .offset:         36
        .size:           12
        .value_kind:     by_value
      - .offset:         48
        .size:           4
        .value_kind:     by_value
      - .offset:         52
        .size:           4
        .value_kind:     by_value
      - .offset:         56
        .size:           4
        .value_kind:     by_value
      - .offset:         60
        .size:           4
        .value_kind:     by_value
      - .offset:         64
        .size:           4
        .value_kind:     by_value
      - .offset:         68
        .size:           4
        .value_kind:     by_value
      - .offset:         72
        .size:           4
        .value_kind:     by_value
      - .offset:         76
        .size:           4
        .value_kind:     by_value
      - .offset:         80
        .size:           4
        .value_kind:     by_value
    .group_segment_fixed_size: 0
    .kernarg_segment_align: 8
    .kernarg_segment_size: 84
    .language:       OpenCL C
    .language_version:
      - 2
      - 0
    .max_flat_workgroup_size: 512
    .name:           _ZL17mul_mat_vec_q_moeIL9ggml_type8ELi2EEvPKvS2_PKiPfj15HIP_vector_typeIjLj3EEjjjjjjjjj
    .private_segment_fixed_size: 0
    .sgpr_count:     34
    .sgpr_spill_count: 0
    .symbol:         _ZL17mul_mat_vec_q_moeIL9ggml_type8ELi2EEvPKvS2_PKiPfj15HIP_vector_typeIjLj3EEjjjjjjjjj.kd
    .uniform_work_group_size: 1
    .uses_dynamic_stack: false
    .vgpr_count:     30
    .vgpr_spill_count: 0
    .wavefront_size: 64
  - .agpr_count:     0
    .args:
      - .address_space:  global
        .offset:         0
        .size:           8
        .value_kind:     global_buffer
      - .address_space:  global
        .offset:         8
        .size:           8
        .value_kind:     global_buffer
      - .address_space:  global
        .offset:         16
        .size:           8
        .value_kind:     global_buffer
      - .offset:         24
        .size:           32
        .value_kind:     by_value
      - .address_space:  global
        .offset:         56
        .size:           8
        .value_kind:     global_buffer
      - .offset:         64
        .size:           4
        .value_kind:     by_value
      - .offset:         68
        .size:           12
        .value_kind:     by_value
      - .offset:         80
        .size:           4
        .value_kind:     by_value
      - .offset:         84
        .size:           4
        .value_kind:     by_value
      - .offset:         88
        .size:           4
        .value_kind:     by_value
      - .offset:         92
        .size:           12
        .value_kind:     by_value
      - .offset:         104
        .size:           4
        .value_kind:     by_value
      - .offset:         108
        .size:           4
        .value_kind:     by_value
      - .offset:         112
        .size:           4
        .value_kind:     by_value
      - .offset:         116
        .size:           12
        .value_kind:     by_value
      - .offset:         128
        .size:           4
        .value_kind:     by_value
      - .offset:         132
        .size:           4
        .value_kind:     by_value
      - .offset:         136
        .size:           4
        .value_kind:     by_value
      - .offset:         140
        .size:           4
        .value_kind:     by_value
    .group_segment_fixed_size: 3072
    .kernarg_segment_align: 8
    .kernarg_segment_size: 144
    .language:       OpenCL C
    .language_version:
      - 2
      - 0
    .max_flat_workgroup_size: 128
    .name:           _ZL13mul_mat_vec_qIL9ggml_type8ELi1ELb1ELb1EEvPKvS2_PKi31ggml_cuda_mm_fusion_args_devicePfj15HIP_vector_typeIjLj3EEjjjS8_jjjS8_jjjj
    .private_segment_fixed_size: 0
    .sgpr_count:     51
    .sgpr_spill_count: 0
    .symbol:         _ZL13mul_mat_vec_qIL9ggml_type8ELi1ELb1ELb1EEvPKvS2_PKi31ggml_cuda_mm_fusion_args_devicePfj15HIP_vector_typeIjLj3EEjjjS8_jjjS8_jjjj.kd
    .uniform_work_group_size: 1
    .uses_dynamic_stack: false
    .vgpr_count:     34
    .vgpr_spill_count: 0
    .wavefront_size: 64
  - .agpr_count:     0
    .args:
      - .address_space:  global
        .offset:         0
        .size:           8
        .value_kind:     global_buffer
      - .address_space:  global
        .offset:         8
        .size:           8
        .value_kind:     global_buffer
      - .address_space:  global
        .offset:         16
        .size:           8
        .value_kind:     global_buffer
      - .offset:         24
        .size:           32
        .value_kind:     by_value
      - .address_space:  global
        .offset:         56
        .size:           8
        .value_kind:     global_buffer
      - .offset:         64
        .size:           4
        .value_kind:     by_value
      - .offset:         68
        .size:           12
        .value_kind:     by_value
      - .offset:         80
        .size:           4
        .value_kind:     by_value
      - .offset:         84
        .size:           4
        .value_kind:     by_value
      - .offset:         88
        .size:           4
        .value_kind:     by_value
      - .offset:         92
        .size:           12
        .value_kind:     by_value
      - .offset:         104
        .size:           4
        .value_kind:     by_value
      - .offset:         108
        .size:           4
        .value_kind:     by_value
      - .offset:         112
        .size:           4
        .value_kind:     by_value
      - .offset:         116
        .size:           12
        .value_kind:     by_value
      - .offset:         128
        .size:           4
        .value_kind:     by_value
      - .offset:         132
        .size:           4
        .value_kind:     by_value
      - .offset:         136
        .size:           4
        .value_kind:     by_value
      - .offset:         140
        .size:           4
        .value_kind:     by_value
    .group_segment_fixed_size: 1536
    .kernarg_segment_align: 8
    .kernarg_segment_size: 144
    .language:       OpenCL C
    .language_version:
      - 2
      - 0
    .max_flat_workgroup_size: 128
    .name:           _ZL13mul_mat_vec_qIL9ggml_type8ELi1ELb0ELb1EEvPKvS2_PKi31ggml_cuda_mm_fusion_args_devicePfj15HIP_vector_typeIjLj3EEjjjS8_jjjS8_jjjj
    .private_segment_fixed_size: 0
    .sgpr_count:     30
    .sgpr_spill_count: 0
    .symbol:         _ZL13mul_mat_vec_qIL9ggml_type8ELi1ELb0ELb1EEvPKvS2_PKi31ggml_cuda_mm_fusion_args_devicePfj15HIP_vector_typeIjLj3EEjjjS8_jjjS8_jjjj.kd
    .uniform_work_group_size: 1
    .uses_dynamic_stack: false
    .vgpr_count:     30
    .vgpr_spill_count: 0
    .wavefront_size: 64
  - .agpr_count:     0
    .args:
      - .address_space:  global
        .offset:         0
        .size:           8
        .value_kind:     global_buffer
      - .address_space:  global
        .offset:         8
        .size:           8
        .value_kind:     global_buffer
      - .address_space:  global
        .offset:         16
        .size:           8
        .value_kind:     global_buffer
      - .offset:         24
        .size:           32
        .value_kind:     by_value
      - .address_space:  global
        .offset:         56
        .size:           8
        .value_kind:     global_buffer
      - .offset:         64
        .size:           4
        .value_kind:     by_value
      - .offset:         68
        .size:           12
        .value_kind:     by_value
      - .offset:         80
        .size:           4
        .value_kind:     by_value
      - .offset:         84
        .size:           4
        .value_kind:     by_value
      - .offset:         88
        .size:           4
        .value_kind:     by_value
      - .offset:         92
        .size:           12
        .value_kind:     by_value
      - .offset:         104
        .size:           4
        .value_kind:     by_value
      - .offset:         108
        .size:           4
        .value_kind:     by_value
      - .offset:         112
        .size:           4
        .value_kind:     by_value
      - .offset:         116
        .size:           12
        .value_kind:     by_value
      - .offset:         128
        .size:           4
        .value_kind:     by_value
      - .offset:         132
        .size:           4
        .value_kind:     by_value
      - .offset:         136
        .size:           4
        .value_kind:     by_value
      - .offset:         140
        .size:           4
        .value_kind:     by_value
    .group_segment_fixed_size: 512
    .kernarg_segment_align: 8
    .kernarg_segment_size: 144
    .language:       OpenCL C
    .language_version:
      - 2
      - 0
    .max_flat_workgroup_size: 128
    .name:           _ZL13mul_mat_vec_qIL9ggml_type8ELi1ELb1ELb0EEvPKvS2_PKi31ggml_cuda_mm_fusion_args_devicePfj15HIP_vector_typeIjLj3EEjjjS8_jjjS8_jjjj
    .private_segment_fixed_size: 0
    .sgpr_count:     50
    .sgpr_spill_count: 0
    .symbol:         _ZL13mul_mat_vec_qIL9ggml_type8ELi1ELb1ELb0EEvPKvS2_PKi31ggml_cuda_mm_fusion_args_devicePfj15HIP_vector_typeIjLj3EEjjjS8_jjjS8_jjjj.kd
    .uniform_work_group_size: 1
    .uses_dynamic_stack: false
    .vgpr_count:     27
    .vgpr_spill_count: 0
    .wavefront_size: 64
  - .agpr_count:     0
    .args:
      - .address_space:  global
        .offset:         0
        .size:           8
        .value_kind:     global_buffer
      - .address_space:  global
        .offset:         8
        .size:           8
        .value_kind:     global_buffer
      - .address_space:  global
        .offset:         16
        .size:           8
        .value_kind:     global_buffer
      - .offset:         24
        .size:           32
        .value_kind:     by_value
      - .address_space:  global
        .offset:         56
        .size:           8
        .value_kind:     global_buffer
      - .offset:         64
        .size:           4
        .value_kind:     by_value
      - .offset:         68
        .size:           12
        .value_kind:     by_value
      - .offset:         80
        .size:           4
        .value_kind:     by_value
      - .offset:         84
        .size:           4
        .value_kind:     by_value
      - .offset:         88
        .size:           4
        .value_kind:     by_value
      - .offset:         92
        .size:           12
        .value_kind:     by_value
      - .offset:         104
        .size:           4
        .value_kind:     by_value
      - .offset:         108
        .size:           4
        .value_kind:     by_value
      - .offset:         112
        .size:           4
        .value_kind:     by_value
      - .offset:         116
        .size:           12
        .value_kind:     by_value
      - .offset:         128
        .size:           4
        .value_kind:     by_value
      - .offset:         132
        .size:           4
        .value_kind:     by_value
      - .offset:         136
        .size:           4
        .value_kind:     by_value
      - .offset:         140
        .size:           4
        .value_kind:     by_value
    .group_segment_fixed_size: 256
    .kernarg_segment_align: 8
    .kernarg_segment_size: 144
    .language:       OpenCL C
    .language_version:
      - 2
      - 0
    .max_flat_workgroup_size: 128
    .name:           _ZL13mul_mat_vec_qIL9ggml_type8ELi1ELb0ELb0EEvPKvS2_PKi31ggml_cuda_mm_fusion_args_devicePfj15HIP_vector_typeIjLj3EEjjjS8_jjjS8_jjjj
    .private_segment_fixed_size: 0
    .sgpr_count:     30
    .sgpr_spill_count: 0
    .symbol:         _ZL13mul_mat_vec_qIL9ggml_type8ELi1ELb0ELb0EEvPKvS2_PKi31ggml_cuda_mm_fusion_args_devicePfj15HIP_vector_typeIjLj3EEjjjS8_jjjS8_jjjj.kd
    .uniform_work_group_size: 1
    .uses_dynamic_stack: false
    .vgpr_count:     21
    .vgpr_spill_count: 0
    .wavefront_size: 64
  - .agpr_count:     0
    .args:
      - .address_space:  global
        .offset:         0
        .size:           8
        .value_kind:     global_buffer
      - .address_space:  global
        .offset:         8
        .size:           8
        .value_kind:     global_buffer
      - .address_space:  global
        .offset:         16
        .size:           8
        .value_kind:     global_buffer
      - .offset:         24
        .size:           32
        .value_kind:     by_value
      - .address_space:  global
        .offset:         56
        .size:           8
        .value_kind:     global_buffer
      - .offset:         64
        .size:           4
        .value_kind:     by_value
      - .offset:         68
        .size:           12
        .value_kind:     by_value
      - .offset:         80
        .size:           4
        .value_kind:     by_value
      - .offset:         84
        .size:           4
        .value_kind:     by_value
      - .offset:         88
        .size:           4
        .value_kind:     by_value
      - .offset:         92
        .size:           12
        .value_kind:     by_value
      - .offset:         104
        .size:           4
        .value_kind:     by_value
      - .offset:         108
        .size:           4
        .value_kind:     by_value
      - .offset:         112
        .size:           4
        .value_kind:     by_value
      - .offset:         116
        .size:           12
        .value_kind:     by_value
      - .offset:         128
        .size:           4
        .value_kind:     by_value
      - .offset:         132
        .size:           4
        .value_kind:     by_value
      - .offset:         136
        .size:           4
        .value_kind:     by_value
      - .offset:         140
        .size:           4
        .value_kind:     by_value
    .group_segment_fixed_size: 3072
    .kernarg_segment_align: 8
    .kernarg_segment_size: 144
    .language:       OpenCL C
    .language_version:
      - 2
      - 0
    .max_flat_workgroup_size: 128
    .name:           _ZL13mul_mat_vec_qIL9ggml_type8ELi2ELb0ELb0EEvPKvS2_PKi31ggml_cuda_mm_fusion_args_devicePfj15HIP_vector_typeIjLj3EEjjjS8_jjjS8_jjjj
    .private_segment_fixed_size: 0
    .sgpr_count:     32
    .sgpr_spill_count: 0
    .symbol:         _ZL13mul_mat_vec_qIL9ggml_type8ELi2ELb0ELb0EEvPKvS2_PKi31ggml_cuda_mm_fusion_args_devicePfj15HIP_vector_typeIjLj3EEjjjS8_jjjS8_jjjj.kd
    .uniform_work_group_size: 1
    .uses_dynamic_stack: false
    .vgpr_count:     40
    .vgpr_spill_count: 0
    .wavefront_size: 64
  - .agpr_count:     0
    .args:
      - .address_space:  global
        .offset:         0
        .size:           8
        .value_kind:     global_buffer
      - .address_space:  global
        .offset:         8
        .size:           8
        .value_kind:     global_buffer
      - .address_space:  global
        .offset:         16
        .size:           8
        .value_kind:     global_buffer
      - .offset:         24
        .size:           32
        .value_kind:     by_value
      - .address_space:  global
        .offset:         56
        .size:           8
        .value_kind:     global_buffer
      - .offset:         64
        .size:           4
        .value_kind:     by_value
      - .offset:         68
        .size:           12
        .value_kind:     by_value
      - .offset:         80
        .size:           4
        .value_kind:     by_value
      - .offset:         84
        .size:           4
        .value_kind:     by_value
      - .offset:         88
        .size:           4
        .value_kind:     by_value
      - .offset:         92
        .size:           12
        .value_kind:     by_value
      - .offset:         104
        .size:           4
        .value_kind:     by_value
      - .offset:         108
        .size:           4
        .value_kind:     by_value
      - .offset:         112
        .size:           4
        .value_kind:     by_value
      - .offset:         116
        .size:           12
        .value_kind:     by_value
      - .offset:         128
        .size:           4
        .value_kind:     by_value
      - .offset:         132
        .size:           4
        .value_kind:     by_value
      - .offset:         136
        .size:           4
        .value_kind:     by_value
      - .offset:         140
        .size:           4
        .value_kind:     by_value
    .group_segment_fixed_size: 1536
    .kernarg_segment_align: 8
    .kernarg_segment_size: 144
    .language:       OpenCL C
    .language_version:
      - 2
      - 0
    .max_flat_workgroup_size: 128
    .name:           _ZL13mul_mat_vec_qIL9ggml_type8ELi3ELb0ELb0EEvPKvS2_PKi31ggml_cuda_mm_fusion_args_devicePfj15HIP_vector_typeIjLj3EEjjjS8_jjjS8_jjjj
    .private_segment_fixed_size: 32
    .sgpr_count:     32
    .sgpr_spill_count: 0
    .symbol:         _ZL13mul_mat_vec_qIL9ggml_type8ELi3ELb0ELb0EEvPKvS2_PKi31ggml_cuda_mm_fusion_args_devicePfj15HIP_vector_typeIjLj3EEjjjS8_jjjS8_jjjj.kd
    .uniform_work_group_size: 1
    .uses_dynamic_stack: false
    .vgpr_count:     50
    .vgpr_spill_count: 0
    .wavefront_size: 64
  - .agpr_count:     0
    .args:
      - .address_space:  global
        .offset:         0
        .size:           8
        .value_kind:     global_buffer
      - .address_space:  global
        .offset:         8
        .size:           8
        .value_kind:     global_buffer
      - .address_space:  global
        .offset:         16
        .size:           8
        .value_kind:     global_buffer
      - .offset:         24
        .size:           32
        .value_kind:     by_value
      - .address_space:  global
        .offset:         56
        .size:           8
        .value_kind:     global_buffer
      - .offset:         64
        .size:           4
        .value_kind:     by_value
      - .offset:         68
        .size:           12
        .value_kind:     by_value
      - .offset:         80
        .size:           4
        .value_kind:     by_value
      - .offset:         84
        .size:           4
        .value_kind:     by_value
      - .offset:         88
        .size:           4
        .value_kind:     by_value
      - .offset:         92
        .size:           12
        .value_kind:     by_value
      - .offset:         104
        .size:           4
        .value_kind:     by_value
      - .offset:         108
        .size:           4
        .value_kind:     by_value
      - .offset:         112
        .size:           4
        .value_kind:     by_value
      - .offset:         116
        .size:           12
        .value_kind:     by_value
      - .offset:         128
        .size:           4
        .value_kind:     by_value
      - .offset:         132
        .size:           4
        .value_kind:     by_value
      - .offset:         136
        .size:           4
        .value_kind:     by_value
      - .offset:         140
        .size:           4
        .value_kind:     by_value
    .group_segment_fixed_size: 2048
    .kernarg_segment_align: 8
    .kernarg_segment_size: 144
    .language:       OpenCL C
    .language_version:
      - 2
      - 0
    .max_flat_workgroup_size: 128
    .name:           _ZL13mul_mat_vec_qIL9ggml_type8ELi4ELb0ELb0EEvPKvS2_PKi31ggml_cuda_mm_fusion_args_devicePfj15HIP_vector_typeIjLj3EEjjjS8_jjjS8_jjjj
    .private_segment_fixed_size: 48
    .sgpr_count:     32
    .sgpr_spill_count: 0
    .symbol:         _ZL13mul_mat_vec_qIL9ggml_type8ELi4ELb0ELb0EEvPKvS2_PKi31ggml_cuda_mm_fusion_args_devicePfj15HIP_vector_typeIjLj3EEjjjS8_jjjS8_jjjj.kd
    .uniform_work_group_size: 1
    .uses_dynamic_stack: false
    .vgpr_count:     57
    .vgpr_spill_count: 0
    .wavefront_size: 64
  - .agpr_count:     0
    .args:
      - .address_space:  global
        .offset:         0
        .size:           8
        .value_kind:     global_buffer
      - .address_space:  global
        .offset:         8
        .size:           8
        .value_kind:     global_buffer
      - .address_space:  global
        .offset:         16
        .size:           8
        .value_kind:     global_buffer
      - .offset:         24
        .size:           32
        .value_kind:     by_value
      - .address_space:  global
        .offset:         56
        .size:           8
        .value_kind:     global_buffer
      - .offset:         64
        .size:           4
        .value_kind:     by_value
      - .offset:         68
        .size:           12
        .value_kind:     by_value
      - .offset:         80
        .size:           4
        .value_kind:     by_value
      - .offset:         84
        .size:           4
        .value_kind:     by_value
      - .offset:         88
        .size:           4
        .value_kind:     by_value
      - .offset:         92
        .size:           12
        .value_kind:     by_value
      - .offset:         104
        .size:           4
        .value_kind:     by_value
      - .offset:         108
        .size:           4
        .value_kind:     by_value
      - .offset:         112
        .size:           4
        .value_kind:     by_value
      - .offset:         116
        .size:           12
        .value_kind:     by_value
      - .offset:         128
        .size:           4
        .value_kind:     by_value
      - .offset:         132
        .size:           4
        .value_kind:     by_value
      - .offset:         136
        .size:           4
        .value_kind:     by_value
      - .offset:         140
        .size:           4
        .value_kind:     by_value
    .group_segment_fixed_size: 0
    .kernarg_segment_align: 8
    .kernarg_segment_size: 144
    .language:       OpenCL C
    .language_version:
      - 2
      - 0
    .max_flat_workgroup_size: 64
    .name:           _ZL13mul_mat_vec_qIL9ggml_type8ELi5ELb0ELb0EEvPKvS2_PKi31ggml_cuda_mm_fusion_args_devicePfj15HIP_vector_typeIjLj3EEjjjS8_jjjS8_jjjj
    .private_segment_fixed_size: 48
    .sgpr_count:     34
    .sgpr_spill_count: 0
    .symbol:         _ZL13mul_mat_vec_qIL9ggml_type8ELi5ELb0ELb0EEvPKvS2_PKi31ggml_cuda_mm_fusion_args_devicePfj15HIP_vector_typeIjLj3EEjjjS8_jjjS8_jjjj.kd
    .uniform_work_group_size: 1
    .uses_dynamic_stack: false
    .vgpr_count:     63
    .vgpr_spill_count: 0
    .wavefront_size: 64
  - .agpr_count:     0
    .args:
      - .address_space:  global
        .offset:         0
        .size:           8
        .value_kind:     global_buffer
      - .address_space:  global
        .offset:         8
        .size:           8
        .value_kind:     global_buffer
      - .address_space:  global
        .offset:         16
        .size:           8
        .value_kind:     global_buffer
      - .offset:         24
        .size:           32
        .value_kind:     by_value
      - .address_space:  global
        .offset:         56
        .size:           8
        .value_kind:     global_buffer
      - .offset:         64
        .size:           4
        .value_kind:     by_value
      - .offset:         68
        .size:           12
        .value_kind:     by_value
      - .offset:         80
        .size:           4
        .value_kind:     by_value
      - .offset:         84
        .size:           4
        .value_kind:     by_value
      - .offset:         88
        .size:           4
        .value_kind:     by_value
      - .offset:         92
        .size:           12
        .value_kind:     by_value
      - .offset:         104
        .size:           4
        .value_kind:     by_value
      - .offset:         108
        .size:           4
        .value_kind:     by_value
      - .offset:         112
        .size:           4
        .value_kind:     by_value
      - .offset:         116
        .size:           12
        .value_kind:     by_value
      - .offset:         128
        .size:           4
        .value_kind:     by_value
      - .offset:         132
        .size:           4
        .value_kind:     by_value
      - .offset:         136
        .size:           4
        .value_kind:     by_value
      - .offset:         140
        .size:           4
        .value_kind:     by_value
    .group_segment_fixed_size: 0
    .kernarg_segment_align: 8
    .kernarg_segment_size: 144
    .language:       OpenCL C
    .language_version:
      - 2
      - 0
    .max_flat_workgroup_size: 64
    .name:           _ZL13mul_mat_vec_qIL9ggml_type8ELi6ELb0ELb0EEvPKvS2_PKi31ggml_cuda_mm_fusion_args_devicePfj15HIP_vector_typeIjLj3EEjjjS8_jjjS8_jjjj
    .private_segment_fixed_size: 64
    .sgpr_count:     34
    .sgpr_spill_count: 0
    .symbol:         _ZL13mul_mat_vec_qIL9ggml_type8ELi6ELb0ELb0EEvPKvS2_PKi31ggml_cuda_mm_fusion_args_devicePfj15HIP_vector_typeIjLj3EEjjjS8_jjjS8_jjjj.kd
    .uniform_work_group_size: 1
    .uses_dynamic_stack: false
    .vgpr_count:     65
    .vgpr_spill_count: 0
    .wavefront_size: 64
  - .agpr_count:     0
    .args:
      - .address_space:  global
        .offset:         0
        .size:           8
        .value_kind:     global_buffer
      - .address_space:  global
        .offset:         8
        .size:           8
        .value_kind:     global_buffer
      - .address_space:  global
        .offset:         16
        .size:           8
        .value_kind:     global_buffer
      - .offset:         24
        .size:           32
        .value_kind:     by_value
      - .address_space:  global
        .offset:         56
        .size:           8
        .value_kind:     global_buffer
      - .offset:         64
        .size:           4
        .value_kind:     by_value
      - .offset:         68
        .size:           12
        .value_kind:     by_value
      - .offset:         80
        .size:           4
        .value_kind:     by_value
      - .offset:         84
        .size:           4
        .value_kind:     by_value
      - .offset:         88
        .size:           4
        .value_kind:     by_value
      - .offset:         92
        .size:           12
        .value_kind:     by_value
      - .offset:         104
        .size:           4
        .value_kind:     by_value
      - .offset:         108
        .size:           4
        .value_kind:     by_value
      - .offset:         112
        .size:           4
        .value_kind:     by_value
      - .offset:         116
        .size:           12
        .value_kind:     by_value
      - .offset:         128
        .size:           4
        .value_kind:     by_value
      - .offset:         132
        .size:           4
        .value_kind:     by_value
      - .offset:         136
        .size:           4
        .value_kind:     by_value
      - .offset:         140
        .size:           4
        .value_kind:     by_value
    .group_segment_fixed_size: 0
    .kernarg_segment_align: 8
    .kernarg_segment_size: 144
    .language:       OpenCL C
    .language_version:
      - 2
      - 0
    .max_flat_workgroup_size: 64
    .name:           _ZL13mul_mat_vec_qIL9ggml_type8ELi7ELb0ELb0EEvPKvS2_PKi31ggml_cuda_mm_fusion_args_devicePfj15HIP_vector_typeIjLj3EEjjjS8_jjjS8_jjjj
    .private_segment_fixed_size: 64
    .sgpr_count:     36
    .sgpr_spill_count: 0
    .symbol:         _ZL13mul_mat_vec_qIL9ggml_type8ELi7ELb0ELb0EEvPKvS2_PKi31ggml_cuda_mm_fusion_args_devicePfj15HIP_vector_typeIjLj3EEjjjS8_jjjS8_jjjj.kd
    .uniform_work_group_size: 1
    .uses_dynamic_stack: false
    .vgpr_count:     69
    .vgpr_spill_count: 0
    .wavefront_size: 64
  - .agpr_count:     0
    .args:
      - .address_space:  global
        .offset:         0
        .size:           8
        .value_kind:     global_buffer
      - .address_space:  global
        .offset:         8
        .size:           8
        .value_kind:     global_buffer
      - .address_space:  global
        .offset:         16
        .size:           8
        .value_kind:     global_buffer
      - .offset:         24
        .size:           32
        .value_kind:     by_value
      - .address_space:  global
        .offset:         56
        .size:           8
        .value_kind:     global_buffer
      - .offset:         64
        .size:           4
        .value_kind:     by_value
      - .offset:         68
        .size:           12
        .value_kind:     by_value
      - .offset:         80
        .size:           4
        .value_kind:     by_value
      - .offset:         84
        .size:           4
        .value_kind:     by_value
      - .offset:         88
        .size:           4
        .value_kind:     by_value
      - .offset:         92
        .size:           12
        .value_kind:     by_value
      - .offset:         104
        .size:           4
        .value_kind:     by_value
      - .offset:         108
        .size:           4
        .value_kind:     by_value
      - .offset:         112
        .size:           4
        .value_kind:     by_value
      - .offset:         116
        .size:           12
        .value_kind:     by_value
      - .offset:         128
        .size:           4
        .value_kind:     by_value
      - .offset:         132
        .size:           4
        .value_kind:     by_value
      - .offset:         136
        .size:           4
        .value_kind:     by_value
      - .offset:         140
        .size:           4
        .value_kind:     by_value
    .group_segment_fixed_size: 0
    .kernarg_segment_align: 8
    .kernarg_segment_size: 144
    .language:       OpenCL C
    .language_version:
      - 2
      - 0
    .max_flat_workgroup_size: 64
    .name:           _ZL13mul_mat_vec_qIL9ggml_type8ELi8ELb0ELb0EEvPKvS2_PKi31ggml_cuda_mm_fusion_args_devicePfj15HIP_vector_typeIjLj3EEjjjS8_jjjS8_jjjj
    .private_segment_fixed_size: 80
    .sgpr_count:     36
    .sgpr_spill_count: 0
    .symbol:         _ZL13mul_mat_vec_qIL9ggml_type8ELi8ELb0ELb0EEvPKvS2_PKi31ggml_cuda_mm_fusion_args_devicePfj15HIP_vector_typeIjLj3EEjjjS8_jjjS8_jjjj.kd
    .uniform_work_group_size: 1
    .uses_dynamic_stack: false
    .vgpr_count:     72
    .vgpr_spill_count: 0
    .wavefront_size: 64
  - .agpr_count:     0
    .args:
      - .address_space:  global
        .offset:         0
        .size:           8
        .value_kind:     global_buffer
      - .address_space:  global
        .offset:         8
        .size:           8
        .value_kind:     global_buffer
      - .address_space:  global
        .offset:         16
        .size:           8
        .value_kind:     global_buffer
      - .address_space:  global
        .offset:         24
        .size:           8
        .value_kind:     global_buffer
      - .offset:         32
        .size:           4
        .value_kind:     by_value
      - .offset:         36
        .size:           12
        .value_kind:     by_value
      - .offset:         48
        .size:           4
        .value_kind:     by_value
      - .offset:         52
        .size:           4
        .value_kind:     by_value
      - .offset:         56
        .size:           4
        .value_kind:     by_value
      - .offset:         60
        .size:           4
        .value_kind:     by_value
      - .offset:         64
        .size:           4
        .value_kind:     by_value
      - .offset:         68
        .size:           4
        .value_kind:     by_value
      - .offset:         72
        .size:           4
        .value_kind:     by_value
      - .offset:         76
        .size:           4
        .value_kind:     by_value
      - .offset:         80
        .size:           4
        .value_kind:     by_value
    .group_segment_fixed_size: 0
    .kernarg_segment_align: 8
    .kernarg_segment_size: 84
    .language:       OpenCL C
    .language_version:
      - 2
      - 0
    .max_flat_workgroup_size: 512
    .name:           _ZL17mul_mat_vec_q_moeIL9ggml_type39ELi2EEvPKvS2_PKiPfj15HIP_vector_typeIjLj3EEjjjjjjjjj
    .private_segment_fixed_size: 0
    .sgpr_count:     35
    .sgpr_spill_count: 0
    .symbol:         _ZL17mul_mat_vec_q_moeIL9ggml_type39ELi2EEvPKvS2_PKiPfj15HIP_vector_typeIjLj3EEjjjjjjjjj.kd
    .uniform_work_group_size: 1
    .uses_dynamic_stack: false
    .vgpr_count:     49
    .vgpr_spill_count: 0
    .wavefront_size: 64
  - .agpr_count:     0
    .args:
      - .address_space:  global
        .offset:         0
        .size:           8
        .value_kind:     global_buffer
      - .address_space:  global
        .offset:         8
        .size:           8
        .value_kind:     global_buffer
      - .address_space:  global
        .offset:         16
        .size:           8
        .value_kind:     global_buffer
      - .offset:         24
        .size:           32
        .value_kind:     by_value
      - .address_space:  global
        .offset:         56
        .size:           8
        .value_kind:     global_buffer
      - .offset:         64
        .size:           4
        .value_kind:     by_value
      - .offset:         68
        .size:           12
        .value_kind:     by_value
      - .offset:         80
        .size:           4
        .value_kind:     by_value
      - .offset:         84
        .size:           4
        .value_kind:     by_value
      - .offset:         88
        .size:           4
        .value_kind:     by_value
      - .offset:         92
        .size:           12
        .value_kind:     by_value
      - .offset:         104
        .size:           4
        .value_kind:     by_value
      - .offset:         108
        .size:           4
        .value_kind:     by_value
      - .offset:         112
        .size:           4
        .value_kind:     by_value
      - .offset:         116
        .size:           12
        .value_kind:     by_value
      - .offset:         128
        .size:           4
        .value_kind:     by_value
      - .offset:         132
        .size:           4
        .value_kind:     by_value
      - .offset:         136
        .size:           4
        .value_kind:     by_value
      - .offset:         140
        .size:           4
        .value_kind:     by_value
    .group_segment_fixed_size: 3072
    .kernarg_segment_align: 8
    .kernarg_segment_size: 144
    .language:       OpenCL C
    .language_version:
      - 2
      - 0
    .max_flat_workgroup_size: 128
    .name:           _ZL13mul_mat_vec_qIL9ggml_type39ELi1ELb1ELb1EEvPKvS2_PKi31ggml_cuda_mm_fusion_args_devicePfj15HIP_vector_typeIjLj3EEjjjS8_jjjS8_jjjj
    .private_segment_fixed_size: 0
    .sgpr_count:     52
    .sgpr_spill_count: 0
    .symbol:         _ZL13mul_mat_vec_qIL9ggml_type39ELi1ELb1ELb1EEvPKvS2_PKi31ggml_cuda_mm_fusion_args_devicePfj15HIP_vector_typeIjLj3EEjjjS8_jjjS8_jjjj.kd
    .uniform_work_group_size: 1
    .uses_dynamic_stack: false
    .vgpr_count:     47
    .vgpr_spill_count: 0
    .wavefront_size: 64
  - .agpr_count:     0
    .args:
      - .address_space:  global
        .offset:         0
        .size:           8
        .value_kind:     global_buffer
      - .address_space:  global
        .offset:         8
        .size:           8
        .value_kind:     global_buffer
      - .address_space:  global
        .offset:         16
        .size:           8
        .value_kind:     global_buffer
      - .offset:         24
        .size:           32
        .value_kind:     by_value
      - .address_space:  global
        .offset:         56
        .size:           8
        .value_kind:     global_buffer
      - .offset:         64
        .size:           4
        .value_kind:     by_value
      - .offset:         68
        .size:           12
        .value_kind:     by_value
      - .offset:         80
        .size:           4
        .value_kind:     by_value
      - .offset:         84
        .size:           4
        .value_kind:     by_value
      - .offset:         88
        .size:           4
        .value_kind:     by_value
      - .offset:         92
        .size:           12
        .value_kind:     by_value
      - .offset:         104
        .size:           4
        .value_kind:     by_value
      - .offset:         108
        .size:           4
        .value_kind:     by_value
      - .offset:         112
        .size:           4
        .value_kind:     by_value
      - .offset:         116
        .size:           12
        .value_kind:     by_value
      - .offset:         128
        .size:           4
        .value_kind:     by_value
      - .offset:         132
        .size:           4
        .value_kind:     by_value
      - .offset:         136
        .size:           4
        .value_kind:     by_value
      - .offset:         140
        .size:           4
        .value_kind:     by_value
    .group_segment_fixed_size: 1536
    .kernarg_segment_align: 8
    .kernarg_segment_size: 144
    .language:       OpenCL C
    .language_version:
      - 2
      - 0
    .max_flat_workgroup_size: 128
    .name:           _ZL13mul_mat_vec_qIL9ggml_type39ELi1ELb0ELb1EEvPKvS2_PKi31ggml_cuda_mm_fusion_args_devicePfj15HIP_vector_typeIjLj3EEjjjS8_jjjS8_jjjj
    .private_segment_fixed_size: 0
    .sgpr_count:     31
    .sgpr_spill_count: 0
    .symbol:         _ZL13mul_mat_vec_qIL9ggml_type39ELi1ELb0ELb1EEvPKvS2_PKi31ggml_cuda_mm_fusion_args_devicePfj15HIP_vector_typeIjLj3EEjjjS8_jjjS8_jjjj.kd
    .uniform_work_group_size: 1
    .uses_dynamic_stack: false
    .vgpr_count:     48
    .vgpr_spill_count: 0
    .wavefront_size: 64
  - .agpr_count:     0
    .args:
      - .address_space:  global
        .offset:         0
        .size:           8
        .value_kind:     global_buffer
      - .address_space:  global
        .offset:         8
        .size:           8
        .value_kind:     global_buffer
      - .address_space:  global
        .offset:         16
        .size:           8
        .value_kind:     global_buffer
      - .offset:         24
        .size:           32
        .value_kind:     by_value
      - .address_space:  global
        .offset:         56
        .size:           8
        .value_kind:     global_buffer
      - .offset:         64
        .size:           4
        .value_kind:     by_value
      - .offset:         68
        .size:           12
        .value_kind:     by_value
      - .offset:         80
        .size:           4
        .value_kind:     by_value
      - .offset:         84
        .size:           4
        .value_kind:     by_value
      - .offset:         88
        .size:           4
        .value_kind:     by_value
      - .offset:         92
        .size:           12
        .value_kind:     by_value
      - .offset:         104
        .size:           4
        .value_kind:     by_value
      - .offset:         108
        .size:           4
        .value_kind:     by_value
      - .offset:         112
        .size:           4
        .value_kind:     by_value
      - .offset:         116
        .size:           12
        .value_kind:     by_value
      - .offset:         128
        .size:           4
        .value_kind:     by_value
      - .offset:         132
        .size:           4
        .value_kind:     by_value
      - .offset:         136
        .size:           4
        .value_kind:     by_value
      - .offset:         140
        .size:           4
        .value_kind:     by_value
    .group_segment_fixed_size: 512
    .kernarg_segment_align: 8
    .kernarg_segment_size: 144
    .language:       OpenCL C
    .language_version:
      - 2
      - 0
    .max_flat_workgroup_size: 128
    .name:           _ZL13mul_mat_vec_qIL9ggml_type39ELi1ELb1ELb0EEvPKvS2_PKi31ggml_cuda_mm_fusion_args_devicePfj15HIP_vector_typeIjLj3EEjjjS8_jjjS8_jjjj
    .private_segment_fixed_size: 0
    .sgpr_count:     50
    .sgpr_spill_count: 0
    .symbol:         _ZL13mul_mat_vec_qIL9ggml_type39ELi1ELb1ELb0EEvPKvS2_PKi31ggml_cuda_mm_fusion_args_devicePfj15HIP_vector_typeIjLj3EEjjjS8_jjjS8_jjjj.kd
    .uniform_work_group_size: 1
    .uses_dynamic_stack: false
    .vgpr_count:     41
    .vgpr_spill_count: 0
    .wavefront_size: 64
  - .agpr_count:     0
    .args:
      - .address_space:  global
        .offset:         0
        .size:           8
        .value_kind:     global_buffer
      - .address_space:  global
        .offset:         8
        .size:           8
        .value_kind:     global_buffer
      - .address_space:  global
        .offset:         16
        .size:           8
        .value_kind:     global_buffer
      - .offset:         24
        .size:           32
        .value_kind:     by_value
      - .address_space:  global
        .offset:         56
        .size:           8
        .value_kind:     global_buffer
      - .offset:         64
        .size:           4
        .value_kind:     by_value
      - .offset:         68
        .size:           12
        .value_kind:     by_value
      - .offset:         80
        .size:           4
        .value_kind:     by_value
      - .offset:         84
        .size:           4
        .value_kind:     by_value
      - .offset:         88
        .size:           4
        .value_kind:     by_value
      - .offset:         92
        .size:           12
        .value_kind:     by_value
      - .offset:         104
        .size:           4
        .value_kind:     by_value
      - .offset:         108
        .size:           4
        .value_kind:     by_value
      - .offset:         112
        .size:           4
        .value_kind:     by_value
      - .offset:         116
        .size:           12
        .value_kind:     by_value
      - .offset:         128
        .size:           4
        .value_kind:     by_value
      - .offset:         132
        .size:           4
        .value_kind:     by_value
      - .offset:         136
        .size:           4
        .value_kind:     by_value
      - .offset:         140
        .size:           4
        .value_kind:     by_value
    .group_segment_fixed_size: 256
    .kernarg_segment_align: 8
    .kernarg_segment_size: 144
    .language:       OpenCL C
    .language_version:
      - 2
      - 0
    .max_flat_workgroup_size: 128
    .name:           _ZL13mul_mat_vec_qIL9ggml_type39ELi1ELb0ELb0EEvPKvS2_PKi31ggml_cuda_mm_fusion_args_devicePfj15HIP_vector_typeIjLj3EEjjjS8_jjjS8_jjjj
    .private_segment_fixed_size: 0
    .sgpr_count:     30
    .sgpr_spill_count: 0
    .symbol:         _ZL13mul_mat_vec_qIL9ggml_type39ELi1ELb0ELb0EEvPKvS2_PKi31ggml_cuda_mm_fusion_args_devicePfj15HIP_vector_typeIjLj3EEjjjS8_jjjS8_jjjj.kd
    .uniform_work_group_size: 1
    .uses_dynamic_stack: false
    .vgpr_count:     33
    .vgpr_spill_count: 0
    .wavefront_size: 64
  - .agpr_count:     0
    .args:
      - .address_space:  global
        .offset:         0
        .size:           8
        .value_kind:     global_buffer
      - .address_space:  global
        .offset:         8
        .size:           8
        .value_kind:     global_buffer
      - .address_space:  global
        .offset:         16
        .size:           8
        .value_kind:     global_buffer
      - .offset:         24
        .size:           32
        .value_kind:     by_value
      - .address_space:  global
        .offset:         56
        .size:           8
        .value_kind:     global_buffer
      - .offset:         64
        .size:           4
        .value_kind:     by_value
      - .offset:         68
        .size:           12
        .value_kind:     by_value
      - .offset:         80
        .size:           4
        .value_kind:     by_value
      - .offset:         84
        .size:           4
        .value_kind:     by_value
      - .offset:         88
        .size:           4
        .value_kind:     by_value
      - .offset:         92
        .size:           12
        .value_kind:     by_value
      - .offset:         104
        .size:           4
        .value_kind:     by_value
      - .offset:         108
        .size:           4
        .value_kind:     by_value
      - .offset:         112
        .size:           4
        .value_kind:     by_value
      - .offset:         116
        .size:           12
        .value_kind:     by_value
      - .offset:         128
        .size:           4
        .value_kind:     by_value
      - .offset:         132
        .size:           4
        .value_kind:     by_value
      - .offset:         136
        .size:           4
        .value_kind:     by_value
      - .offset:         140
        .size:           4
        .value_kind:     by_value
    .group_segment_fixed_size: 3072
    .kernarg_segment_align: 8
    .kernarg_segment_size: 144
    .language:       OpenCL C
    .language_version:
      - 2
      - 0
    .max_flat_workgroup_size: 128
    .name:           _ZL13mul_mat_vec_qIL9ggml_type39ELi2ELb0ELb0EEvPKvS2_PKi31ggml_cuda_mm_fusion_args_devicePfj15HIP_vector_typeIjLj3EEjjjS8_jjjS8_jjjj
    .private_segment_fixed_size: 0
    .sgpr_count:     34
    .sgpr_spill_count: 0
    .symbol:         _ZL13mul_mat_vec_qIL9ggml_type39ELi2ELb0ELb0EEvPKvS2_PKi31ggml_cuda_mm_fusion_args_devicePfj15HIP_vector_typeIjLj3EEjjjS8_jjjS8_jjjj.kd
    .uniform_work_group_size: 1
    .uses_dynamic_stack: false
    .vgpr_count:     57
    .vgpr_spill_count: 0
    .wavefront_size: 64
  - .agpr_count:     0
    .args:
      - .address_space:  global
        .offset:         0
        .size:           8
        .value_kind:     global_buffer
      - .address_space:  global
        .offset:         8
        .size:           8
        .value_kind:     global_buffer
      - .address_space:  global
        .offset:         16
        .size:           8
        .value_kind:     global_buffer
      - .offset:         24
        .size:           32
        .value_kind:     by_value
      - .address_space:  global
        .offset:         56
        .size:           8
        .value_kind:     global_buffer
      - .offset:         64
        .size:           4
        .value_kind:     by_value
      - .offset:         68
        .size:           12
        .value_kind:     by_value
      - .offset:         80
        .size:           4
        .value_kind:     by_value
      - .offset:         84
        .size:           4
        .value_kind:     by_value
      - .offset:         88
        .size:           4
        .value_kind:     by_value
      - .offset:         92
        .size:           12
        .value_kind:     by_value
      - .offset:         104
        .size:           4
        .value_kind:     by_value
      - .offset:         108
        .size:           4
        .value_kind:     by_value
      - .offset:         112
        .size:           4
        .value_kind:     by_value
      - .offset:         116
        .size:           12
        .value_kind:     by_value
      - .offset:         128
        .size:           4
        .value_kind:     by_value
      - .offset:         132
        .size:           4
        .value_kind:     by_value
      - .offset:         136
        .size:           4
        .value_kind:     by_value
      - .offset:         140
        .size:           4
        .value_kind:     by_value
    .group_segment_fixed_size: 1536
    .kernarg_segment_align: 8
    .kernarg_segment_size: 144
    .language:       OpenCL C
    .language_version:
      - 2
      - 0
    .max_flat_workgroup_size: 128
    .name:           _ZL13mul_mat_vec_qIL9ggml_type39ELi3ELb0ELb0EEvPKvS2_PKi31ggml_cuda_mm_fusion_args_devicePfj15HIP_vector_typeIjLj3EEjjjS8_jjjS8_jjjj
    .private_segment_fixed_size: 32
    .sgpr_count:     33
    .sgpr_spill_count: 0
    .symbol:         _ZL13mul_mat_vec_qIL9ggml_type39ELi3ELb0ELb0EEvPKvS2_PKi31ggml_cuda_mm_fusion_args_devicePfj15HIP_vector_typeIjLj3EEjjjS8_jjjS8_jjjj.kd
    .uniform_work_group_size: 1
    .uses_dynamic_stack: false
    .vgpr_count:     63
    .vgpr_spill_count: 0
    .wavefront_size: 64
  - .agpr_count:     0
    .args:
      - .address_space:  global
        .offset:         0
        .size:           8
        .value_kind:     global_buffer
      - .address_space:  global
        .offset:         8
        .size:           8
        .value_kind:     global_buffer
      - .address_space:  global
        .offset:         16
        .size:           8
        .value_kind:     global_buffer
      - .offset:         24
        .size:           32
        .value_kind:     by_value
      - .address_space:  global
        .offset:         56
        .size:           8
        .value_kind:     global_buffer
      - .offset:         64
        .size:           4
        .value_kind:     by_value
      - .offset:         68
        .size:           12
        .value_kind:     by_value
      - .offset:         80
        .size:           4
        .value_kind:     by_value
      - .offset:         84
        .size:           4
        .value_kind:     by_value
      - .offset:         88
        .size:           4
        .value_kind:     by_value
      - .offset:         92
        .size:           12
        .value_kind:     by_value
      - .offset:         104
        .size:           4
        .value_kind:     by_value
      - .offset:         108
        .size:           4
        .value_kind:     by_value
      - .offset:         112
        .size:           4
        .value_kind:     by_value
      - .offset:         116
        .size:           12
        .value_kind:     by_value
      - .offset:         128
        .size:           4
        .value_kind:     by_value
      - .offset:         132
        .size:           4
        .value_kind:     by_value
      - .offset:         136
        .size:           4
        .value_kind:     by_value
      - .offset:         140
        .size:           4
        .value_kind:     by_value
    .group_segment_fixed_size: 2048
    .kernarg_segment_align: 8
    .kernarg_segment_size: 144
    .language:       OpenCL C
    .language_version:
      - 2
      - 0
    .max_flat_workgroup_size: 128
    .name:           _ZL13mul_mat_vec_qIL9ggml_type39ELi4ELb0ELb0EEvPKvS2_PKi31ggml_cuda_mm_fusion_args_devicePfj15HIP_vector_typeIjLj3EEjjjS8_jjjS8_jjjj
    .private_segment_fixed_size: 48
    .sgpr_count:     34
    .sgpr_spill_count: 0
    .symbol:         _ZL13mul_mat_vec_qIL9ggml_type39ELi4ELb0ELb0EEvPKvS2_PKi31ggml_cuda_mm_fusion_args_devicePfj15HIP_vector_typeIjLj3EEjjjS8_jjjS8_jjjj.kd
    .uniform_work_group_size: 1
    .uses_dynamic_stack: false
    .vgpr_count:     65
    .vgpr_spill_count: 0
    .wavefront_size: 64
  - .agpr_count:     0
    .args:
      - .address_space:  global
        .offset:         0
        .size:           8
        .value_kind:     global_buffer
      - .address_space:  global
        .offset:         8
        .size:           8
        .value_kind:     global_buffer
      - .address_space:  global
        .offset:         16
        .size:           8
        .value_kind:     global_buffer
      - .offset:         24
        .size:           32
        .value_kind:     by_value
      - .address_space:  global
        .offset:         56
        .size:           8
        .value_kind:     global_buffer
      - .offset:         64
        .size:           4
        .value_kind:     by_value
      - .offset:         68
        .size:           12
        .value_kind:     by_value
      - .offset:         80
        .size:           4
        .value_kind:     by_value
      - .offset:         84
        .size:           4
        .value_kind:     by_value
      - .offset:         88
        .size:           4
        .value_kind:     by_value
      - .offset:         92
        .size:           12
        .value_kind:     by_value
      - .offset:         104
        .size:           4
        .value_kind:     by_value
      - .offset:         108
        .size:           4
        .value_kind:     by_value
      - .offset:         112
        .size:           4
        .value_kind:     by_value
      - .offset:         116
        .size:           12
        .value_kind:     by_value
      - .offset:         128
        .size:           4
        .value_kind:     by_value
      - .offset:         132
        .size:           4
        .value_kind:     by_value
      - .offset:         136
        .size:           4
        .value_kind:     by_value
      - .offset:         140
        .size:           4
        .value_kind:     by_value
    .group_segment_fixed_size: 0
    .kernarg_segment_align: 8
    .kernarg_segment_size: 144
    .language:       OpenCL C
    .language_version:
      - 2
      - 0
    .max_flat_workgroup_size: 64
    .name:           _ZL13mul_mat_vec_qIL9ggml_type39ELi5ELb0ELb0EEvPKvS2_PKi31ggml_cuda_mm_fusion_args_devicePfj15HIP_vector_typeIjLj3EEjjjS8_jjjS8_jjjj
    .private_segment_fixed_size: 48
    .sgpr_count:     35
    .sgpr_spill_count: 0
    .symbol:         _ZL13mul_mat_vec_qIL9ggml_type39ELi5ELb0ELb0EEvPKvS2_PKi31ggml_cuda_mm_fusion_args_devicePfj15HIP_vector_typeIjLj3EEjjjS8_jjjS8_jjjj.kd
    .uniform_work_group_size: 1
    .uses_dynamic_stack: false
    .vgpr_count:     65
    .vgpr_spill_count: 0
    .wavefront_size: 64
  - .agpr_count:     0
    .args:
      - .address_space:  global
        .offset:         0
        .size:           8
        .value_kind:     global_buffer
      - .address_space:  global
        .offset:         8
        .size:           8
        .value_kind:     global_buffer
      - .address_space:  global
        .offset:         16
        .size:           8
        .value_kind:     global_buffer
      - .offset:         24
        .size:           32
        .value_kind:     by_value
      - .address_space:  global
        .offset:         56
        .size:           8
        .value_kind:     global_buffer
      - .offset:         64
        .size:           4
        .value_kind:     by_value
      - .offset:         68
        .size:           12
        .value_kind:     by_value
      - .offset:         80
        .size:           4
        .value_kind:     by_value
      - .offset:         84
        .size:           4
        .value_kind:     by_value
      - .offset:         88
        .size:           4
        .value_kind:     by_value
      - .offset:         92
        .size:           12
        .value_kind:     by_value
      - .offset:         104
        .size:           4
        .value_kind:     by_value
      - .offset:         108
        .size:           4
        .value_kind:     by_value
      - .offset:         112
        .size:           4
        .value_kind:     by_value
      - .offset:         116
        .size:           12
        .value_kind:     by_value
      - .offset:         128
        .size:           4
        .value_kind:     by_value
      - .offset:         132
        .size:           4
        .value_kind:     by_value
      - .offset:         136
        .size:           4
        .value_kind:     by_value
      - .offset:         140
        .size:           4
        .value_kind:     by_value
    .group_segment_fixed_size: 0
    .kernarg_segment_align: 8
    .kernarg_segment_size: 144
    .language:       OpenCL C
    .language_version:
      - 2
      - 0
    .max_flat_workgroup_size: 64
    .name:           _ZL13mul_mat_vec_qIL9ggml_type39ELi6ELb0ELb0EEvPKvS2_PKi31ggml_cuda_mm_fusion_args_devicePfj15HIP_vector_typeIjLj3EEjjjS8_jjjS8_jjjj
    .private_segment_fixed_size: 64
    .sgpr_count:     36
    .sgpr_spill_count: 0
    .symbol:         _ZL13mul_mat_vec_qIL9ggml_type39ELi6ELb0ELb0EEvPKvS2_PKi31ggml_cuda_mm_fusion_args_devicePfj15HIP_vector_typeIjLj3EEjjjS8_jjjS8_jjjj.kd
    .uniform_work_group_size: 1
    .uses_dynamic_stack: false
    .vgpr_count:     71
    .vgpr_spill_count: 0
    .wavefront_size: 64
  - .agpr_count:     0
    .args:
      - .address_space:  global
        .offset:         0
        .size:           8
        .value_kind:     global_buffer
      - .address_space:  global
        .offset:         8
        .size:           8
        .value_kind:     global_buffer
      - .address_space:  global
        .offset:         16
        .size:           8
        .value_kind:     global_buffer
      - .offset:         24
        .size:           32
        .value_kind:     by_value
      - .address_space:  global
        .offset:         56
        .size:           8
        .value_kind:     global_buffer
      - .offset:         64
        .size:           4
        .value_kind:     by_value
      - .offset:         68
        .size:           12
        .value_kind:     by_value
      - .offset:         80
        .size:           4
        .value_kind:     by_value
      - .offset:         84
        .size:           4
        .value_kind:     by_value
      - .offset:         88
        .size:           4
        .value_kind:     by_value
      - .offset:         92
        .size:           12
        .value_kind:     by_value
      - .offset:         104
        .size:           4
        .value_kind:     by_value
      - .offset:         108
        .size:           4
        .value_kind:     by_value
      - .offset:         112
        .size:           4
        .value_kind:     by_value
      - .offset:         116
        .size:           12
        .value_kind:     by_value
      - .offset:         128
        .size:           4
        .value_kind:     by_value
      - .offset:         132
        .size:           4
        .value_kind:     by_value
      - .offset:         136
        .size:           4
        .value_kind:     by_value
      - .offset:         140
        .size:           4
        .value_kind:     by_value
    .group_segment_fixed_size: 0
    .kernarg_segment_align: 8
    .kernarg_segment_size: 144
    .language:       OpenCL C
    .language_version:
      - 2
      - 0
    .max_flat_workgroup_size: 64
    .name:           _ZL13mul_mat_vec_qIL9ggml_type39ELi7ELb0ELb0EEvPKvS2_PKi31ggml_cuda_mm_fusion_args_devicePfj15HIP_vector_typeIjLj3EEjjjS8_jjjS8_jjjj
    .private_segment_fixed_size: 64
    .sgpr_count:     38
    .sgpr_spill_count: 0
    .symbol:         _ZL13mul_mat_vec_qIL9ggml_type39ELi7ELb0ELb0EEvPKvS2_PKi31ggml_cuda_mm_fusion_args_devicePfj15HIP_vector_typeIjLj3EEjjjS8_jjjS8_jjjj.kd
    .uniform_work_group_size: 1
    .uses_dynamic_stack: false
    .vgpr_count:     49
    .vgpr_spill_count: 0
    .wavefront_size: 64
  - .agpr_count:     0
    .args:
      - .address_space:  global
        .offset:         0
        .size:           8
        .value_kind:     global_buffer
      - .address_space:  global
        .offset:         8
        .size:           8
        .value_kind:     global_buffer
      - .address_space:  global
        .offset:         16
        .size:           8
        .value_kind:     global_buffer
      - .offset:         24
        .size:           32
        .value_kind:     by_value
      - .address_space:  global
        .offset:         56
        .size:           8
        .value_kind:     global_buffer
      - .offset:         64
        .size:           4
        .value_kind:     by_value
      - .offset:         68
        .size:           12
        .value_kind:     by_value
      - .offset:         80
        .size:           4
        .value_kind:     by_value
      - .offset:         84
        .size:           4
        .value_kind:     by_value
      - .offset:         88
        .size:           4
        .value_kind:     by_value
      - .offset:         92
        .size:           12
        .value_kind:     by_value
      - .offset:         104
        .size:           4
        .value_kind:     by_value
      - .offset:         108
        .size:           4
        .value_kind:     by_value
      - .offset:         112
        .size:           4
        .value_kind:     by_value
      - .offset:         116
        .size:           12
        .value_kind:     by_value
      - .offset:         128
        .size:           4
        .value_kind:     by_value
      - .offset:         132
        .size:           4
        .value_kind:     by_value
      - .offset:         136
        .size:           4
        .value_kind:     by_value
      - .offset:         140
        .size:           4
        .value_kind:     by_value
    .group_segment_fixed_size: 0
    .kernarg_segment_align: 8
    .kernarg_segment_size: 144
    .language:       OpenCL C
    .language_version:
      - 2
      - 0
    .max_flat_workgroup_size: 64
    .name:           _ZL13mul_mat_vec_qIL9ggml_type39ELi8ELb0ELb0EEvPKvS2_PKi31ggml_cuda_mm_fusion_args_devicePfj15HIP_vector_typeIjLj3EEjjjS8_jjjS8_jjjj
    .private_segment_fixed_size: 80
    .sgpr_count:     38
    .sgpr_spill_count: 0
    .symbol:         _ZL13mul_mat_vec_qIL9ggml_type39ELi8ELb0ELb0EEvPKvS2_PKi31ggml_cuda_mm_fusion_args_devicePfj15HIP_vector_typeIjLj3EEjjjS8_jjjS8_jjjj.kd
    .uniform_work_group_size: 1
    .uses_dynamic_stack: false
    .vgpr_count:     51
    .vgpr_spill_count: 0
    .wavefront_size: 64
  - .agpr_count:     0
    .args:
      - .address_space:  global
        .offset:         0
        .size:           8
        .value_kind:     global_buffer
      - .address_space:  global
        .offset:         8
        .size:           8
        .value_kind:     global_buffer
      - .address_space:  global
        .offset:         16
        .size:           8
        .value_kind:     global_buffer
      - .address_space:  global
        .offset:         24
        .size:           8
        .value_kind:     global_buffer
      - .offset:         32
        .size:           4
        .value_kind:     by_value
      - .offset:         36
        .size:           12
        .value_kind:     by_value
      - .offset:         48
        .size:           4
        .value_kind:     by_value
      - .offset:         52
        .size:           4
        .value_kind:     by_value
      - .offset:         56
        .size:           4
        .value_kind:     by_value
      - .offset:         60
        .size:           4
        .value_kind:     by_value
      - .offset:         64
        .size:           4
        .value_kind:     by_value
      - .offset:         68
        .size:           4
        .value_kind:     by_value
      - .offset:         72
        .size:           4
        .value_kind:     by_value
      - .offset:         76
        .size:           4
        .value_kind:     by_value
      - .offset:         80
        .size:           4
        .value_kind:     by_value
    .group_segment_fixed_size: 0
    .kernarg_segment_align: 8
    .kernarg_segment_size: 84
    .language:       OpenCL C
    .language_version:
      - 2
      - 0
    .max_flat_workgroup_size: 512
    .name:           _ZL17mul_mat_vec_q_moeIL9ggml_type40ELi2EEvPKvS2_PKiPfj15HIP_vector_typeIjLj3EEjjjjjjjjj
    .private_segment_fixed_size: 0
    .sgpr_count:     37
    .sgpr_spill_count: 0
    .symbol:         _ZL17mul_mat_vec_q_moeIL9ggml_type40ELi2EEvPKvS2_PKiPfj15HIP_vector_typeIjLj3EEjjjjjjjjj.kd
    .uniform_work_group_size: 1
    .uses_dynamic_stack: false
    .vgpr_count:     60
    .vgpr_spill_count: 0
    .wavefront_size: 64
  - .agpr_count:     0
    .args:
      - .address_space:  global
        .offset:         0
        .size:           8
        .value_kind:     global_buffer
      - .address_space:  global
        .offset:         8
        .size:           8
        .value_kind:     global_buffer
      - .address_space:  global
        .offset:         16
        .size:           8
        .value_kind:     global_buffer
      - .offset:         24
        .size:           32
        .value_kind:     by_value
      - .address_space:  global
        .offset:         56
        .size:           8
        .value_kind:     global_buffer
      - .offset:         64
        .size:           4
        .value_kind:     by_value
      - .offset:         68
        .size:           12
        .value_kind:     by_value
      - .offset:         80
        .size:           4
        .value_kind:     by_value
      - .offset:         84
        .size:           4
        .value_kind:     by_value
      - .offset:         88
        .size:           4
        .value_kind:     by_value
      - .offset:         92
        .size:           12
        .value_kind:     by_value
      - .offset:         104
        .size:           4
        .value_kind:     by_value
      - .offset:         108
        .size:           4
        .value_kind:     by_value
      - .offset:         112
        .size:           4
        .value_kind:     by_value
      - .offset:         116
        .size:           12
        .value_kind:     by_value
      - .offset:         128
        .size:           4
        .value_kind:     by_value
      - .offset:         132
        .size:           4
        .value_kind:     by_value
      - .offset:         136
        .size:           4
        .value_kind:     by_value
      - .offset:         140
        .size:           4
        .value_kind:     by_value
    .group_segment_fixed_size: 3072
    .kernarg_segment_align: 8
    .kernarg_segment_size: 144
    .language:       OpenCL C
    .language_version:
      - 2
      - 0
    .max_flat_workgroup_size: 128
    .name:           _ZL13mul_mat_vec_qIL9ggml_type40ELi1ELb1ELb1EEvPKvS2_PKi31ggml_cuda_mm_fusion_args_devicePfj15HIP_vector_typeIjLj3EEjjjS8_jjjS8_jjjj
    .private_segment_fixed_size: 0
    .sgpr_count:     52
    .sgpr_spill_count: 0
    .symbol:         _ZL13mul_mat_vec_qIL9ggml_type40ELi1ELb1ELb1EEvPKvS2_PKi31ggml_cuda_mm_fusion_args_devicePfj15HIP_vector_typeIjLj3EEjjjS8_jjjS8_jjjj.kd
    .uniform_work_group_size: 1
    .uses_dynamic_stack: false
    .vgpr_count:     52
    .vgpr_spill_count: 0
    .wavefront_size: 64
  - .agpr_count:     0
    .args:
      - .address_space:  global
        .offset:         0
        .size:           8
        .value_kind:     global_buffer
      - .address_space:  global
        .offset:         8
        .size:           8
        .value_kind:     global_buffer
      - .address_space:  global
        .offset:         16
        .size:           8
        .value_kind:     global_buffer
      - .offset:         24
        .size:           32
        .value_kind:     by_value
      - .address_space:  global
        .offset:         56
        .size:           8
        .value_kind:     global_buffer
      - .offset:         64
        .size:           4
        .value_kind:     by_value
      - .offset:         68
        .size:           12
        .value_kind:     by_value
      - .offset:         80
        .size:           4
        .value_kind:     by_value
      - .offset:         84
        .size:           4
        .value_kind:     by_value
      - .offset:         88
        .size:           4
        .value_kind:     by_value
      - .offset:         92
        .size:           12
        .value_kind:     by_value
      - .offset:         104
        .size:           4
        .value_kind:     by_value
      - .offset:         108
        .size:           4
        .value_kind:     by_value
      - .offset:         112
        .size:           4
        .value_kind:     by_value
      - .offset:         116
        .size:           12
        .value_kind:     by_value
      - .offset:         128
        .size:           4
        .value_kind:     by_value
      - .offset:         132
        .size:           4
        .value_kind:     by_value
      - .offset:         136
        .size:           4
        .value_kind:     by_value
      - .offset:         140
        .size:           4
        .value_kind:     by_value
    .group_segment_fixed_size: 1536
    .kernarg_segment_align: 8
    .kernarg_segment_size: 144
    .language:       OpenCL C
    .language_version:
      - 2
      - 0
    .max_flat_workgroup_size: 128
    .name:           _ZL13mul_mat_vec_qIL9ggml_type40ELi1ELb0ELb1EEvPKvS2_PKi31ggml_cuda_mm_fusion_args_devicePfj15HIP_vector_typeIjLj3EEjjjS8_jjjS8_jjjj
    .private_segment_fixed_size: 0
    .sgpr_count:     30
    .sgpr_spill_count: 0
    .symbol:         _ZL13mul_mat_vec_qIL9ggml_type40ELi1ELb0ELb1EEvPKvS2_PKi31ggml_cuda_mm_fusion_args_devicePfj15HIP_vector_typeIjLj3EEjjjS8_jjjS8_jjjj.kd
    .uniform_work_group_size: 1
    .uses_dynamic_stack: false
    .vgpr_count:     64
    .vgpr_spill_count: 0
    .wavefront_size: 64
  - .agpr_count:     0
    .args:
      - .address_space:  global
        .offset:         0
        .size:           8
        .value_kind:     global_buffer
      - .address_space:  global
        .offset:         8
        .size:           8
        .value_kind:     global_buffer
      - .address_space:  global
        .offset:         16
        .size:           8
        .value_kind:     global_buffer
      - .offset:         24
        .size:           32
        .value_kind:     by_value
      - .address_space:  global
        .offset:         56
        .size:           8
        .value_kind:     global_buffer
      - .offset:         64
        .size:           4
        .value_kind:     by_value
      - .offset:         68
        .size:           12
        .value_kind:     by_value
      - .offset:         80
        .size:           4
        .value_kind:     by_value
      - .offset:         84
        .size:           4
        .value_kind:     by_value
      - .offset:         88
        .size:           4
        .value_kind:     by_value
      - .offset:         92
        .size:           12
        .value_kind:     by_value
      - .offset:         104
        .size:           4
        .value_kind:     by_value
      - .offset:         108
        .size:           4
        .value_kind:     by_value
      - .offset:         112
        .size:           4
        .value_kind:     by_value
      - .offset:         116
        .size:           12
        .value_kind:     by_value
      - .offset:         128
        .size:           4
        .value_kind:     by_value
      - .offset:         132
        .size:           4
        .value_kind:     by_value
      - .offset:         136
        .size:           4
        .value_kind:     by_value
      - .offset:         140
        .size:           4
        .value_kind:     by_value
    .group_segment_fixed_size: 512
    .kernarg_segment_align: 8
    .kernarg_segment_size: 144
    .language:       OpenCL C
    .language_version:
      - 2
      - 0
    .max_flat_workgroup_size: 128
    .name:           _ZL13mul_mat_vec_qIL9ggml_type40ELi1ELb1ELb0EEvPKvS2_PKi31ggml_cuda_mm_fusion_args_devicePfj15HIP_vector_typeIjLj3EEjjjS8_jjjS8_jjjj
    .private_segment_fixed_size: 0
    .sgpr_count:     50
    .sgpr_spill_count: 0
    .symbol:         _ZL13mul_mat_vec_qIL9ggml_type40ELi1ELb1ELb0EEvPKvS2_PKi31ggml_cuda_mm_fusion_args_devicePfj15HIP_vector_typeIjLj3EEjjjS8_jjjS8_jjjj.kd
    .uniform_work_group_size: 1
    .uses_dynamic_stack: false
    .vgpr_count:     60
    .vgpr_spill_count: 0
    .wavefront_size: 64
  - .agpr_count:     0
    .args:
      - .address_space:  global
        .offset:         0
        .size:           8
        .value_kind:     global_buffer
      - .address_space:  global
        .offset:         8
        .size:           8
        .value_kind:     global_buffer
      - .address_space:  global
        .offset:         16
        .size:           8
        .value_kind:     global_buffer
      - .offset:         24
        .size:           32
        .value_kind:     by_value
      - .address_space:  global
        .offset:         56
        .size:           8
        .value_kind:     global_buffer
      - .offset:         64
        .size:           4
        .value_kind:     by_value
      - .offset:         68
        .size:           12
        .value_kind:     by_value
      - .offset:         80
        .size:           4
        .value_kind:     by_value
      - .offset:         84
        .size:           4
        .value_kind:     by_value
      - .offset:         88
        .size:           4
        .value_kind:     by_value
      - .offset:         92
        .size:           12
        .value_kind:     by_value
      - .offset:         104
        .size:           4
        .value_kind:     by_value
      - .offset:         108
        .size:           4
        .value_kind:     by_value
      - .offset:         112
        .size:           4
        .value_kind:     by_value
      - .offset:         116
        .size:           12
        .value_kind:     by_value
      - .offset:         128
        .size:           4
        .value_kind:     by_value
      - .offset:         132
        .size:           4
        .value_kind:     by_value
      - .offset:         136
        .size:           4
        .value_kind:     by_value
      - .offset:         140
        .size:           4
        .value_kind:     by_value
    .group_segment_fixed_size: 256
    .kernarg_segment_align: 8
    .kernarg_segment_size: 144
    .language:       OpenCL C
    .language_version:
      - 2
      - 0
    .max_flat_workgroup_size: 128
    .name:           _ZL13mul_mat_vec_qIL9ggml_type40ELi1ELb0ELb0EEvPKvS2_PKi31ggml_cuda_mm_fusion_args_devicePfj15HIP_vector_typeIjLj3EEjjjS8_jjjS8_jjjj
    .private_segment_fixed_size: 0
    .sgpr_count:     31
    .sgpr_spill_count: 0
    .symbol:         _ZL13mul_mat_vec_qIL9ggml_type40ELi1ELb0ELb0EEvPKvS2_PKi31ggml_cuda_mm_fusion_args_devicePfj15HIP_vector_typeIjLj3EEjjjS8_jjjS8_jjjj.kd
    .uniform_work_group_size: 1
    .uses_dynamic_stack: false
    .vgpr_count:     51
    .vgpr_spill_count: 0
    .wavefront_size: 64
  - .agpr_count:     0
    .args:
      - .address_space:  global
        .offset:         0
        .size:           8
        .value_kind:     global_buffer
      - .address_space:  global
        .offset:         8
        .size:           8
        .value_kind:     global_buffer
      - .address_space:  global
        .offset:         16
        .size:           8
        .value_kind:     global_buffer
      - .offset:         24
        .size:           32
        .value_kind:     by_value
      - .address_space:  global
        .offset:         56
        .size:           8
        .value_kind:     global_buffer
      - .offset:         64
        .size:           4
        .value_kind:     by_value
      - .offset:         68
        .size:           12
        .value_kind:     by_value
      - .offset:         80
        .size:           4
        .value_kind:     by_value
      - .offset:         84
        .size:           4
        .value_kind:     by_value
      - .offset:         88
        .size:           4
        .value_kind:     by_value
      - .offset:         92
        .size:           12
        .value_kind:     by_value
      - .offset:         104
        .size:           4
        .value_kind:     by_value
      - .offset:         108
        .size:           4
        .value_kind:     by_value
      - .offset:         112
        .size:           4
        .value_kind:     by_value
      - .offset:         116
        .size:           12
        .value_kind:     by_value
      - .offset:         128
        .size:           4
        .value_kind:     by_value
      - .offset:         132
        .size:           4
        .value_kind:     by_value
      - .offset:         136
        .size:           4
        .value_kind:     by_value
      - .offset:         140
        .size:           4
        .value_kind:     by_value
    .group_segment_fixed_size: 3072
    .kernarg_segment_align: 8
    .kernarg_segment_size: 144
    .language:       OpenCL C
    .language_version:
      - 2
      - 0
    .max_flat_workgroup_size: 128
    .name:           _ZL13mul_mat_vec_qIL9ggml_type40ELi2ELb0ELb0EEvPKvS2_PKi31ggml_cuda_mm_fusion_args_devicePfj15HIP_vector_typeIjLj3EEjjjS8_jjjS8_jjjj
    .private_segment_fixed_size: 0
    .sgpr_count:     36
    .sgpr_spill_count: 0
    .symbol:         _ZL13mul_mat_vec_qIL9ggml_type40ELi2ELb0ELb0EEvPKvS2_PKi31ggml_cuda_mm_fusion_args_devicePfj15HIP_vector_typeIjLj3EEjjjS8_jjjS8_jjjj.kd
    .uniform_work_group_size: 1
    .uses_dynamic_stack: false
    .vgpr_count:     54
    .vgpr_spill_count: 0
    .wavefront_size: 64
  - .agpr_count:     0
    .args:
      - .address_space:  global
        .offset:         0
        .size:           8
        .value_kind:     global_buffer
      - .address_space:  global
        .offset:         8
        .size:           8
        .value_kind:     global_buffer
      - .address_space:  global
        .offset:         16
        .size:           8
        .value_kind:     global_buffer
      - .offset:         24
        .size:           32
        .value_kind:     by_value
      - .address_space:  global
        .offset:         56
        .size:           8
        .value_kind:     global_buffer
      - .offset:         64
        .size:           4
        .value_kind:     by_value
      - .offset:         68
        .size:           12
        .value_kind:     by_value
      - .offset:         80
        .size:           4
        .value_kind:     by_value
      - .offset:         84
        .size:           4
        .value_kind:     by_value
      - .offset:         88
        .size:           4
        .value_kind:     by_value
      - .offset:         92
        .size:           12
        .value_kind:     by_value
      - .offset:         104
        .size:           4
        .value_kind:     by_value
      - .offset:         108
        .size:           4
        .value_kind:     by_value
      - .offset:         112
        .size:           4
        .value_kind:     by_value
      - .offset:         116
        .size:           12
        .value_kind:     by_value
      - .offset:         128
        .size:           4
        .value_kind:     by_value
      - .offset:         132
        .size:           4
        .value_kind:     by_value
      - .offset:         136
        .size:           4
        .value_kind:     by_value
      - .offset:         140
        .size:           4
        .value_kind:     by_value
    .group_segment_fixed_size: 1536
    .kernarg_segment_align: 8
    .kernarg_segment_size: 144
    .language:       OpenCL C
    .language_version:
      - 2
      - 0
    .max_flat_workgroup_size: 128
    .name:           _ZL13mul_mat_vec_qIL9ggml_type40ELi3ELb0ELb0EEvPKvS2_PKi31ggml_cuda_mm_fusion_args_devicePfj15HIP_vector_typeIjLj3EEjjjS8_jjjS8_jjjj
    .private_segment_fixed_size: 32
    .sgpr_count:     36
    .sgpr_spill_count: 0
    .symbol:         _ZL13mul_mat_vec_qIL9ggml_type40ELi3ELb0ELb0EEvPKvS2_PKi31ggml_cuda_mm_fusion_args_devicePfj15HIP_vector_typeIjLj3EEjjjS8_jjjS8_jjjj.kd
    .uniform_work_group_size: 1
    .uses_dynamic_stack: false
    .vgpr_count:     65
    .vgpr_spill_count: 0
    .wavefront_size: 64
  - .agpr_count:     0
    .args:
      - .address_space:  global
        .offset:         0
        .size:           8
        .value_kind:     global_buffer
      - .address_space:  global
        .offset:         8
        .size:           8
        .value_kind:     global_buffer
      - .address_space:  global
        .offset:         16
        .size:           8
        .value_kind:     global_buffer
      - .offset:         24
        .size:           32
        .value_kind:     by_value
      - .address_space:  global
        .offset:         56
        .size:           8
        .value_kind:     global_buffer
      - .offset:         64
        .size:           4
        .value_kind:     by_value
      - .offset:         68
        .size:           12
        .value_kind:     by_value
      - .offset:         80
        .size:           4
        .value_kind:     by_value
      - .offset:         84
        .size:           4
        .value_kind:     by_value
      - .offset:         88
        .size:           4
        .value_kind:     by_value
      - .offset:         92
        .size:           12
        .value_kind:     by_value
      - .offset:         104
        .size:           4
        .value_kind:     by_value
      - .offset:         108
        .size:           4
        .value_kind:     by_value
      - .offset:         112
        .size:           4
        .value_kind:     by_value
      - .offset:         116
        .size:           12
        .value_kind:     by_value
      - .offset:         128
        .size:           4
        .value_kind:     by_value
      - .offset:         132
        .size:           4
        .value_kind:     by_value
      - .offset:         136
        .size:           4
        .value_kind:     by_value
      - .offset:         140
        .size:           4
        .value_kind:     by_value
    .group_segment_fixed_size: 2048
    .kernarg_segment_align: 8
    .kernarg_segment_size: 144
    .language:       OpenCL C
    .language_version:
      - 2
      - 0
    .max_flat_workgroup_size: 128
    .name:           _ZL13mul_mat_vec_qIL9ggml_type40ELi4ELb0ELb0EEvPKvS2_PKi31ggml_cuda_mm_fusion_args_devicePfj15HIP_vector_typeIjLj3EEjjjS8_jjjS8_jjjj
    .private_segment_fixed_size: 48
    .sgpr_count:     36
    .sgpr_spill_count: 0
    .symbol:         _ZL13mul_mat_vec_qIL9ggml_type40ELi4ELb0ELb0EEvPKvS2_PKi31ggml_cuda_mm_fusion_args_devicePfj15HIP_vector_typeIjLj3EEjjjS8_jjjS8_jjjj.kd
    .uniform_work_group_size: 1
    .uses_dynamic_stack: false
    .vgpr_count:     59
    .vgpr_spill_count: 0
    .wavefront_size: 64
  - .agpr_count:     0
    .args:
      - .address_space:  global
        .offset:         0
        .size:           8
        .value_kind:     global_buffer
      - .address_space:  global
        .offset:         8
        .size:           8
        .value_kind:     global_buffer
      - .address_space:  global
        .offset:         16
        .size:           8
        .value_kind:     global_buffer
      - .offset:         24
        .size:           32
        .value_kind:     by_value
      - .address_space:  global
        .offset:         56
        .size:           8
        .value_kind:     global_buffer
      - .offset:         64
        .size:           4
        .value_kind:     by_value
      - .offset:         68
        .size:           12
        .value_kind:     by_value
      - .offset:         80
        .size:           4
        .value_kind:     by_value
      - .offset:         84
        .size:           4
        .value_kind:     by_value
      - .offset:         88
        .size:           4
        .value_kind:     by_value
      - .offset:         92
        .size:           12
        .value_kind:     by_value
      - .offset:         104
        .size:           4
        .value_kind:     by_value
      - .offset:         108
        .size:           4
        .value_kind:     by_value
      - .offset:         112
        .size:           4
        .value_kind:     by_value
      - .offset:         116
        .size:           12
        .value_kind:     by_value
      - .offset:         128
        .size:           4
        .value_kind:     by_value
      - .offset:         132
        .size:           4
        .value_kind:     by_value
      - .offset:         136
        .size:           4
        .value_kind:     by_value
      - .offset:         140
        .size:           4
        .value_kind:     by_value
    .group_segment_fixed_size: 0
    .kernarg_segment_align: 8
    .kernarg_segment_size: 144
    .language:       OpenCL C
    .language_version:
      - 2
      - 0
    .max_flat_workgroup_size: 64
    .name:           _ZL13mul_mat_vec_qIL9ggml_type40ELi5ELb0ELb0EEvPKvS2_PKi31ggml_cuda_mm_fusion_args_devicePfj15HIP_vector_typeIjLj3EEjjjS8_jjjS8_jjjj
    .private_segment_fixed_size: 48
    .sgpr_count:     36
    .sgpr_spill_count: 0
    .symbol:         _ZL13mul_mat_vec_qIL9ggml_type40ELi5ELb0ELb0EEvPKvS2_PKi31ggml_cuda_mm_fusion_args_devicePfj15HIP_vector_typeIjLj3EEjjjS8_jjjS8_jjjj.kd
    .uniform_work_group_size: 1
    .uses_dynamic_stack: false
    .vgpr_count:     59
    .vgpr_spill_count: 0
    .wavefront_size: 64
  - .agpr_count:     0
    .args:
      - .address_space:  global
        .offset:         0
        .size:           8
        .value_kind:     global_buffer
      - .address_space:  global
        .offset:         8
        .size:           8
        .value_kind:     global_buffer
      - .address_space:  global
        .offset:         16
        .size:           8
        .value_kind:     global_buffer
      - .offset:         24
        .size:           32
        .value_kind:     by_value
      - .address_space:  global
        .offset:         56
        .size:           8
        .value_kind:     global_buffer
      - .offset:         64
        .size:           4
        .value_kind:     by_value
      - .offset:         68
        .size:           12
        .value_kind:     by_value
      - .offset:         80
        .size:           4
        .value_kind:     by_value
      - .offset:         84
        .size:           4
        .value_kind:     by_value
      - .offset:         88
        .size:           4
        .value_kind:     by_value
      - .offset:         92
        .size:           12
        .value_kind:     by_value
      - .offset:         104
        .size:           4
        .value_kind:     by_value
      - .offset:         108
        .size:           4
        .value_kind:     by_value
      - .offset:         112
        .size:           4
        .value_kind:     by_value
      - .offset:         116
        .size:           12
        .value_kind:     by_value
      - .offset:         128
        .size:           4
        .value_kind:     by_value
      - .offset:         132
        .size:           4
        .value_kind:     by_value
      - .offset:         136
        .size:           4
        .value_kind:     by_value
      - .offset:         140
        .size:           4
        .value_kind:     by_value
    .group_segment_fixed_size: 0
    .kernarg_segment_align: 8
    .kernarg_segment_size: 144
    .language:       OpenCL C
    .language_version:
      - 2
      - 0
    .max_flat_workgroup_size: 64
    .name:           _ZL13mul_mat_vec_qIL9ggml_type40ELi6ELb0ELb0EEvPKvS2_PKi31ggml_cuda_mm_fusion_args_devicePfj15HIP_vector_typeIjLj3EEjjjS8_jjjS8_jjjj
    .private_segment_fixed_size: 64
    .sgpr_count:     36
    .sgpr_spill_count: 0
    .symbol:         _ZL13mul_mat_vec_qIL9ggml_type40ELi6ELb0ELb0EEvPKvS2_PKi31ggml_cuda_mm_fusion_args_devicePfj15HIP_vector_typeIjLj3EEjjjS8_jjjS8_jjjj.kd
    .uniform_work_group_size: 1
    .uses_dynamic_stack: false
    .vgpr_count:     61
    .vgpr_spill_count: 0
    .wavefront_size: 64
  - .agpr_count:     0
    .args:
      - .address_space:  global
        .offset:         0
        .size:           8
        .value_kind:     global_buffer
      - .address_space:  global
        .offset:         8
        .size:           8
        .value_kind:     global_buffer
      - .address_space:  global
        .offset:         16
        .size:           8
        .value_kind:     global_buffer
      - .offset:         24
        .size:           32
        .value_kind:     by_value
      - .address_space:  global
        .offset:         56
        .size:           8
        .value_kind:     global_buffer
      - .offset:         64
        .size:           4
        .value_kind:     by_value
      - .offset:         68
        .size:           12
        .value_kind:     by_value
      - .offset:         80
        .size:           4
        .value_kind:     by_value
      - .offset:         84
        .size:           4
        .value_kind:     by_value
      - .offset:         88
        .size:           4
        .value_kind:     by_value
      - .offset:         92
        .size:           12
        .value_kind:     by_value
      - .offset:         104
        .size:           4
        .value_kind:     by_value
      - .offset:         108
        .size:           4
        .value_kind:     by_value
      - .offset:         112
        .size:           4
        .value_kind:     by_value
      - .offset:         116
        .size:           12
        .value_kind:     by_value
      - .offset:         128
        .size:           4
        .value_kind:     by_value
      - .offset:         132
        .size:           4
        .value_kind:     by_value
      - .offset:         136
        .size:           4
        .value_kind:     by_value
      - .offset:         140
        .size:           4
        .value_kind:     by_value
    .group_segment_fixed_size: 0
    .kernarg_segment_align: 8
    .kernarg_segment_size: 144
    .language:       OpenCL C
    .language_version:
      - 2
      - 0
    .max_flat_workgroup_size: 64
    .name:           _ZL13mul_mat_vec_qIL9ggml_type40ELi7ELb0ELb0EEvPKvS2_PKi31ggml_cuda_mm_fusion_args_devicePfj15HIP_vector_typeIjLj3EEjjjS8_jjjS8_jjjj
    .private_segment_fixed_size: 64
    .sgpr_count:     36
    .sgpr_spill_count: 0
    .symbol:         _ZL13mul_mat_vec_qIL9ggml_type40ELi7ELb0ELb0EEvPKvS2_PKi31ggml_cuda_mm_fusion_args_devicePfj15HIP_vector_typeIjLj3EEjjjS8_jjjS8_jjjj.kd
    .uniform_work_group_size: 1
    .uses_dynamic_stack: false
    .vgpr_count:     63
    .vgpr_spill_count: 0
    .wavefront_size: 64
  - .agpr_count:     0
    .args:
      - .address_space:  global
        .offset:         0
        .size:           8
        .value_kind:     global_buffer
      - .address_space:  global
        .offset:         8
        .size:           8
        .value_kind:     global_buffer
      - .address_space:  global
        .offset:         16
        .size:           8
        .value_kind:     global_buffer
      - .offset:         24
        .size:           32
        .value_kind:     by_value
      - .address_space:  global
        .offset:         56
        .size:           8
        .value_kind:     global_buffer
      - .offset:         64
        .size:           4
        .value_kind:     by_value
      - .offset:         68
        .size:           12
        .value_kind:     by_value
      - .offset:         80
        .size:           4
        .value_kind:     by_value
      - .offset:         84
        .size:           4
        .value_kind:     by_value
      - .offset:         88
        .size:           4
        .value_kind:     by_value
      - .offset:         92
        .size:           12
        .value_kind:     by_value
      - .offset:         104
        .size:           4
        .value_kind:     by_value
      - .offset:         108
        .size:           4
        .value_kind:     by_value
      - .offset:         112
        .size:           4
        .value_kind:     by_value
      - .offset:         116
        .size:           12
        .value_kind:     by_value
      - .offset:         128
        .size:           4
        .value_kind:     by_value
      - .offset:         132
        .size:           4
        .value_kind:     by_value
      - .offset:         136
        .size:           4
        .value_kind:     by_value
      - .offset:         140
        .size:           4
        .value_kind:     by_value
    .group_segment_fixed_size: 0
    .kernarg_segment_align: 8
    .kernarg_segment_size: 144
    .language:       OpenCL C
    .language_version:
      - 2
      - 0
    .max_flat_workgroup_size: 64
    .name:           _ZL13mul_mat_vec_qIL9ggml_type40ELi8ELb0ELb0EEvPKvS2_PKi31ggml_cuda_mm_fusion_args_devicePfj15HIP_vector_typeIjLj3EEjjjS8_jjjS8_jjjj
    .private_segment_fixed_size: 80
    .sgpr_count:     38
    .sgpr_spill_count: 0
    .symbol:         _ZL13mul_mat_vec_qIL9ggml_type40ELi8ELb0ELb0EEvPKvS2_PKi31ggml_cuda_mm_fusion_args_devicePfj15HIP_vector_typeIjLj3EEjjjS8_jjjS8_jjjj.kd
    .uniform_work_group_size: 1
    .uses_dynamic_stack: false
    .vgpr_count:     64
    .vgpr_spill_count: 0
    .wavefront_size: 64
  - .agpr_count:     0
    .args:
      - .address_space:  global
        .offset:         0
        .size:           8
        .value_kind:     global_buffer
      - .address_space:  global
        .offset:         8
        .size:           8
        .value_kind:     global_buffer
      - .address_space:  global
        .offset:         16
        .size:           8
        .value_kind:     global_buffer
      - .address_space:  global
        .offset:         24
        .size:           8
        .value_kind:     global_buffer
      - .offset:         32
        .size:           4
        .value_kind:     by_value
      - .offset:         36
        .size:           12
        .value_kind:     by_value
      - .offset:         48
        .size:           4
        .value_kind:     by_value
      - .offset:         52
        .size:           4
        .value_kind:     by_value
      - .offset:         56
        .size:           4
        .value_kind:     by_value
      - .offset:         60
        .size:           4
        .value_kind:     by_value
      - .offset:         64
        .size:           4
        .value_kind:     by_value
      - .offset:         68
        .size:           4
        .value_kind:     by_value
      - .offset:         72
        .size:           4
        .value_kind:     by_value
      - .offset:         76
        .size:           4
        .value_kind:     by_value
      - .offset:         80
        .size:           4
        .value_kind:     by_value
    .group_segment_fixed_size: 0
    .kernarg_segment_align: 8
    .kernarg_segment_size: 84
    .language:       OpenCL C
    .language_version:
      - 2
      - 0
    .max_flat_workgroup_size: 512
    .name:           _ZL17mul_mat_vec_q_moeIL9ggml_type10ELi2EEvPKvS2_PKiPfj15HIP_vector_typeIjLj3EEjjjjjjjjj
    .private_segment_fixed_size: 0
    .sgpr_count:     34
    .sgpr_spill_count: 0
    .symbol:         _ZL17mul_mat_vec_q_moeIL9ggml_type10ELi2EEvPKvS2_PKiPfj15HIP_vector_typeIjLj3EEjjjjjjjjj.kd
    .uniform_work_group_size: 1
    .uses_dynamic_stack: false
    .vgpr_count:     65
    .vgpr_spill_count: 0
    .wavefront_size: 64
  - .agpr_count:     0
    .args:
      - .address_space:  global
        .offset:         0
        .size:           8
        .value_kind:     global_buffer
      - .address_space:  global
        .offset:         8
        .size:           8
        .value_kind:     global_buffer
      - .address_space:  global
        .offset:         16
        .size:           8
        .value_kind:     global_buffer
      - .offset:         24
        .size:           32
        .value_kind:     by_value
      - .address_space:  global
        .offset:         56
        .size:           8
        .value_kind:     global_buffer
      - .offset:         64
        .size:           4
        .value_kind:     by_value
      - .offset:         68
        .size:           12
        .value_kind:     by_value
      - .offset:         80
        .size:           4
        .value_kind:     by_value
      - .offset:         84
        .size:           4
        .value_kind:     by_value
      - .offset:         88
        .size:           4
        .value_kind:     by_value
      - .offset:         92
        .size:           12
        .value_kind:     by_value
      - .offset:         104
        .size:           4
        .value_kind:     by_value
      - .offset:         108
        .size:           4
        .value_kind:     by_value
      - .offset:         112
        .size:           4
        .value_kind:     by_value
      - .offset:         116
        .size:           12
        .value_kind:     by_value
      - .offset:         128
        .size:           4
        .value_kind:     by_value
      - .offset:         132
        .size:           4
        .value_kind:     by_value
      - .offset:         136
        .size:           4
        .value_kind:     by_value
      - .offset:         140
        .size:           4
        .value_kind:     by_value
    .group_segment_fixed_size: 3072
    .kernarg_segment_align: 8
    .kernarg_segment_size: 144
    .language:       OpenCL C
    .language_version:
      - 2
      - 0
    .max_flat_workgroup_size: 128
    .name:           _ZL13mul_mat_vec_qIL9ggml_type10ELi1ELb1ELb1EEvPKvS2_PKi31ggml_cuda_mm_fusion_args_devicePfj15HIP_vector_typeIjLj3EEjjjS8_jjjS8_jjjj
    .private_segment_fixed_size: 0
    .sgpr_count:     52
    .sgpr_spill_count: 0
    .symbol:         _ZL13mul_mat_vec_qIL9ggml_type10ELi1ELb1ELb1EEvPKvS2_PKi31ggml_cuda_mm_fusion_args_devicePfj15HIP_vector_typeIjLj3EEjjjS8_jjjS8_jjjj.kd
    .uniform_work_group_size: 1
    .uses_dynamic_stack: false
    .vgpr_count:     61
    .vgpr_spill_count: 0
    .wavefront_size: 64
  - .agpr_count:     0
    .args:
      - .address_space:  global
        .offset:         0
        .size:           8
        .value_kind:     global_buffer
      - .address_space:  global
        .offset:         8
        .size:           8
        .value_kind:     global_buffer
      - .address_space:  global
        .offset:         16
        .size:           8
        .value_kind:     global_buffer
      - .offset:         24
        .size:           32
        .value_kind:     by_value
      - .address_space:  global
        .offset:         56
        .size:           8
        .value_kind:     global_buffer
      - .offset:         64
        .size:           4
        .value_kind:     by_value
      - .offset:         68
        .size:           12
        .value_kind:     by_value
      - .offset:         80
        .size:           4
        .value_kind:     by_value
      - .offset:         84
        .size:           4
        .value_kind:     by_value
      - .offset:         88
        .size:           4
        .value_kind:     by_value
      - .offset:         92
        .size:           12
        .value_kind:     by_value
      - .offset:         104
        .size:           4
        .value_kind:     by_value
      - .offset:         108
        .size:           4
        .value_kind:     by_value
      - .offset:         112
        .size:           4
        .value_kind:     by_value
      - .offset:         116
        .size:           12
        .value_kind:     by_value
      - .offset:         128
        .size:           4
        .value_kind:     by_value
      - .offset:         132
        .size:           4
        .value_kind:     by_value
      - .offset:         136
        .size:           4
        .value_kind:     by_value
      - .offset:         140
        .size:           4
        .value_kind:     by_value
    .group_segment_fixed_size: 1536
    .kernarg_segment_align: 8
    .kernarg_segment_size: 144
    .language:       OpenCL C
    .language_version:
      - 2
      - 0
    .max_flat_workgroup_size: 128
    .name:           _ZL13mul_mat_vec_qIL9ggml_type10ELi1ELb0ELb1EEvPKvS2_PKi31ggml_cuda_mm_fusion_args_devicePfj15HIP_vector_typeIjLj3EEjjjS8_jjjS8_jjjj
    .private_segment_fixed_size: 0
    .sgpr_count:     30
    .sgpr_spill_count: 0
    .symbol:         _ZL13mul_mat_vec_qIL9ggml_type10ELi1ELb0ELb1EEvPKvS2_PKi31ggml_cuda_mm_fusion_args_devicePfj15HIP_vector_typeIjLj3EEjjjS8_jjjS8_jjjj.kd
    .uniform_work_group_size: 1
    .uses_dynamic_stack: false
    .vgpr_count:     64
    .vgpr_spill_count: 0
    .wavefront_size: 64
  - .agpr_count:     0
    .args:
      - .address_space:  global
        .offset:         0
        .size:           8
        .value_kind:     global_buffer
      - .address_space:  global
        .offset:         8
        .size:           8
        .value_kind:     global_buffer
      - .address_space:  global
        .offset:         16
        .size:           8
        .value_kind:     global_buffer
      - .offset:         24
        .size:           32
        .value_kind:     by_value
      - .address_space:  global
        .offset:         56
        .size:           8
        .value_kind:     global_buffer
      - .offset:         64
        .size:           4
        .value_kind:     by_value
      - .offset:         68
        .size:           12
        .value_kind:     by_value
      - .offset:         80
        .size:           4
        .value_kind:     by_value
      - .offset:         84
        .size:           4
        .value_kind:     by_value
      - .offset:         88
        .size:           4
        .value_kind:     by_value
      - .offset:         92
        .size:           12
        .value_kind:     by_value
      - .offset:         104
        .size:           4
        .value_kind:     by_value
      - .offset:         108
        .size:           4
        .value_kind:     by_value
      - .offset:         112
        .size:           4
        .value_kind:     by_value
      - .offset:         116
        .size:           12
        .value_kind:     by_value
      - .offset:         128
        .size:           4
        .value_kind:     by_value
      - .offset:         132
        .size:           4
        .value_kind:     by_value
      - .offset:         136
        .size:           4
        .value_kind:     by_value
      - .offset:         140
        .size:           4
        .value_kind:     by_value
    .group_segment_fixed_size: 512
    .kernarg_segment_align: 8
    .kernarg_segment_size: 144
    .language:       OpenCL C
    .language_version:
      - 2
      - 0
    .max_flat_workgroup_size: 128
    .name:           _ZL13mul_mat_vec_qIL9ggml_type10ELi1ELb1ELb0EEvPKvS2_PKi31ggml_cuda_mm_fusion_args_devicePfj15HIP_vector_typeIjLj3EEjjjS8_jjjS8_jjjj
    .private_segment_fixed_size: 0
    .sgpr_count:     50
    .sgpr_spill_count: 0
    .symbol:         _ZL13mul_mat_vec_qIL9ggml_type10ELi1ELb1ELb0EEvPKvS2_PKi31ggml_cuda_mm_fusion_args_devicePfj15HIP_vector_typeIjLj3EEjjjS8_jjjS8_jjjj.kd
    .uniform_work_group_size: 1
    .uses_dynamic_stack: false
    .vgpr_count:     58
    .vgpr_spill_count: 0
    .wavefront_size: 64
  - .agpr_count:     0
    .args:
      - .address_space:  global
        .offset:         0
        .size:           8
        .value_kind:     global_buffer
      - .address_space:  global
        .offset:         8
        .size:           8
        .value_kind:     global_buffer
      - .address_space:  global
        .offset:         16
        .size:           8
        .value_kind:     global_buffer
      - .offset:         24
        .size:           32
        .value_kind:     by_value
      - .address_space:  global
        .offset:         56
        .size:           8
        .value_kind:     global_buffer
      - .offset:         64
        .size:           4
        .value_kind:     by_value
      - .offset:         68
        .size:           12
        .value_kind:     by_value
      - .offset:         80
        .size:           4
        .value_kind:     by_value
      - .offset:         84
        .size:           4
        .value_kind:     by_value
      - .offset:         88
        .size:           4
        .value_kind:     by_value
      - .offset:         92
        .size:           12
        .value_kind:     by_value
      - .offset:         104
        .size:           4
        .value_kind:     by_value
      - .offset:         108
        .size:           4
        .value_kind:     by_value
      - .offset:         112
        .size:           4
        .value_kind:     by_value
      - .offset:         116
        .size:           12
        .value_kind:     by_value
      - .offset:         128
        .size:           4
        .value_kind:     by_value
      - .offset:         132
        .size:           4
        .value_kind:     by_value
      - .offset:         136
        .size:           4
        .value_kind:     by_value
      - .offset:         140
        .size:           4
        .value_kind:     by_value
    .group_segment_fixed_size: 256
    .kernarg_segment_align: 8
    .kernarg_segment_size: 144
    .language:       OpenCL C
    .language_version:
      - 2
      - 0
    .max_flat_workgroup_size: 128
    .name:           _ZL13mul_mat_vec_qIL9ggml_type10ELi1ELb0ELb0EEvPKvS2_PKi31ggml_cuda_mm_fusion_args_devicePfj15HIP_vector_typeIjLj3EEjjjS8_jjjS8_jjjj
    .private_segment_fixed_size: 0
    .sgpr_count:     30
    .sgpr_spill_count: 0
    .symbol:         _ZL13mul_mat_vec_qIL9ggml_type10ELi1ELb0ELb0EEvPKvS2_PKi31ggml_cuda_mm_fusion_args_devicePfj15HIP_vector_typeIjLj3EEjjjS8_jjjS8_jjjj.kd
    .uniform_work_group_size: 1
    .uses_dynamic_stack: false
    .vgpr_count:     45
    .vgpr_spill_count: 0
    .wavefront_size: 64
  - .agpr_count:     0
    .args:
      - .address_space:  global
        .offset:         0
        .size:           8
        .value_kind:     global_buffer
      - .address_space:  global
        .offset:         8
        .size:           8
        .value_kind:     global_buffer
      - .address_space:  global
        .offset:         16
        .size:           8
        .value_kind:     global_buffer
      - .offset:         24
        .size:           32
        .value_kind:     by_value
      - .address_space:  global
        .offset:         56
        .size:           8
        .value_kind:     global_buffer
      - .offset:         64
        .size:           4
        .value_kind:     by_value
      - .offset:         68
        .size:           12
        .value_kind:     by_value
      - .offset:         80
        .size:           4
        .value_kind:     by_value
      - .offset:         84
        .size:           4
        .value_kind:     by_value
      - .offset:         88
        .size:           4
        .value_kind:     by_value
      - .offset:         92
        .size:           12
        .value_kind:     by_value
      - .offset:         104
        .size:           4
        .value_kind:     by_value
      - .offset:         108
        .size:           4
        .value_kind:     by_value
      - .offset:         112
        .size:           4
        .value_kind:     by_value
      - .offset:         116
        .size:           12
        .value_kind:     by_value
      - .offset:         128
        .size:           4
        .value_kind:     by_value
      - .offset:         132
        .size:           4
        .value_kind:     by_value
      - .offset:         136
        .size:           4
        .value_kind:     by_value
      - .offset:         140
        .size:           4
        .value_kind:     by_value
    .group_segment_fixed_size: 3072
    .kernarg_segment_align: 8
    .kernarg_segment_size: 144
    .language:       OpenCL C
    .language_version:
      - 2
      - 0
    .max_flat_workgroup_size: 128
    .name:           _ZL13mul_mat_vec_qIL9ggml_type10ELi2ELb0ELb0EEvPKvS2_PKi31ggml_cuda_mm_fusion_args_devicePfj15HIP_vector_typeIjLj3EEjjjS8_jjjS8_jjjj
    .private_segment_fixed_size: 0
    .sgpr_count:     32
    .sgpr_spill_count: 0
    .symbol:         _ZL13mul_mat_vec_qIL9ggml_type10ELi2ELb0ELb0EEvPKvS2_PKi31ggml_cuda_mm_fusion_args_devicePfj15HIP_vector_typeIjLj3EEjjjS8_jjjS8_jjjj.kd
    .uniform_work_group_size: 1
    .uses_dynamic_stack: false
    .vgpr_count:     66
    .vgpr_spill_count: 0
    .wavefront_size: 64
  - .agpr_count:     0
    .args:
      - .address_space:  global
        .offset:         0
        .size:           8
        .value_kind:     global_buffer
      - .address_space:  global
        .offset:         8
        .size:           8
        .value_kind:     global_buffer
      - .address_space:  global
        .offset:         16
        .size:           8
        .value_kind:     global_buffer
      - .offset:         24
        .size:           32
        .value_kind:     by_value
      - .address_space:  global
        .offset:         56
        .size:           8
        .value_kind:     global_buffer
      - .offset:         64
        .size:           4
        .value_kind:     by_value
      - .offset:         68
        .size:           12
        .value_kind:     by_value
      - .offset:         80
        .size:           4
        .value_kind:     by_value
      - .offset:         84
        .size:           4
        .value_kind:     by_value
      - .offset:         88
        .size:           4
        .value_kind:     by_value
      - .offset:         92
        .size:           12
        .value_kind:     by_value
      - .offset:         104
        .size:           4
        .value_kind:     by_value
      - .offset:         108
        .size:           4
        .value_kind:     by_value
      - .offset:         112
        .size:           4
        .value_kind:     by_value
      - .offset:         116
        .size:           12
        .value_kind:     by_value
      - .offset:         128
        .size:           4
        .value_kind:     by_value
      - .offset:         132
        .size:           4
        .value_kind:     by_value
      - .offset:         136
        .size:           4
        .value_kind:     by_value
      - .offset:         140
        .size:           4
        .value_kind:     by_value
    .group_segment_fixed_size: 1536
    .kernarg_segment_align: 8
    .kernarg_segment_size: 144
    .language:       OpenCL C
    .language_version:
      - 2
      - 0
    .max_flat_workgroup_size: 128
    .name:           _ZL13mul_mat_vec_qIL9ggml_type10ELi3ELb0ELb0EEvPKvS2_PKi31ggml_cuda_mm_fusion_args_devicePfj15HIP_vector_typeIjLj3EEjjjS8_jjjS8_jjjj
    .private_segment_fixed_size: 32
    .sgpr_count:     32
    .sgpr_spill_count: 0
    .symbol:         _ZL13mul_mat_vec_qIL9ggml_type10ELi3ELb0ELb0EEvPKvS2_PKi31ggml_cuda_mm_fusion_args_devicePfj15HIP_vector_typeIjLj3EEjjjS8_jjjS8_jjjj.kd
    .uniform_work_group_size: 1
    .uses_dynamic_stack: false
    .vgpr_count:     77
    .vgpr_spill_count: 0
    .wavefront_size: 64
  - .agpr_count:     0
    .args:
      - .address_space:  global
        .offset:         0
        .size:           8
        .value_kind:     global_buffer
      - .address_space:  global
        .offset:         8
        .size:           8
        .value_kind:     global_buffer
      - .address_space:  global
        .offset:         16
        .size:           8
        .value_kind:     global_buffer
      - .offset:         24
        .size:           32
        .value_kind:     by_value
      - .address_space:  global
        .offset:         56
        .size:           8
        .value_kind:     global_buffer
      - .offset:         64
        .size:           4
        .value_kind:     by_value
      - .offset:         68
        .size:           12
        .value_kind:     by_value
      - .offset:         80
        .size:           4
        .value_kind:     by_value
      - .offset:         84
        .size:           4
        .value_kind:     by_value
      - .offset:         88
        .size:           4
        .value_kind:     by_value
      - .offset:         92
        .size:           12
        .value_kind:     by_value
      - .offset:         104
        .size:           4
        .value_kind:     by_value
      - .offset:         108
        .size:           4
        .value_kind:     by_value
      - .offset:         112
        .size:           4
        .value_kind:     by_value
      - .offset:         116
        .size:           12
        .value_kind:     by_value
      - .offset:         128
        .size:           4
        .value_kind:     by_value
      - .offset:         132
        .size:           4
        .value_kind:     by_value
      - .offset:         136
        .size:           4
        .value_kind:     by_value
      - .offset:         140
        .size:           4
        .value_kind:     by_value
    .group_segment_fixed_size: 2048
    .kernarg_segment_align: 8
    .kernarg_segment_size: 144
    .language:       OpenCL C
    .language_version:
      - 2
      - 0
    .max_flat_workgroup_size: 128
    .name:           _ZL13mul_mat_vec_qIL9ggml_type10ELi4ELb0ELb0EEvPKvS2_PKi31ggml_cuda_mm_fusion_args_devicePfj15HIP_vector_typeIjLj3EEjjjS8_jjjS8_jjjj
    .private_segment_fixed_size: 48
    .sgpr_count:     32
    .sgpr_spill_count: 0
    .symbol:         _ZL13mul_mat_vec_qIL9ggml_type10ELi4ELb0ELb0EEvPKvS2_PKi31ggml_cuda_mm_fusion_args_devicePfj15HIP_vector_typeIjLj3EEjjjS8_jjjS8_jjjj.kd
    .uniform_work_group_size: 1
    .uses_dynamic_stack: false
    .vgpr_count:     76
    .vgpr_spill_count: 0
    .wavefront_size: 64
  - .agpr_count:     0
    .args:
      - .address_space:  global
        .offset:         0
        .size:           8
        .value_kind:     global_buffer
      - .address_space:  global
        .offset:         8
        .size:           8
        .value_kind:     global_buffer
      - .address_space:  global
        .offset:         16
        .size:           8
        .value_kind:     global_buffer
      - .offset:         24
        .size:           32
        .value_kind:     by_value
      - .address_space:  global
        .offset:         56
        .size:           8
        .value_kind:     global_buffer
      - .offset:         64
        .size:           4
        .value_kind:     by_value
      - .offset:         68
        .size:           12
        .value_kind:     by_value
      - .offset:         80
        .size:           4
        .value_kind:     by_value
      - .offset:         84
        .size:           4
        .value_kind:     by_value
      - .offset:         88
        .size:           4
        .value_kind:     by_value
      - .offset:         92
        .size:           12
        .value_kind:     by_value
      - .offset:         104
        .size:           4
        .value_kind:     by_value
      - .offset:         108
        .size:           4
        .value_kind:     by_value
      - .offset:         112
        .size:           4
        .value_kind:     by_value
      - .offset:         116
        .size:           12
        .value_kind:     by_value
      - .offset:         128
        .size:           4
        .value_kind:     by_value
      - .offset:         132
        .size:           4
        .value_kind:     by_value
      - .offset:         136
        .size:           4
        .value_kind:     by_value
      - .offset:         140
        .size:           4
        .value_kind:     by_value
    .group_segment_fixed_size: 0
    .kernarg_segment_align: 8
    .kernarg_segment_size: 144
    .language:       OpenCL C
    .language_version:
      - 2
      - 0
    .max_flat_workgroup_size: 64
    .name:           _ZL13mul_mat_vec_qIL9ggml_type10ELi5ELb0ELb0EEvPKvS2_PKi31ggml_cuda_mm_fusion_args_devicePfj15HIP_vector_typeIjLj3EEjjjS8_jjjS8_jjjj
    .private_segment_fixed_size: 48
    .sgpr_count:     36
    .sgpr_spill_count: 0
    .symbol:         _ZL13mul_mat_vec_qIL9ggml_type10ELi5ELb0ELb0EEvPKvS2_PKi31ggml_cuda_mm_fusion_args_devicePfj15HIP_vector_typeIjLj3EEjjjS8_jjjS8_jjjj.kd
    .uniform_work_group_size: 1
    .uses_dynamic_stack: false
    .vgpr_count:     82
    .vgpr_spill_count: 0
    .wavefront_size: 64
  - .agpr_count:     0
    .args:
      - .address_space:  global
        .offset:         0
        .size:           8
        .value_kind:     global_buffer
      - .address_space:  global
        .offset:         8
        .size:           8
        .value_kind:     global_buffer
      - .address_space:  global
        .offset:         16
        .size:           8
        .value_kind:     global_buffer
      - .offset:         24
        .size:           32
        .value_kind:     by_value
      - .address_space:  global
        .offset:         56
        .size:           8
        .value_kind:     global_buffer
      - .offset:         64
        .size:           4
        .value_kind:     by_value
      - .offset:         68
        .size:           12
        .value_kind:     by_value
      - .offset:         80
        .size:           4
        .value_kind:     by_value
      - .offset:         84
        .size:           4
        .value_kind:     by_value
      - .offset:         88
        .size:           4
        .value_kind:     by_value
      - .offset:         92
        .size:           12
        .value_kind:     by_value
      - .offset:         104
        .size:           4
        .value_kind:     by_value
      - .offset:         108
        .size:           4
        .value_kind:     by_value
      - .offset:         112
        .size:           4
        .value_kind:     by_value
      - .offset:         116
        .size:           12
        .value_kind:     by_value
      - .offset:         128
        .size:           4
        .value_kind:     by_value
      - .offset:         132
        .size:           4
        .value_kind:     by_value
      - .offset:         136
        .size:           4
        .value_kind:     by_value
      - .offset:         140
        .size:           4
        .value_kind:     by_value
    .group_segment_fixed_size: 0
    .kernarg_segment_align: 8
    .kernarg_segment_size: 144
    .language:       OpenCL C
    .language_version:
      - 2
      - 0
    .max_flat_workgroup_size: 64
    .name:           _ZL13mul_mat_vec_qIL9ggml_type10ELi6ELb0ELb0EEvPKvS2_PKi31ggml_cuda_mm_fusion_args_devicePfj15HIP_vector_typeIjLj3EEjjjS8_jjjS8_jjjj
    .private_segment_fixed_size: 64
    .sgpr_count:     36
    .sgpr_spill_count: 0
    .symbol:         _ZL13mul_mat_vec_qIL9ggml_type10ELi6ELb0ELb0EEvPKvS2_PKi31ggml_cuda_mm_fusion_args_devicePfj15HIP_vector_typeIjLj3EEjjjS8_jjjS8_jjjj.kd
    .uniform_work_group_size: 1
    .uses_dynamic_stack: false
    .vgpr_count:     78
    .vgpr_spill_count: 0
    .wavefront_size: 64
  - .agpr_count:     0
    .args:
      - .address_space:  global
        .offset:         0
        .size:           8
        .value_kind:     global_buffer
      - .address_space:  global
        .offset:         8
        .size:           8
        .value_kind:     global_buffer
      - .address_space:  global
        .offset:         16
        .size:           8
        .value_kind:     global_buffer
      - .offset:         24
        .size:           32
        .value_kind:     by_value
      - .address_space:  global
        .offset:         56
        .size:           8
        .value_kind:     global_buffer
      - .offset:         64
        .size:           4
        .value_kind:     by_value
      - .offset:         68
        .size:           12
        .value_kind:     by_value
      - .offset:         80
        .size:           4
        .value_kind:     by_value
      - .offset:         84
        .size:           4
        .value_kind:     by_value
      - .offset:         88
        .size:           4
        .value_kind:     by_value
      - .offset:         92
        .size:           12
        .value_kind:     by_value
      - .offset:         104
        .size:           4
        .value_kind:     by_value
      - .offset:         108
        .size:           4
        .value_kind:     by_value
      - .offset:         112
        .size:           4
        .value_kind:     by_value
      - .offset:         116
        .size:           12
        .value_kind:     by_value
      - .offset:         128
        .size:           4
        .value_kind:     by_value
      - .offset:         132
        .size:           4
        .value_kind:     by_value
      - .offset:         136
        .size:           4
        .value_kind:     by_value
      - .offset:         140
        .size:           4
        .value_kind:     by_value
    .group_segment_fixed_size: 0
    .kernarg_segment_align: 8
    .kernarg_segment_size: 144
    .language:       OpenCL C
    .language_version:
      - 2
      - 0
    .max_flat_workgroup_size: 64
    .name:           _ZL13mul_mat_vec_qIL9ggml_type10ELi7ELb0ELb0EEvPKvS2_PKi31ggml_cuda_mm_fusion_args_devicePfj15HIP_vector_typeIjLj3EEjjjS8_jjjS8_jjjj
    .private_segment_fixed_size: 64
    .sgpr_count:     38
    .sgpr_spill_count: 0
    .symbol:         _ZL13mul_mat_vec_qIL9ggml_type10ELi7ELb0ELb0EEvPKvS2_PKi31ggml_cuda_mm_fusion_args_devicePfj15HIP_vector_typeIjLj3EEjjjS8_jjjS8_jjjj.kd
    .uniform_work_group_size: 1
    .uses_dynamic_stack: false
    .vgpr_count:     96
    .vgpr_spill_count: 0
    .wavefront_size: 64
  - .agpr_count:     0
    .args:
      - .address_space:  global
        .offset:         0
        .size:           8
        .value_kind:     global_buffer
      - .address_space:  global
        .offset:         8
        .size:           8
        .value_kind:     global_buffer
      - .address_space:  global
        .offset:         16
        .size:           8
        .value_kind:     global_buffer
      - .offset:         24
        .size:           32
        .value_kind:     by_value
      - .address_space:  global
        .offset:         56
        .size:           8
        .value_kind:     global_buffer
      - .offset:         64
        .size:           4
        .value_kind:     by_value
      - .offset:         68
        .size:           12
        .value_kind:     by_value
      - .offset:         80
        .size:           4
        .value_kind:     by_value
      - .offset:         84
        .size:           4
        .value_kind:     by_value
      - .offset:         88
        .size:           4
        .value_kind:     by_value
      - .offset:         92
        .size:           12
        .value_kind:     by_value
      - .offset:         104
        .size:           4
        .value_kind:     by_value
      - .offset:         108
        .size:           4
        .value_kind:     by_value
      - .offset:         112
        .size:           4
        .value_kind:     by_value
      - .offset:         116
        .size:           12
        .value_kind:     by_value
      - .offset:         128
        .size:           4
        .value_kind:     by_value
      - .offset:         132
        .size:           4
        .value_kind:     by_value
      - .offset:         136
        .size:           4
        .value_kind:     by_value
      - .offset:         140
        .size:           4
        .value_kind:     by_value
    .group_segment_fixed_size: 0
    .kernarg_segment_align: 8
    .kernarg_segment_size: 144
    .language:       OpenCL C
    .language_version:
      - 2
      - 0
    .max_flat_workgroup_size: 64
    .name:           _ZL13mul_mat_vec_qIL9ggml_type10ELi8ELb0ELb0EEvPKvS2_PKi31ggml_cuda_mm_fusion_args_devicePfj15HIP_vector_typeIjLj3EEjjjS8_jjjS8_jjjj
    .private_segment_fixed_size: 80
    .sgpr_count:     38
    .sgpr_spill_count: 0
    .symbol:         _ZL13mul_mat_vec_qIL9ggml_type10ELi8ELb0ELb0EEvPKvS2_PKi31ggml_cuda_mm_fusion_args_devicePfj15HIP_vector_typeIjLj3EEjjjS8_jjjS8_jjjj.kd
    .uniform_work_group_size: 1
    .uses_dynamic_stack: false
    .vgpr_count:     84
    .vgpr_spill_count: 0
    .wavefront_size: 64
  - .agpr_count:     0
    .args:
      - .address_space:  global
        .offset:         0
        .size:           8
        .value_kind:     global_buffer
      - .address_space:  global
        .offset:         8
        .size:           8
        .value_kind:     global_buffer
      - .address_space:  global
        .offset:         16
        .size:           8
        .value_kind:     global_buffer
      - .address_space:  global
        .offset:         24
        .size:           8
        .value_kind:     global_buffer
      - .offset:         32
        .size:           4
        .value_kind:     by_value
      - .offset:         36
        .size:           12
        .value_kind:     by_value
      - .offset:         48
        .size:           4
        .value_kind:     by_value
      - .offset:         52
        .size:           4
        .value_kind:     by_value
      - .offset:         56
        .size:           4
        .value_kind:     by_value
      - .offset:         60
        .size:           4
        .value_kind:     by_value
      - .offset:         64
        .size:           4
        .value_kind:     by_value
      - .offset:         68
        .size:           4
        .value_kind:     by_value
      - .offset:         72
        .size:           4
        .value_kind:     by_value
      - .offset:         76
        .size:           4
        .value_kind:     by_value
      - .offset:         80
        .size:           4
        .value_kind:     by_value
    .group_segment_fixed_size: 0
    .kernarg_segment_align: 8
    .kernarg_segment_size: 84
    .language:       OpenCL C
    .language_version:
      - 2
      - 0
    .max_flat_workgroup_size: 512
    .name:           _ZL17mul_mat_vec_q_moeIL9ggml_type11ELi2EEvPKvS2_PKiPfj15HIP_vector_typeIjLj3EEjjjjjjjjj
    .private_segment_fixed_size: 0
    .sgpr_count:     32
    .sgpr_spill_count: 0
    .symbol:         _ZL17mul_mat_vec_q_moeIL9ggml_type11ELi2EEvPKvS2_PKiPfj15HIP_vector_typeIjLj3EEjjjjjjjjj.kd
    .uniform_work_group_size: 1
    .uses_dynamic_stack: false
    .vgpr_count:     79
    .vgpr_spill_count: 0
    .wavefront_size: 64
  - .agpr_count:     0
    .args:
      - .address_space:  global
        .offset:         0
        .size:           8
        .value_kind:     global_buffer
      - .address_space:  global
        .offset:         8
        .size:           8
        .value_kind:     global_buffer
      - .address_space:  global
        .offset:         16
        .size:           8
        .value_kind:     global_buffer
      - .offset:         24
        .size:           32
        .value_kind:     by_value
      - .address_space:  global
        .offset:         56
        .size:           8
        .value_kind:     global_buffer
      - .offset:         64
        .size:           4
        .value_kind:     by_value
      - .offset:         68
        .size:           12
        .value_kind:     by_value
      - .offset:         80
        .size:           4
        .value_kind:     by_value
      - .offset:         84
        .size:           4
        .value_kind:     by_value
      - .offset:         88
        .size:           4
        .value_kind:     by_value
      - .offset:         92
        .size:           12
        .value_kind:     by_value
      - .offset:         104
        .size:           4
        .value_kind:     by_value
      - .offset:         108
        .size:           4
        .value_kind:     by_value
      - .offset:         112
        .size:           4
        .value_kind:     by_value
      - .offset:         116
        .size:           12
        .value_kind:     by_value
      - .offset:         128
        .size:           4
        .value_kind:     by_value
      - .offset:         132
        .size:           4
        .value_kind:     by_value
      - .offset:         136
        .size:           4
        .value_kind:     by_value
      - .offset:         140
        .size:           4
        .value_kind:     by_value
    .group_segment_fixed_size: 3072
    .kernarg_segment_align: 8
    .kernarg_segment_size: 144
    .language:       OpenCL C
    .language_version:
      - 2
      - 0
    .max_flat_workgroup_size: 128
    .name:           _ZL13mul_mat_vec_qIL9ggml_type11ELi1ELb1ELb1EEvPKvS2_PKi31ggml_cuda_mm_fusion_args_devicePfj15HIP_vector_typeIjLj3EEjjjS8_jjjS8_jjjj
    .private_segment_fixed_size: 0
    .sgpr_count:     52
    .sgpr_spill_count: 0
    .symbol:         _ZL13mul_mat_vec_qIL9ggml_type11ELi1ELb1ELb1EEvPKvS2_PKi31ggml_cuda_mm_fusion_args_devicePfj15HIP_vector_typeIjLj3EEjjjS8_jjjS8_jjjj.kd
    .uniform_work_group_size: 1
    .uses_dynamic_stack: false
    .vgpr_count:     85
    .vgpr_spill_count: 0
    .wavefront_size: 64
  - .agpr_count:     0
    .args:
      - .address_space:  global
        .offset:         0
        .size:           8
        .value_kind:     global_buffer
      - .address_space:  global
        .offset:         8
        .size:           8
        .value_kind:     global_buffer
      - .address_space:  global
        .offset:         16
        .size:           8
        .value_kind:     global_buffer
      - .offset:         24
        .size:           32
        .value_kind:     by_value
      - .address_space:  global
        .offset:         56
        .size:           8
        .value_kind:     global_buffer
      - .offset:         64
        .size:           4
        .value_kind:     by_value
      - .offset:         68
        .size:           12
        .value_kind:     by_value
      - .offset:         80
        .size:           4
        .value_kind:     by_value
      - .offset:         84
        .size:           4
        .value_kind:     by_value
      - .offset:         88
        .size:           4
        .value_kind:     by_value
      - .offset:         92
        .size:           12
        .value_kind:     by_value
      - .offset:         104
        .size:           4
        .value_kind:     by_value
      - .offset:         108
        .size:           4
        .value_kind:     by_value
      - .offset:         112
        .size:           4
        .value_kind:     by_value
      - .offset:         116
        .size:           12
        .value_kind:     by_value
      - .offset:         128
        .size:           4
        .value_kind:     by_value
      - .offset:         132
        .size:           4
        .value_kind:     by_value
      - .offset:         136
        .size:           4
        .value_kind:     by_value
      - .offset:         140
        .size:           4
        .value_kind:     by_value
    .group_segment_fixed_size: 1536
    .kernarg_segment_align: 8
    .kernarg_segment_size: 144
    .language:       OpenCL C
    .language_version:
      - 2
      - 0
    .max_flat_workgroup_size: 128
    .name:           _ZL13mul_mat_vec_qIL9ggml_type11ELi1ELb0ELb1EEvPKvS2_PKi31ggml_cuda_mm_fusion_args_devicePfj15HIP_vector_typeIjLj3EEjjjS8_jjjS8_jjjj
    .private_segment_fixed_size: 0
    .sgpr_count:     30
    .sgpr_spill_count: 0
    .symbol:         _ZL13mul_mat_vec_qIL9ggml_type11ELi1ELb0ELb1EEvPKvS2_PKi31ggml_cuda_mm_fusion_args_devicePfj15HIP_vector_typeIjLj3EEjjjS8_jjjS8_jjjj.kd
    .uniform_work_group_size: 1
    .uses_dynamic_stack: false
    .vgpr_count:     71
    .vgpr_spill_count: 0
    .wavefront_size: 64
  - .agpr_count:     0
    .args:
      - .address_space:  global
        .offset:         0
        .size:           8
        .value_kind:     global_buffer
      - .address_space:  global
        .offset:         8
        .size:           8
        .value_kind:     global_buffer
      - .address_space:  global
        .offset:         16
        .size:           8
        .value_kind:     global_buffer
      - .offset:         24
        .size:           32
        .value_kind:     by_value
      - .address_space:  global
        .offset:         56
        .size:           8
        .value_kind:     global_buffer
      - .offset:         64
        .size:           4
        .value_kind:     by_value
      - .offset:         68
        .size:           12
        .value_kind:     by_value
      - .offset:         80
        .size:           4
        .value_kind:     by_value
      - .offset:         84
        .size:           4
        .value_kind:     by_value
      - .offset:         88
        .size:           4
        .value_kind:     by_value
      - .offset:         92
        .size:           12
        .value_kind:     by_value
      - .offset:         104
        .size:           4
        .value_kind:     by_value
      - .offset:         108
        .size:           4
        .value_kind:     by_value
      - .offset:         112
        .size:           4
        .value_kind:     by_value
      - .offset:         116
        .size:           12
        .value_kind:     by_value
      - .offset:         128
        .size:           4
        .value_kind:     by_value
      - .offset:         132
        .size:           4
        .value_kind:     by_value
      - .offset:         136
        .size:           4
        .value_kind:     by_value
      - .offset:         140
        .size:           4
        .value_kind:     by_value
    .group_segment_fixed_size: 512
    .kernarg_segment_align: 8
    .kernarg_segment_size: 144
    .language:       OpenCL C
    .language_version:
      - 2
      - 0
    .max_flat_workgroup_size: 128
    .name:           _ZL13mul_mat_vec_qIL9ggml_type11ELi1ELb1ELb0EEvPKvS2_PKi31ggml_cuda_mm_fusion_args_devicePfj15HIP_vector_typeIjLj3EEjjjS8_jjjS8_jjjj
    .private_segment_fixed_size: 0
    .sgpr_count:     48
    .sgpr_spill_count: 0
    .symbol:         _ZL13mul_mat_vec_qIL9ggml_type11ELi1ELb1ELb0EEvPKvS2_PKi31ggml_cuda_mm_fusion_args_devicePfj15HIP_vector_typeIjLj3EEjjjS8_jjjS8_jjjj.kd
    .uniform_work_group_size: 1
    .uses_dynamic_stack: false
    .vgpr_count:     76
    .vgpr_spill_count: 0
    .wavefront_size: 64
  - .agpr_count:     0
    .args:
      - .address_space:  global
        .offset:         0
        .size:           8
        .value_kind:     global_buffer
      - .address_space:  global
        .offset:         8
        .size:           8
        .value_kind:     global_buffer
      - .address_space:  global
        .offset:         16
        .size:           8
        .value_kind:     global_buffer
      - .offset:         24
        .size:           32
        .value_kind:     by_value
      - .address_space:  global
        .offset:         56
        .size:           8
        .value_kind:     global_buffer
      - .offset:         64
        .size:           4
        .value_kind:     by_value
      - .offset:         68
        .size:           12
        .value_kind:     by_value
      - .offset:         80
        .size:           4
        .value_kind:     by_value
      - .offset:         84
        .size:           4
        .value_kind:     by_value
      - .offset:         88
        .size:           4
        .value_kind:     by_value
      - .offset:         92
        .size:           12
        .value_kind:     by_value
      - .offset:         104
        .size:           4
        .value_kind:     by_value
      - .offset:         108
        .size:           4
        .value_kind:     by_value
      - .offset:         112
        .size:           4
        .value_kind:     by_value
      - .offset:         116
        .size:           12
        .value_kind:     by_value
      - .offset:         128
        .size:           4
        .value_kind:     by_value
      - .offset:         132
        .size:           4
        .value_kind:     by_value
      - .offset:         136
        .size:           4
        .value_kind:     by_value
      - .offset:         140
        .size:           4
        .value_kind:     by_value
    .group_segment_fixed_size: 256
    .kernarg_segment_align: 8
    .kernarg_segment_size: 144
    .language:       OpenCL C
    .language_version:
      - 2
      - 0
    .max_flat_workgroup_size: 128
    .name:           _ZL13mul_mat_vec_qIL9ggml_type11ELi1ELb0ELb0EEvPKvS2_PKi31ggml_cuda_mm_fusion_args_devicePfj15HIP_vector_typeIjLj3EEjjjS8_jjjS8_jjjj
    .private_segment_fixed_size: 0
    .sgpr_count:     30
    .sgpr_spill_count: 0
    .symbol:         _ZL13mul_mat_vec_qIL9ggml_type11ELi1ELb0ELb0EEvPKvS2_PKi31ggml_cuda_mm_fusion_args_devicePfj15HIP_vector_typeIjLj3EEjjjS8_jjjS8_jjjj.kd
    .uniform_work_group_size: 1
    .uses_dynamic_stack: false
    .vgpr_count:     64
    .vgpr_spill_count: 0
    .wavefront_size: 64
  - .agpr_count:     0
    .args:
      - .address_space:  global
        .offset:         0
        .size:           8
        .value_kind:     global_buffer
      - .address_space:  global
        .offset:         8
        .size:           8
        .value_kind:     global_buffer
      - .address_space:  global
        .offset:         16
        .size:           8
        .value_kind:     global_buffer
      - .offset:         24
        .size:           32
        .value_kind:     by_value
      - .address_space:  global
        .offset:         56
        .size:           8
        .value_kind:     global_buffer
      - .offset:         64
        .size:           4
        .value_kind:     by_value
      - .offset:         68
        .size:           12
        .value_kind:     by_value
      - .offset:         80
        .size:           4
        .value_kind:     by_value
      - .offset:         84
        .size:           4
        .value_kind:     by_value
      - .offset:         88
        .size:           4
        .value_kind:     by_value
      - .offset:         92
        .size:           12
        .value_kind:     by_value
      - .offset:         104
        .size:           4
        .value_kind:     by_value
      - .offset:         108
        .size:           4
        .value_kind:     by_value
      - .offset:         112
        .size:           4
        .value_kind:     by_value
      - .offset:         116
        .size:           12
        .value_kind:     by_value
      - .offset:         128
        .size:           4
        .value_kind:     by_value
      - .offset:         132
        .size:           4
        .value_kind:     by_value
      - .offset:         136
        .size:           4
        .value_kind:     by_value
      - .offset:         140
        .size:           4
        .value_kind:     by_value
    .group_segment_fixed_size: 3072
    .kernarg_segment_align: 8
    .kernarg_segment_size: 144
    .language:       OpenCL C
    .language_version:
      - 2
      - 0
    .max_flat_workgroup_size: 128
    .name:           _ZL13mul_mat_vec_qIL9ggml_type11ELi2ELb0ELb0EEvPKvS2_PKi31ggml_cuda_mm_fusion_args_devicePfj15HIP_vector_typeIjLj3EEjjjS8_jjjS8_jjjj
    .private_segment_fixed_size: 0
    .sgpr_count:     32
    .sgpr_spill_count: 0
    .symbol:         _ZL13mul_mat_vec_qIL9ggml_type11ELi2ELb0ELb0EEvPKvS2_PKi31ggml_cuda_mm_fusion_args_devicePfj15HIP_vector_typeIjLj3EEjjjS8_jjjS8_jjjj.kd
    .uniform_work_group_size: 1
    .uses_dynamic_stack: false
    .vgpr_count:     76
    .vgpr_spill_count: 0
    .wavefront_size: 64
  - .agpr_count:     0
    .args:
      - .address_space:  global
        .offset:         0
        .size:           8
        .value_kind:     global_buffer
      - .address_space:  global
        .offset:         8
        .size:           8
        .value_kind:     global_buffer
      - .address_space:  global
        .offset:         16
        .size:           8
        .value_kind:     global_buffer
      - .offset:         24
        .size:           32
        .value_kind:     by_value
      - .address_space:  global
        .offset:         56
        .size:           8
        .value_kind:     global_buffer
      - .offset:         64
        .size:           4
        .value_kind:     by_value
      - .offset:         68
        .size:           12
        .value_kind:     by_value
      - .offset:         80
        .size:           4
        .value_kind:     by_value
      - .offset:         84
        .size:           4
        .value_kind:     by_value
      - .offset:         88
        .size:           4
        .value_kind:     by_value
      - .offset:         92
        .size:           12
        .value_kind:     by_value
      - .offset:         104
        .size:           4
        .value_kind:     by_value
      - .offset:         108
        .size:           4
        .value_kind:     by_value
      - .offset:         112
        .size:           4
        .value_kind:     by_value
      - .offset:         116
        .size:           12
        .value_kind:     by_value
      - .offset:         128
        .size:           4
        .value_kind:     by_value
      - .offset:         132
        .size:           4
        .value_kind:     by_value
      - .offset:         136
        .size:           4
        .value_kind:     by_value
      - .offset:         140
        .size:           4
        .value_kind:     by_value
    .group_segment_fixed_size: 1536
    .kernarg_segment_align: 8
    .kernarg_segment_size: 144
    .language:       OpenCL C
    .language_version:
      - 2
      - 0
    .max_flat_workgroup_size: 128
    .name:           _ZL13mul_mat_vec_qIL9ggml_type11ELi3ELb0ELb0EEvPKvS2_PKi31ggml_cuda_mm_fusion_args_devicePfj15HIP_vector_typeIjLj3EEjjjS8_jjjS8_jjjj
    .private_segment_fixed_size: 32
    .sgpr_count:     32
    .sgpr_spill_count: 0
    .symbol:         _ZL13mul_mat_vec_qIL9ggml_type11ELi3ELb0ELb0EEvPKvS2_PKi31ggml_cuda_mm_fusion_args_devicePfj15HIP_vector_typeIjLj3EEjjjS8_jjjS8_jjjj.kd
    .uniform_work_group_size: 1
    .uses_dynamic_stack: false
    .vgpr_count:     95
    .vgpr_spill_count: 0
    .wavefront_size: 64
  - .agpr_count:     0
    .args:
      - .address_space:  global
        .offset:         0
        .size:           8
        .value_kind:     global_buffer
      - .address_space:  global
        .offset:         8
        .size:           8
        .value_kind:     global_buffer
      - .address_space:  global
        .offset:         16
        .size:           8
        .value_kind:     global_buffer
      - .offset:         24
        .size:           32
        .value_kind:     by_value
      - .address_space:  global
        .offset:         56
        .size:           8
        .value_kind:     global_buffer
      - .offset:         64
        .size:           4
        .value_kind:     by_value
      - .offset:         68
        .size:           12
        .value_kind:     by_value
      - .offset:         80
        .size:           4
        .value_kind:     by_value
      - .offset:         84
        .size:           4
        .value_kind:     by_value
      - .offset:         88
        .size:           4
        .value_kind:     by_value
      - .offset:         92
        .size:           12
        .value_kind:     by_value
      - .offset:         104
        .size:           4
        .value_kind:     by_value
      - .offset:         108
        .size:           4
        .value_kind:     by_value
      - .offset:         112
        .size:           4
        .value_kind:     by_value
      - .offset:         116
        .size:           12
        .value_kind:     by_value
      - .offset:         128
        .size:           4
        .value_kind:     by_value
      - .offset:         132
        .size:           4
        .value_kind:     by_value
      - .offset:         136
        .size:           4
        .value_kind:     by_value
      - .offset:         140
        .size:           4
        .value_kind:     by_value
    .group_segment_fixed_size: 2048
    .kernarg_segment_align: 8
    .kernarg_segment_size: 144
    .language:       OpenCL C
    .language_version:
      - 2
      - 0
    .max_flat_workgroup_size: 128
    .name:           _ZL13mul_mat_vec_qIL9ggml_type11ELi4ELb0ELb0EEvPKvS2_PKi31ggml_cuda_mm_fusion_args_devicePfj15HIP_vector_typeIjLj3EEjjjS8_jjjS8_jjjj
    .private_segment_fixed_size: 48
    .sgpr_count:     34
    .sgpr_spill_count: 0
    .symbol:         _ZL13mul_mat_vec_qIL9ggml_type11ELi4ELb0ELb0EEvPKvS2_PKi31ggml_cuda_mm_fusion_args_devicePfj15HIP_vector_typeIjLj3EEjjjS8_jjjS8_jjjj.kd
    .uniform_work_group_size: 1
    .uses_dynamic_stack: false
    .vgpr_count:     89
    .vgpr_spill_count: 0
    .wavefront_size: 64
  - .agpr_count:     0
    .args:
      - .address_space:  global
        .offset:         0
        .size:           8
        .value_kind:     global_buffer
      - .address_space:  global
        .offset:         8
        .size:           8
        .value_kind:     global_buffer
      - .address_space:  global
        .offset:         16
        .size:           8
        .value_kind:     global_buffer
      - .offset:         24
        .size:           32
        .value_kind:     by_value
      - .address_space:  global
        .offset:         56
        .size:           8
        .value_kind:     global_buffer
      - .offset:         64
        .size:           4
        .value_kind:     by_value
      - .offset:         68
        .size:           12
        .value_kind:     by_value
      - .offset:         80
        .size:           4
        .value_kind:     by_value
      - .offset:         84
        .size:           4
        .value_kind:     by_value
      - .offset:         88
        .size:           4
        .value_kind:     by_value
      - .offset:         92
        .size:           12
        .value_kind:     by_value
      - .offset:         104
        .size:           4
        .value_kind:     by_value
      - .offset:         108
        .size:           4
        .value_kind:     by_value
      - .offset:         112
        .size:           4
        .value_kind:     by_value
      - .offset:         116
        .size:           12
        .value_kind:     by_value
      - .offset:         128
        .size:           4
        .value_kind:     by_value
      - .offset:         132
        .size:           4
        .value_kind:     by_value
      - .offset:         136
        .size:           4
        .value_kind:     by_value
      - .offset:         140
        .size:           4
        .value_kind:     by_value
    .group_segment_fixed_size: 0
    .kernarg_segment_align: 8
    .kernarg_segment_size: 144
    .language:       OpenCL C
    .language_version:
      - 2
      - 0
    .max_flat_workgroup_size: 64
    .name:           _ZL13mul_mat_vec_qIL9ggml_type11ELi5ELb0ELb0EEvPKvS2_PKi31ggml_cuda_mm_fusion_args_devicePfj15HIP_vector_typeIjLj3EEjjjS8_jjjS8_jjjj
    .private_segment_fixed_size: 48
    .sgpr_count:     36
    .sgpr_spill_count: 0
    .symbol:         _ZL13mul_mat_vec_qIL9ggml_type11ELi5ELb0ELb0EEvPKvS2_PKi31ggml_cuda_mm_fusion_args_devicePfj15HIP_vector_typeIjLj3EEjjjS8_jjjS8_jjjj.kd
    .uniform_work_group_size: 1
    .uses_dynamic_stack: false
    .vgpr_count:     93
    .vgpr_spill_count: 0
    .wavefront_size: 64
  - .agpr_count:     0
    .args:
      - .address_space:  global
        .offset:         0
        .size:           8
        .value_kind:     global_buffer
      - .address_space:  global
        .offset:         8
        .size:           8
        .value_kind:     global_buffer
      - .address_space:  global
        .offset:         16
        .size:           8
        .value_kind:     global_buffer
      - .offset:         24
        .size:           32
        .value_kind:     by_value
      - .address_space:  global
        .offset:         56
        .size:           8
        .value_kind:     global_buffer
      - .offset:         64
        .size:           4
        .value_kind:     by_value
      - .offset:         68
        .size:           12
        .value_kind:     by_value
      - .offset:         80
        .size:           4
        .value_kind:     by_value
      - .offset:         84
        .size:           4
        .value_kind:     by_value
      - .offset:         88
        .size:           4
        .value_kind:     by_value
      - .offset:         92
        .size:           12
        .value_kind:     by_value
      - .offset:         104
        .size:           4
        .value_kind:     by_value
      - .offset:         108
        .size:           4
        .value_kind:     by_value
      - .offset:         112
        .size:           4
        .value_kind:     by_value
      - .offset:         116
        .size:           12
        .value_kind:     by_value
      - .offset:         128
        .size:           4
        .value_kind:     by_value
      - .offset:         132
        .size:           4
        .value_kind:     by_value
      - .offset:         136
        .size:           4
        .value_kind:     by_value
      - .offset:         140
        .size:           4
        .value_kind:     by_value
    .group_segment_fixed_size: 0
    .kernarg_segment_align: 8
    .kernarg_segment_size: 144
    .language:       OpenCL C
    .language_version:
      - 2
      - 0
    .max_flat_workgroup_size: 64
    .name:           _ZL13mul_mat_vec_qIL9ggml_type11ELi6ELb0ELb0EEvPKvS2_PKi31ggml_cuda_mm_fusion_args_devicePfj15HIP_vector_typeIjLj3EEjjjS8_jjjS8_jjjj
    .private_segment_fixed_size: 64
    .sgpr_count:     37
    .sgpr_spill_count: 0
    .symbol:         _ZL13mul_mat_vec_qIL9ggml_type11ELi6ELb0ELb0EEvPKvS2_PKi31ggml_cuda_mm_fusion_args_devicePfj15HIP_vector_typeIjLj3EEjjjS8_jjjS8_jjjj.kd
    .uniform_work_group_size: 1
    .uses_dynamic_stack: false
    .vgpr_count:     128
    .vgpr_spill_count: 0
    .wavefront_size: 64
  - .agpr_count:     0
    .args:
      - .address_space:  global
        .offset:         0
        .size:           8
        .value_kind:     global_buffer
      - .address_space:  global
        .offset:         8
        .size:           8
        .value_kind:     global_buffer
      - .address_space:  global
        .offset:         16
        .size:           8
        .value_kind:     global_buffer
      - .offset:         24
        .size:           32
        .value_kind:     by_value
      - .address_space:  global
        .offset:         56
        .size:           8
        .value_kind:     global_buffer
      - .offset:         64
        .size:           4
        .value_kind:     by_value
      - .offset:         68
        .size:           12
        .value_kind:     by_value
      - .offset:         80
        .size:           4
        .value_kind:     by_value
      - .offset:         84
        .size:           4
        .value_kind:     by_value
      - .offset:         88
        .size:           4
        .value_kind:     by_value
      - .offset:         92
        .size:           12
        .value_kind:     by_value
      - .offset:         104
        .size:           4
        .value_kind:     by_value
      - .offset:         108
        .size:           4
        .value_kind:     by_value
      - .offset:         112
        .size:           4
        .value_kind:     by_value
      - .offset:         116
        .size:           12
        .value_kind:     by_value
      - .offset:         128
        .size:           4
        .value_kind:     by_value
      - .offset:         132
        .size:           4
        .value_kind:     by_value
      - .offset:         136
        .size:           4
        .value_kind:     by_value
      - .offset:         140
        .size:           4
        .value_kind:     by_value
    .group_segment_fixed_size: 0
    .kernarg_segment_align: 8
    .kernarg_segment_size: 144
    .language:       OpenCL C
    .language_version:
      - 2
      - 0
    .max_flat_workgroup_size: 64
    .name:           _ZL13mul_mat_vec_qIL9ggml_type11ELi7ELb0ELb0EEvPKvS2_PKi31ggml_cuda_mm_fusion_args_devicePfj15HIP_vector_typeIjLj3EEjjjS8_jjjS8_jjjj
    .private_segment_fixed_size: 64
    .sgpr_count:     42
    .sgpr_spill_count: 0
    .symbol:         _ZL13mul_mat_vec_qIL9ggml_type11ELi7ELb0ELb0EEvPKvS2_PKi31ggml_cuda_mm_fusion_args_devicePfj15HIP_vector_typeIjLj3EEjjjS8_jjjS8_jjjj.kd
    .uniform_work_group_size: 1
    .uses_dynamic_stack: false
    .vgpr_count:     140
    .vgpr_spill_count: 0
    .wavefront_size: 64
  - .agpr_count:     0
    .args:
      - .address_space:  global
        .offset:         0
        .size:           8
        .value_kind:     global_buffer
      - .address_space:  global
        .offset:         8
        .size:           8
        .value_kind:     global_buffer
      - .address_space:  global
        .offset:         16
        .size:           8
        .value_kind:     global_buffer
      - .offset:         24
        .size:           32
        .value_kind:     by_value
      - .address_space:  global
        .offset:         56
        .size:           8
        .value_kind:     global_buffer
      - .offset:         64
        .size:           4
        .value_kind:     by_value
      - .offset:         68
        .size:           12
        .value_kind:     by_value
      - .offset:         80
        .size:           4
        .value_kind:     by_value
      - .offset:         84
        .size:           4
        .value_kind:     by_value
      - .offset:         88
        .size:           4
        .value_kind:     by_value
      - .offset:         92
        .size:           12
        .value_kind:     by_value
      - .offset:         104
        .size:           4
        .value_kind:     by_value
      - .offset:         108
        .size:           4
        .value_kind:     by_value
      - .offset:         112
        .size:           4
        .value_kind:     by_value
      - .offset:         116
        .size:           12
        .value_kind:     by_value
      - .offset:         128
        .size:           4
        .value_kind:     by_value
      - .offset:         132
        .size:           4
        .value_kind:     by_value
      - .offset:         136
        .size:           4
        .value_kind:     by_value
      - .offset:         140
        .size:           4
        .value_kind:     by_value
    .group_segment_fixed_size: 0
    .kernarg_segment_align: 8
    .kernarg_segment_size: 144
    .language:       OpenCL C
    .language_version:
      - 2
      - 0
    .max_flat_workgroup_size: 64
    .name:           _ZL13mul_mat_vec_qIL9ggml_type11ELi8ELb0ELb0EEvPKvS2_PKi31ggml_cuda_mm_fusion_args_devicePfj15HIP_vector_typeIjLj3EEjjjS8_jjjS8_jjjj
    .private_segment_fixed_size: 80
    .sgpr_count:     42
    .sgpr_spill_count: 0
    .symbol:         _ZL13mul_mat_vec_qIL9ggml_type11ELi8ELb0ELb0EEvPKvS2_PKi31ggml_cuda_mm_fusion_args_devicePfj15HIP_vector_typeIjLj3EEjjjS8_jjjS8_jjjj.kd
    .uniform_work_group_size: 1
    .uses_dynamic_stack: false
    .vgpr_count:     142
    .vgpr_spill_count: 0
    .wavefront_size: 64
  - .agpr_count:     0
    .args:
      - .address_space:  global
        .offset:         0
        .size:           8
        .value_kind:     global_buffer
      - .address_space:  global
        .offset:         8
        .size:           8
        .value_kind:     global_buffer
      - .address_space:  global
        .offset:         16
        .size:           8
        .value_kind:     global_buffer
      - .address_space:  global
        .offset:         24
        .size:           8
        .value_kind:     global_buffer
      - .offset:         32
        .size:           4
        .value_kind:     by_value
      - .offset:         36
        .size:           12
        .value_kind:     by_value
      - .offset:         48
        .size:           4
        .value_kind:     by_value
      - .offset:         52
        .size:           4
        .value_kind:     by_value
      - .offset:         56
        .size:           4
        .value_kind:     by_value
      - .offset:         60
        .size:           4
        .value_kind:     by_value
      - .offset:         64
        .size:           4
        .value_kind:     by_value
      - .offset:         68
        .size:           4
        .value_kind:     by_value
      - .offset:         72
        .size:           4
        .value_kind:     by_value
      - .offset:         76
        .size:           4
        .value_kind:     by_value
      - .offset:         80
        .size:           4
        .value_kind:     by_value
    .group_segment_fixed_size: 0
    .kernarg_segment_align: 8
    .kernarg_segment_size: 84
    .language:       OpenCL C
    .language_version:
      - 2
      - 0
    .max_flat_workgroup_size: 512
    .name:           _ZL17mul_mat_vec_q_moeIL9ggml_type12ELi2EEvPKvS2_PKiPfj15HIP_vector_typeIjLj3EEjjjjjjjjj
    .private_segment_fixed_size: 0
    .sgpr_count:     36
    .sgpr_spill_count: 0
    .symbol:         _ZL17mul_mat_vec_q_moeIL9ggml_type12ELi2EEvPKvS2_PKiPfj15HIP_vector_typeIjLj3EEjjjjjjjjj.kd
    .uniform_work_group_size: 1
    .uses_dynamic_stack: false
    .vgpr_count:     45
    .vgpr_spill_count: 0
    .wavefront_size: 64
  - .agpr_count:     0
    .args:
      - .address_space:  global
        .offset:         0
        .size:           8
        .value_kind:     global_buffer
      - .address_space:  global
        .offset:         8
        .size:           8
        .value_kind:     global_buffer
      - .address_space:  global
        .offset:         16
        .size:           8
        .value_kind:     global_buffer
      - .offset:         24
        .size:           32
        .value_kind:     by_value
      - .address_space:  global
        .offset:         56
        .size:           8
        .value_kind:     global_buffer
      - .offset:         64
        .size:           4
        .value_kind:     by_value
      - .offset:         68
        .size:           12
        .value_kind:     by_value
      - .offset:         80
        .size:           4
        .value_kind:     by_value
      - .offset:         84
        .size:           4
        .value_kind:     by_value
      - .offset:         88
        .size:           4
        .value_kind:     by_value
      - .offset:         92
        .size:           12
        .value_kind:     by_value
      - .offset:         104
        .size:           4
        .value_kind:     by_value
      - .offset:         108
        .size:           4
        .value_kind:     by_value
      - .offset:         112
        .size:           4
        .value_kind:     by_value
      - .offset:         116
        .size:           12
        .value_kind:     by_value
      - .offset:         128
        .size:           4
        .value_kind:     by_value
      - .offset:         132
        .size:           4
        .value_kind:     by_value
      - .offset:         136
        .size:           4
        .value_kind:     by_value
      - .offset:         140
        .size:           4
        .value_kind:     by_value
    .group_segment_fixed_size: 3072
    .kernarg_segment_align: 8
    .kernarg_segment_size: 144
    .language:       OpenCL C
    .language_version:
      - 2
      - 0
    .max_flat_workgroup_size: 128
    .name:           _ZL13mul_mat_vec_qIL9ggml_type12ELi1ELb1ELb1EEvPKvS2_PKi31ggml_cuda_mm_fusion_args_devicePfj15HIP_vector_typeIjLj3EEjjjS8_jjjS8_jjjj
    .private_segment_fixed_size: 0
    .sgpr_count:     52
    .sgpr_spill_count: 0
    .symbol:         _ZL13mul_mat_vec_qIL9ggml_type12ELi1ELb1ELb1EEvPKvS2_PKi31ggml_cuda_mm_fusion_args_devicePfj15HIP_vector_typeIjLj3EEjjjS8_jjjS8_jjjj.kd
    .uniform_work_group_size: 1
    .uses_dynamic_stack: false
    .vgpr_count:     49
    .vgpr_spill_count: 0
    .wavefront_size: 64
  - .agpr_count:     0
    .args:
      - .address_space:  global
        .offset:         0
        .size:           8
        .value_kind:     global_buffer
      - .address_space:  global
        .offset:         8
        .size:           8
        .value_kind:     global_buffer
      - .address_space:  global
        .offset:         16
        .size:           8
        .value_kind:     global_buffer
      - .offset:         24
        .size:           32
        .value_kind:     by_value
      - .address_space:  global
        .offset:         56
        .size:           8
        .value_kind:     global_buffer
      - .offset:         64
        .size:           4
        .value_kind:     by_value
      - .offset:         68
        .size:           12
        .value_kind:     by_value
      - .offset:         80
        .size:           4
        .value_kind:     by_value
      - .offset:         84
        .size:           4
        .value_kind:     by_value
      - .offset:         88
        .size:           4
        .value_kind:     by_value
      - .offset:         92
        .size:           12
        .value_kind:     by_value
      - .offset:         104
        .size:           4
        .value_kind:     by_value
      - .offset:         108
        .size:           4
        .value_kind:     by_value
      - .offset:         112
        .size:           4
        .value_kind:     by_value
      - .offset:         116
        .size:           12
        .value_kind:     by_value
      - .offset:         128
        .size:           4
        .value_kind:     by_value
      - .offset:         132
        .size:           4
        .value_kind:     by_value
      - .offset:         136
        .size:           4
        .value_kind:     by_value
      - .offset:         140
        .size:           4
        .value_kind:     by_value
    .group_segment_fixed_size: 1536
    .kernarg_segment_align: 8
    .kernarg_segment_size: 144
    .language:       OpenCL C
    .language_version:
      - 2
      - 0
    .max_flat_workgroup_size: 128
    .name:           _ZL13mul_mat_vec_qIL9ggml_type12ELi1ELb0ELb1EEvPKvS2_PKi31ggml_cuda_mm_fusion_args_devicePfj15HIP_vector_typeIjLj3EEjjjS8_jjjS8_jjjj
    .private_segment_fixed_size: 0
    .sgpr_count:     31
    .sgpr_spill_count: 0
    .symbol:         _ZL13mul_mat_vec_qIL9ggml_type12ELi1ELb0ELb1EEvPKvS2_PKi31ggml_cuda_mm_fusion_args_devicePfj15HIP_vector_typeIjLj3EEjjjS8_jjjS8_jjjj.kd
    .uniform_work_group_size: 1
    .uses_dynamic_stack: false
    .vgpr_count:     47
    .vgpr_spill_count: 0
    .wavefront_size: 64
  - .agpr_count:     0
    .args:
      - .address_space:  global
        .offset:         0
        .size:           8
        .value_kind:     global_buffer
      - .address_space:  global
        .offset:         8
        .size:           8
        .value_kind:     global_buffer
      - .address_space:  global
        .offset:         16
        .size:           8
        .value_kind:     global_buffer
      - .offset:         24
        .size:           32
        .value_kind:     by_value
      - .address_space:  global
        .offset:         56
        .size:           8
        .value_kind:     global_buffer
      - .offset:         64
        .size:           4
        .value_kind:     by_value
      - .offset:         68
        .size:           12
        .value_kind:     by_value
      - .offset:         80
        .size:           4
        .value_kind:     by_value
      - .offset:         84
        .size:           4
        .value_kind:     by_value
      - .offset:         88
        .size:           4
        .value_kind:     by_value
      - .offset:         92
        .size:           12
        .value_kind:     by_value
      - .offset:         104
        .size:           4
        .value_kind:     by_value
      - .offset:         108
        .size:           4
        .value_kind:     by_value
      - .offset:         112
        .size:           4
        .value_kind:     by_value
      - .offset:         116
        .size:           12
        .value_kind:     by_value
      - .offset:         128
        .size:           4
        .value_kind:     by_value
      - .offset:         132
        .size:           4
        .value_kind:     by_value
      - .offset:         136
        .size:           4
        .value_kind:     by_value
      - .offset:         140
        .size:           4
        .value_kind:     by_value
    .group_segment_fixed_size: 512
    .kernarg_segment_align: 8
    .kernarg_segment_size: 144
    .language:       OpenCL C
    .language_version:
      - 2
      - 0
    .max_flat_workgroup_size: 128
    .name:           _ZL13mul_mat_vec_qIL9ggml_type12ELi1ELb1ELb0EEvPKvS2_PKi31ggml_cuda_mm_fusion_args_devicePfj15HIP_vector_typeIjLj3EEjjjS8_jjjS8_jjjj
    .private_segment_fixed_size: 0
    .sgpr_count:     50
    .sgpr_spill_count: 0
    .symbol:         _ZL13mul_mat_vec_qIL9ggml_type12ELi1ELb1ELb0EEvPKvS2_PKi31ggml_cuda_mm_fusion_args_devicePfj15HIP_vector_typeIjLj3EEjjjS8_jjjS8_jjjj.kd
    .uniform_work_group_size: 1
    .uses_dynamic_stack: false
    .vgpr_count:     40
    .vgpr_spill_count: 0
    .wavefront_size: 64
  - .agpr_count:     0
    .args:
      - .address_space:  global
        .offset:         0
        .size:           8
        .value_kind:     global_buffer
      - .address_space:  global
        .offset:         8
        .size:           8
        .value_kind:     global_buffer
      - .address_space:  global
        .offset:         16
        .size:           8
        .value_kind:     global_buffer
      - .offset:         24
        .size:           32
        .value_kind:     by_value
      - .address_space:  global
        .offset:         56
        .size:           8
        .value_kind:     global_buffer
      - .offset:         64
        .size:           4
        .value_kind:     by_value
      - .offset:         68
        .size:           12
        .value_kind:     by_value
      - .offset:         80
        .size:           4
        .value_kind:     by_value
      - .offset:         84
        .size:           4
        .value_kind:     by_value
      - .offset:         88
        .size:           4
        .value_kind:     by_value
      - .offset:         92
        .size:           12
        .value_kind:     by_value
      - .offset:         104
        .size:           4
        .value_kind:     by_value
      - .offset:         108
        .size:           4
        .value_kind:     by_value
      - .offset:         112
        .size:           4
        .value_kind:     by_value
      - .offset:         116
        .size:           12
        .value_kind:     by_value
      - .offset:         128
        .size:           4
        .value_kind:     by_value
      - .offset:         132
        .size:           4
        .value_kind:     by_value
      - .offset:         136
        .size:           4
        .value_kind:     by_value
      - .offset:         140
        .size:           4
        .value_kind:     by_value
    .group_segment_fixed_size: 256
    .kernarg_segment_align: 8
    .kernarg_segment_size: 144
    .language:       OpenCL C
    .language_version:
      - 2
      - 0
    .max_flat_workgroup_size: 128
    .name:           _ZL13mul_mat_vec_qIL9ggml_type12ELi1ELb0ELb0EEvPKvS2_PKi31ggml_cuda_mm_fusion_args_devicePfj15HIP_vector_typeIjLj3EEjjjS8_jjjS8_jjjj
    .private_segment_fixed_size: 0
    .sgpr_count:     31
    .sgpr_spill_count: 0
    .symbol:         _ZL13mul_mat_vec_qIL9ggml_type12ELi1ELb0ELb0EEvPKvS2_PKi31ggml_cuda_mm_fusion_args_devicePfj15HIP_vector_typeIjLj3EEjjjS8_jjjS8_jjjj.kd
    .uniform_work_group_size: 1
    .uses_dynamic_stack: false
    .vgpr_count:     36
    .vgpr_spill_count: 0
    .wavefront_size: 64
  - .agpr_count:     0
    .args:
      - .address_space:  global
        .offset:         0
        .size:           8
        .value_kind:     global_buffer
      - .address_space:  global
        .offset:         8
        .size:           8
        .value_kind:     global_buffer
      - .address_space:  global
        .offset:         16
        .size:           8
        .value_kind:     global_buffer
      - .offset:         24
        .size:           32
        .value_kind:     by_value
      - .address_space:  global
        .offset:         56
        .size:           8
        .value_kind:     global_buffer
      - .offset:         64
        .size:           4
        .value_kind:     by_value
      - .offset:         68
        .size:           12
        .value_kind:     by_value
      - .offset:         80
        .size:           4
        .value_kind:     by_value
      - .offset:         84
        .size:           4
        .value_kind:     by_value
      - .offset:         88
        .size:           4
        .value_kind:     by_value
      - .offset:         92
        .size:           12
        .value_kind:     by_value
      - .offset:         104
        .size:           4
        .value_kind:     by_value
      - .offset:         108
        .size:           4
        .value_kind:     by_value
      - .offset:         112
        .size:           4
        .value_kind:     by_value
      - .offset:         116
        .size:           12
        .value_kind:     by_value
      - .offset:         128
        .size:           4
        .value_kind:     by_value
      - .offset:         132
        .size:           4
        .value_kind:     by_value
      - .offset:         136
        .size:           4
        .value_kind:     by_value
      - .offset:         140
        .size:           4
        .value_kind:     by_value
    .group_segment_fixed_size: 3072
    .kernarg_segment_align: 8
    .kernarg_segment_size: 144
    .language:       OpenCL C
    .language_version:
      - 2
      - 0
    .max_flat_workgroup_size: 128
    .name:           _ZL13mul_mat_vec_qIL9ggml_type12ELi2ELb0ELb0EEvPKvS2_PKi31ggml_cuda_mm_fusion_args_devicePfj15HIP_vector_typeIjLj3EEjjjS8_jjjS8_jjjj
    .private_segment_fixed_size: 0
    .sgpr_count:     34
    .sgpr_spill_count: 0
    .symbol:         _ZL13mul_mat_vec_qIL9ggml_type12ELi2ELb0ELb0EEvPKvS2_PKi31ggml_cuda_mm_fusion_args_devicePfj15HIP_vector_typeIjLj3EEjjjS8_jjjS8_jjjj.kd
    .uniform_work_group_size: 1
    .uses_dynamic_stack: false
    .vgpr_count:     56
    .vgpr_spill_count: 0
    .wavefront_size: 64
  - .agpr_count:     0
    .args:
      - .address_space:  global
        .offset:         0
        .size:           8
        .value_kind:     global_buffer
      - .address_space:  global
        .offset:         8
        .size:           8
        .value_kind:     global_buffer
      - .address_space:  global
        .offset:         16
        .size:           8
        .value_kind:     global_buffer
      - .offset:         24
        .size:           32
        .value_kind:     by_value
      - .address_space:  global
        .offset:         56
        .size:           8
        .value_kind:     global_buffer
      - .offset:         64
        .size:           4
        .value_kind:     by_value
      - .offset:         68
        .size:           12
        .value_kind:     by_value
      - .offset:         80
        .size:           4
        .value_kind:     by_value
      - .offset:         84
        .size:           4
        .value_kind:     by_value
      - .offset:         88
        .size:           4
        .value_kind:     by_value
      - .offset:         92
        .size:           12
        .value_kind:     by_value
      - .offset:         104
        .size:           4
        .value_kind:     by_value
      - .offset:         108
        .size:           4
        .value_kind:     by_value
      - .offset:         112
        .size:           4
        .value_kind:     by_value
      - .offset:         116
        .size:           12
        .value_kind:     by_value
      - .offset:         128
        .size:           4
        .value_kind:     by_value
      - .offset:         132
        .size:           4
        .value_kind:     by_value
      - .offset:         136
        .size:           4
        .value_kind:     by_value
      - .offset:         140
        .size:           4
        .value_kind:     by_value
    .group_segment_fixed_size: 1536
    .kernarg_segment_align: 8
    .kernarg_segment_size: 144
    .language:       OpenCL C
    .language_version:
      - 2
      - 0
    .max_flat_workgroup_size: 128
    .name:           _ZL13mul_mat_vec_qIL9ggml_type12ELi3ELb0ELb0EEvPKvS2_PKi31ggml_cuda_mm_fusion_args_devicePfj15HIP_vector_typeIjLj3EEjjjS8_jjjS8_jjjj
    .private_segment_fixed_size: 32
    .sgpr_count:     35
    .sgpr_spill_count: 0
    .symbol:         _ZL13mul_mat_vec_qIL9ggml_type12ELi3ELb0ELb0EEvPKvS2_PKi31ggml_cuda_mm_fusion_args_devicePfj15HIP_vector_typeIjLj3EEjjjS8_jjjS8_jjjj.kd
    .uniform_work_group_size: 1
    .uses_dynamic_stack: false
    .vgpr_count:     70
    .vgpr_spill_count: 0
    .wavefront_size: 64
  - .agpr_count:     0
    .args:
      - .address_space:  global
        .offset:         0
        .size:           8
        .value_kind:     global_buffer
      - .address_space:  global
        .offset:         8
        .size:           8
        .value_kind:     global_buffer
      - .address_space:  global
        .offset:         16
        .size:           8
        .value_kind:     global_buffer
      - .offset:         24
        .size:           32
        .value_kind:     by_value
      - .address_space:  global
        .offset:         56
        .size:           8
        .value_kind:     global_buffer
      - .offset:         64
        .size:           4
        .value_kind:     by_value
      - .offset:         68
        .size:           12
        .value_kind:     by_value
      - .offset:         80
        .size:           4
        .value_kind:     by_value
      - .offset:         84
        .size:           4
        .value_kind:     by_value
      - .offset:         88
        .size:           4
        .value_kind:     by_value
      - .offset:         92
        .size:           12
        .value_kind:     by_value
      - .offset:         104
        .size:           4
        .value_kind:     by_value
      - .offset:         108
        .size:           4
        .value_kind:     by_value
      - .offset:         112
        .size:           4
        .value_kind:     by_value
      - .offset:         116
        .size:           12
        .value_kind:     by_value
      - .offset:         128
        .size:           4
        .value_kind:     by_value
      - .offset:         132
        .size:           4
        .value_kind:     by_value
      - .offset:         136
        .size:           4
        .value_kind:     by_value
      - .offset:         140
        .size:           4
        .value_kind:     by_value
    .group_segment_fixed_size: 2048
    .kernarg_segment_align: 8
    .kernarg_segment_size: 144
    .language:       OpenCL C
    .language_version:
      - 2
      - 0
    .max_flat_workgroup_size: 128
    .name:           _ZL13mul_mat_vec_qIL9ggml_type12ELi4ELb0ELb0EEvPKvS2_PKi31ggml_cuda_mm_fusion_args_devicePfj15HIP_vector_typeIjLj3EEjjjS8_jjjS8_jjjj
    .private_segment_fixed_size: 48
    .sgpr_count:     35
    .sgpr_spill_count: 0
    .symbol:         _ZL13mul_mat_vec_qIL9ggml_type12ELi4ELb0ELb0EEvPKvS2_PKi31ggml_cuda_mm_fusion_args_devicePfj15HIP_vector_typeIjLj3EEjjjS8_jjjS8_jjjj.kd
    .uniform_work_group_size: 1
    .uses_dynamic_stack: false
    .vgpr_count:     84
    .vgpr_spill_count: 0
    .wavefront_size: 64
  - .agpr_count:     0
    .args:
      - .address_space:  global
        .offset:         0
        .size:           8
        .value_kind:     global_buffer
      - .address_space:  global
        .offset:         8
        .size:           8
        .value_kind:     global_buffer
      - .address_space:  global
        .offset:         16
        .size:           8
        .value_kind:     global_buffer
      - .offset:         24
        .size:           32
        .value_kind:     by_value
      - .address_space:  global
        .offset:         56
        .size:           8
        .value_kind:     global_buffer
      - .offset:         64
        .size:           4
        .value_kind:     by_value
      - .offset:         68
        .size:           12
        .value_kind:     by_value
      - .offset:         80
        .size:           4
        .value_kind:     by_value
      - .offset:         84
        .size:           4
        .value_kind:     by_value
      - .offset:         88
        .size:           4
        .value_kind:     by_value
      - .offset:         92
        .size:           12
        .value_kind:     by_value
      - .offset:         104
        .size:           4
        .value_kind:     by_value
      - .offset:         108
        .size:           4
        .value_kind:     by_value
      - .offset:         112
        .size:           4
        .value_kind:     by_value
      - .offset:         116
        .size:           12
        .value_kind:     by_value
      - .offset:         128
        .size:           4
        .value_kind:     by_value
      - .offset:         132
        .size:           4
        .value_kind:     by_value
      - .offset:         136
        .size:           4
        .value_kind:     by_value
      - .offset:         140
        .size:           4
        .value_kind:     by_value
    .group_segment_fixed_size: 0
    .kernarg_segment_align: 8
    .kernarg_segment_size: 144
    .language:       OpenCL C
    .language_version:
      - 2
      - 0
    .max_flat_workgroup_size: 64
    .name:           _ZL13mul_mat_vec_qIL9ggml_type12ELi5ELb0ELb0EEvPKvS2_PKi31ggml_cuda_mm_fusion_args_devicePfj15HIP_vector_typeIjLj3EEjjjS8_jjjS8_jjjj
    .private_segment_fixed_size: 48
    .sgpr_count:     40
    .sgpr_spill_count: 0
    .symbol:         _ZL13mul_mat_vec_qIL9ggml_type12ELi5ELb0ELb0EEvPKvS2_PKi31ggml_cuda_mm_fusion_args_devicePfj15HIP_vector_typeIjLj3EEjjjS8_jjjS8_jjjj.kd
    .uniform_work_group_size: 1
    .uses_dynamic_stack: false
    .vgpr_count:     94
    .vgpr_spill_count: 0
    .wavefront_size: 64
  - .agpr_count:     0
    .args:
      - .address_space:  global
        .offset:         0
        .size:           8
        .value_kind:     global_buffer
      - .address_space:  global
        .offset:         8
        .size:           8
        .value_kind:     global_buffer
      - .address_space:  global
        .offset:         16
        .size:           8
        .value_kind:     global_buffer
      - .offset:         24
        .size:           32
        .value_kind:     by_value
      - .address_space:  global
        .offset:         56
        .size:           8
        .value_kind:     global_buffer
      - .offset:         64
        .size:           4
        .value_kind:     by_value
      - .offset:         68
        .size:           12
        .value_kind:     by_value
      - .offset:         80
        .size:           4
        .value_kind:     by_value
      - .offset:         84
        .size:           4
        .value_kind:     by_value
      - .offset:         88
        .size:           4
        .value_kind:     by_value
      - .offset:         92
        .size:           12
        .value_kind:     by_value
      - .offset:         104
        .size:           4
        .value_kind:     by_value
      - .offset:         108
        .size:           4
        .value_kind:     by_value
      - .offset:         112
        .size:           4
        .value_kind:     by_value
      - .offset:         116
        .size:           12
        .value_kind:     by_value
      - .offset:         128
        .size:           4
        .value_kind:     by_value
      - .offset:         132
        .size:           4
        .value_kind:     by_value
      - .offset:         136
        .size:           4
        .value_kind:     by_value
      - .offset:         140
        .size:           4
        .value_kind:     by_value
    .group_segment_fixed_size: 0
    .kernarg_segment_align: 8
    .kernarg_segment_size: 144
    .language:       OpenCL C
    .language_version:
      - 2
      - 0
    .max_flat_workgroup_size: 64
    .name:           _ZL13mul_mat_vec_qIL9ggml_type12ELi6ELb0ELb0EEvPKvS2_PKi31ggml_cuda_mm_fusion_args_devicePfj15HIP_vector_typeIjLj3EEjjjS8_jjjS8_jjjj
    .private_segment_fixed_size: 64
    .sgpr_count:     41
    .sgpr_spill_count: 0
    .symbol:         _ZL13mul_mat_vec_qIL9ggml_type12ELi6ELb0ELb0EEvPKvS2_PKi31ggml_cuda_mm_fusion_args_devicePfj15HIP_vector_typeIjLj3EEjjjS8_jjjS8_jjjj.kd
    .uniform_work_group_size: 1
    .uses_dynamic_stack: false
    .vgpr_count:     106
    .vgpr_spill_count: 0
    .wavefront_size: 64
  - .agpr_count:     0
    .args:
      - .address_space:  global
        .offset:         0
        .size:           8
        .value_kind:     global_buffer
      - .address_space:  global
        .offset:         8
        .size:           8
        .value_kind:     global_buffer
      - .address_space:  global
        .offset:         16
        .size:           8
        .value_kind:     global_buffer
      - .offset:         24
        .size:           32
        .value_kind:     by_value
      - .address_space:  global
        .offset:         56
        .size:           8
        .value_kind:     global_buffer
      - .offset:         64
        .size:           4
        .value_kind:     by_value
      - .offset:         68
        .size:           12
        .value_kind:     by_value
      - .offset:         80
        .size:           4
        .value_kind:     by_value
      - .offset:         84
        .size:           4
        .value_kind:     by_value
      - .offset:         88
        .size:           4
        .value_kind:     by_value
      - .offset:         92
        .size:           12
        .value_kind:     by_value
      - .offset:         104
        .size:           4
        .value_kind:     by_value
      - .offset:         108
        .size:           4
        .value_kind:     by_value
      - .offset:         112
        .size:           4
        .value_kind:     by_value
      - .offset:         116
        .size:           12
        .value_kind:     by_value
      - .offset:         128
        .size:           4
        .value_kind:     by_value
      - .offset:         132
        .size:           4
        .value_kind:     by_value
      - .offset:         136
        .size:           4
        .value_kind:     by_value
      - .offset:         140
        .size:           4
        .value_kind:     by_value
    .group_segment_fixed_size: 0
    .kernarg_segment_align: 8
    .kernarg_segment_size: 144
    .language:       OpenCL C
    .language_version:
      - 2
      - 0
    .max_flat_workgroup_size: 64
    .name:           _ZL13mul_mat_vec_qIL9ggml_type12ELi7ELb0ELb0EEvPKvS2_PKi31ggml_cuda_mm_fusion_args_devicePfj15HIP_vector_typeIjLj3EEjjjS8_jjjS8_jjjj
    .private_segment_fixed_size: 64
    .sgpr_count:     42
    .sgpr_spill_count: 0
    .symbol:         _ZL13mul_mat_vec_qIL9ggml_type12ELi7ELb0ELb0EEvPKvS2_PKi31ggml_cuda_mm_fusion_args_devicePfj15HIP_vector_typeIjLj3EEjjjS8_jjjS8_jjjj.kd
    .uniform_work_group_size: 1
    .uses_dynamic_stack: false
    .vgpr_count:     118
    .vgpr_spill_count: 0
    .wavefront_size: 64
  - .agpr_count:     0
    .args:
      - .address_space:  global
        .offset:         0
        .size:           8
        .value_kind:     global_buffer
      - .address_space:  global
        .offset:         8
        .size:           8
        .value_kind:     global_buffer
      - .address_space:  global
        .offset:         16
        .size:           8
        .value_kind:     global_buffer
      - .offset:         24
        .size:           32
        .value_kind:     by_value
      - .address_space:  global
        .offset:         56
        .size:           8
        .value_kind:     global_buffer
      - .offset:         64
        .size:           4
        .value_kind:     by_value
      - .offset:         68
        .size:           12
        .value_kind:     by_value
      - .offset:         80
        .size:           4
        .value_kind:     by_value
      - .offset:         84
        .size:           4
        .value_kind:     by_value
      - .offset:         88
        .size:           4
        .value_kind:     by_value
      - .offset:         92
        .size:           12
        .value_kind:     by_value
      - .offset:         104
        .size:           4
        .value_kind:     by_value
      - .offset:         108
        .size:           4
        .value_kind:     by_value
      - .offset:         112
        .size:           4
        .value_kind:     by_value
      - .offset:         116
        .size:           12
        .value_kind:     by_value
      - .offset:         128
        .size:           4
        .value_kind:     by_value
      - .offset:         132
        .size:           4
        .value_kind:     by_value
      - .offset:         136
        .size:           4
        .value_kind:     by_value
      - .offset:         140
        .size:           4
        .value_kind:     by_value
    .group_segment_fixed_size: 0
    .kernarg_segment_align: 8
    .kernarg_segment_size: 144
    .language:       OpenCL C
    .language_version:
      - 2
      - 0
    .max_flat_workgroup_size: 64
    .name:           _ZL13mul_mat_vec_qIL9ggml_type12ELi8ELb0ELb0EEvPKvS2_PKi31ggml_cuda_mm_fusion_args_devicePfj15HIP_vector_typeIjLj3EEjjjS8_jjjS8_jjjj
    .private_segment_fixed_size: 80
    .sgpr_count:     43
    .sgpr_spill_count: 0
    .symbol:         _ZL13mul_mat_vec_qIL9ggml_type12ELi8ELb0ELb0EEvPKvS2_PKi31ggml_cuda_mm_fusion_args_devicePfj15HIP_vector_typeIjLj3EEjjjS8_jjjS8_jjjj.kd
    .uniform_work_group_size: 1
    .uses_dynamic_stack: false
    .vgpr_count:     130
    .vgpr_spill_count: 0
    .wavefront_size: 64
  - .agpr_count:     0
    .args:
      - .address_space:  global
        .offset:         0
        .size:           8
        .value_kind:     global_buffer
      - .address_space:  global
        .offset:         8
        .size:           8
        .value_kind:     global_buffer
      - .address_space:  global
        .offset:         16
        .size:           8
        .value_kind:     global_buffer
      - .address_space:  global
        .offset:         24
        .size:           8
        .value_kind:     global_buffer
      - .offset:         32
        .size:           4
        .value_kind:     by_value
      - .offset:         36
        .size:           12
        .value_kind:     by_value
      - .offset:         48
        .size:           4
        .value_kind:     by_value
      - .offset:         52
        .size:           4
        .value_kind:     by_value
      - .offset:         56
        .size:           4
        .value_kind:     by_value
      - .offset:         60
        .size:           4
        .value_kind:     by_value
      - .offset:         64
        .size:           4
        .value_kind:     by_value
      - .offset:         68
        .size:           4
        .value_kind:     by_value
      - .offset:         72
        .size:           4
        .value_kind:     by_value
      - .offset:         76
        .size:           4
        .value_kind:     by_value
      - .offset:         80
        .size:           4
        .value_kind:     by_value
    .group_segment_fixed_size: 0
    .kernarg_segment_align: 8
    .kernarg_segment_size: 84
    .language:       OpenCL C
    .language_version:
      - 2
      - 0
    .max_flat_workgroup_size: 512
    .name:           _ZL17mul_mat_vec_q_moeIL9ggml_type13ELi2EEvPKvS2_PKiPfj15HIP_vector_typeIjLj3EEjjjjjjjjj
    .private_segment_fixed_size: 0
    .sgpr_count:     37
    .sgpr_spill_count: 0
    .symbol:         _ZL17mul_mat_vec_q_moeIL9ggml_type13ELi2EEvPKvS2_PKiPfj15HIP_vector_typeIjLj3EEjjjjjjjjj.kd
    .uniform_work_group_size: 1
    .uses_dynamic_stack: false
    .vgpr_count:     44
    .vgpr_spill_count: 0
    .wavefront_size: 64
  - .agpr_count:     0
    .args:
      - .address_space:  global
        .offset:         0
        .size:           8
        .value_kind:     global_buffer
      - .address_space:  global
        .offset:         8
        .size:           8
        .value_kind:     global_buffer
      - .address_space:  global
        .offset:         16
        .size:           8
        .value_kind:     global_buffer
      - .offset:         24
        .size:           32
        .value_kind:     by_value
      - .address_space:  global
        .offset:         56
        .size:           8
        .value_kind:     global_buffer
      - .offset:         64
        .size:           4
        .value_kind:     by_value
      - .offset:         68
        .size:           12
        .value_kind:     by_value
      - .offset:         80
        .size:           4
        .value_kind:     by_value
      - .offset:         84
        .size:           4
        .value_kind:     by_value
      - .offset:         88
        .size:           4
        .value_kind:     by_value
      - .offset:         92
        .size:           12
        .value_kind:     by_value
      - .offset:         104
        .size:           4
        .value_kind:     by_value
      - .offset:         108
        .size:           4
        .value_kind:     by_value
      - .offset:         112
        .size:           4
        .value_kind:     by_value
      - .offset:         116
        .size:           12
        .value_kind:     by_value
      - .offset:         128
        .size:           4
        .value_kind:     by_value
      - .offset:         132
        .size:           4
        .value_kind:     by_value
      - .offset:         136
        .size:           4
        .value_kind:     by_value
      - .offset:         140
        .size:           4
        .value_kind:     by_value
    .group_segment_fixed_size: 3072
    .kernarg_segment_align: 8
    .kernarg_segment_size: 144
    .language:       OpenCL C
    .language_version:
      - 2
      - 0
    .max_flat_workgroup_size: 128
    .name:           _ZL13mul_mat_vec_qIL9ggml_type13ELi1ELb1ELb1EEvPKvS2_PKi31ggml_cuda_mm_fusion_args_devicePfj15HIP_vector_typeIjLj3EEjjjS8_jjjS8_jjjj
    .private_segment_fixed_size: 0
    .sgpr_count:     52
    .sgpr_spill_count: 0
    .symbol:         _ZL13mul_mat_vec_qIL9ggml_type13ELi1ELb1ELb1EEvPKvS2_PKi31ggml_cuda_mm_fusion_args_devicePfj15HIP_vector_typeIjLj3EEjjjS8_jjjS8_jjjj.kd
    .uniform_work_group_size: 1
    .uses_dynamic_stack: false
    .vgpr_count:     58
    .vgpr_spill_count: 0
    .wavefront_size: 64
  - .agpr_count:     0
    .args:
      - .address_space:  global
        .offset:         0
        .size:           8
        .value_kind:     global_buffer
      - .address_space:  global
        .offset:         8
        .size:           8
        .value_kind:     global_buffer
      - .address_space:  global
        .offset:         16
        .size:           8
        .value_kind:     global_buffer
      - .offset:         24
        .size:           32
        .value_kind:     by_value
      - .address_space:  global
        .offset:         56
        .size:           8
        .value_kind:     global_buffer
      - .offset:         64
        .size:           4
        .value_kind:     by_value
      - .offset:         68
        .size:           12
        .value_kind:     by_value
      - .offset:         80
        .size:           4
        .value_kind:     by_value
      - .offset:         84
        .size:           4
        .value_kind:     by_value
      - .offset:         88
        .size:           4
        .value_kind:     by_value
      - .offset:         92
        .size:           12
        .value_kind:     by_value
      - .offset:         104
        .size:           4
        .value_kind:     by_value
      - .offset:         108
        .size:           4
        .value_kind:     by_value
      - .offset:         112
        .size:           4
        .value_kind:     by_value
      - .offset:         116
        .size:           12
        .value_kind:     by_value
      - .offset:         128
        .size:           4
        .value_kind:     by_value
      - .offset:         132
        .size:           4
        .value_kind:     by_value
      - .offset:         136
        .size:           4
        .value_kind:     by_value
      - .offset:         140
        .size:           4
        .value_kind:     by_value
    .group_segment_fixed_size: 1536
    .kernarg_segment_align: 8
    .kernarg_segment_size: 144
    .language:       OpenCL C
    .language_version:
      - 2
      - 0
    .max_flat_workgroup_size: 128
    .name:           _ZL13mul_mat_vec_qIL9ggml_type13ELi1ELb0ELb1EEvPKvS2_PKi31ggml_cuda_mm_fusion_args_devicePfj15HIP_vector_typeIjLj3EEjjjS8_jjjS8_jjjj
    .private_segment_fixed_size: 0
    .sgpr_count:     31
    .sgpr_spill_count: 0
    .symbol:         _ZL13mul_mat_vec_qIL9ggml_type13ELi1ELb0ELb1EEvPKvS2_PKi31ggml_cuda_mm_fusion_args_devicePfj15HIP_vector_typeIjLj3EEjjjS8_jjjS8_jjjj.kd
    .uniform_work_group_size: 1
    .uses_dynamic_stack: false
    .vgpr_count:     43
    .vgpr_spill_count: 0
    .wavefront_size: 64
  - .agpr_count:     0
    .args:
      - .address_space:  global
        .offset:         0
        .size:           8
        .value_kind:     global_buffer
      - .address_space:  global
        .offset:         8
        .size:           8
        .value_kind:     global_buffer
      - .address_space:  global
        .offset:         16
        .size:           8
        .value_kind:     global_buffer
      - .offset:         24
        .size:           32
        .value_kind:     by_value
      - .address_space:  global
        .offset:         56
        .size:           8
        .value_kind:     global_buffer
      - .offset:         64
        .size:           4
        .value_kind:     by_value
      - .offset:         68
        .size:           12
        .value_kind:     by_value
      - .offset:         80
        .size:           4
        .value_kind:     by_value
      - .offset:         84
        .size:           4
        .value_kind:     by_value
      - .offset:         88
        .size:           4
        .value_kind:     by_value
      - .offset:         92
        .size:           12
        .value_kind:     by_value
      - .offset:         104
        .size:           4
        .value_kind:     by_value
      - .offset:         108
        .size:           4
        .value_kind:     by_value
      - .offset:         112
        .size:           4
        .value_kind:     by_value
      - .offset:         116
        .size:           12
        .value_kind:     by_value
      - .offset:         128
        .size:           4
        .value_kind:     by_value
      - .offset:         132
        .size:           4
        .value_kind:     by_value
      - .offset:         136
        .size:           4
        .value_kind:     by_value
      - .offset:         140
        .size:           4
        .value_kind:     by_value
    .group_segment_fixed_size: 512
    .kernarg_segment_align: 8
    .kernarg_segment_size: 144
    .language:       OpenCL C
    .language_version:
      - 2
      - 0
    .max_flat_workgroup_size: 128
    .name:           _ZL13mul_mat_vec_qIL9ggml_type13ELi1ELb1ELb0EEvPKvS2_PKi31ggml_cuda_mm_fusion_args_devicePfj15HIP_vector_typeIjLj3EEjjjS8_jjjS8_jjjj
    .private_segment_fixed_size: 0
    .sgpr_count:     50
    .sgpr_spill_count: 0
    .symbol:         _ZL13mul_mat_vec_qIL9ggml_type13ELi1ELb1ELb0EEvPKvS2_PKi31ggml_cuda_mm_fusion_args_devicePfj15HIP_vector_typeIjLj3EEjjjS8_jjjS8_jjjj.kd
    .uniform_work_group_size: 1
    .uses_dynamic_stack: false
    .vgpr_count:     48
    .vgpr_spill_count: 0
    .wavefront_size: 64
  - .agpr_count:     0
    .args:
      - .address_space:  global
        .offset:         0
        .size:           8
        .value_kind:     global_buffer
      - .address_space:  global
        .offset:         8
        .size:           8
        .value_kind:     global_buffer
      - .address_space:  global
        .offset:         16
        .size:           8
        .value_kind:     global_buffer
      - .offset:         24
        .size:           32
        .value_kind:     by_value
      - .address_space:  global
        .offset:         56
        .size:           8
        .value_kind:     global_buffer
      - .offset:         64
        .size:           4
        .value_kind:     by_value
      - .offset:         68
        .size:           12
        .value_kind:     by_value
      - .offset:         80
        .size:           4
        .value_kind:     by_value
      - .offset:         84
        .size:           4
        .value_kind:     by_value
      - .offset:         88
        .size:           4
        .value_kind:     by_value
      - .offset:         92
        .size:           12
        .value_kind:     by_value
      - .offset:         104
        .size:           4
        .value_kind:     by_value
      - .offset:         108
        .size:           4
        .value_kind:     by_value
      - .offset:         112
        .size:           4
        .value_kind:     by_value
      - .offset:         116
        .size:           12
        .value_kind:     by_value
      - .offset:         128
        .size:           4
        .value_kind:     by_value
      - .offset:         132
        .size:           4
        .value_kind:     by_value
      - .offset:         136
        .size:           4
        .value_kind:     by_value
      - .offset:         140
        .size:           4
        .value_kind:     by_value
    .group_segment_fixed_size: 256
    .kernarg_segment_align: 8
    .kernarg_segment_size: 144
    .language:       OpenCL C
    .language_version:
      - 2
      - 0
    .max_flat_workgroup_size: 128
    .name:           _ZL13mul_mat_vec_qIL9ggml_type13ELi1ELb0ELb0EEvPKvS2_PKi31ggml_cuda_mm_fusion_args_devicePfj15HIP_vector_typeIjLj3EEjjjS8_jjjS8_jjjj
    .private_segment_fixed_size: 0
    .sgpr_count:     31
    .sgpr_spill_count: 0
    .symbol:         _ZL13mul_mat_vec_qIL9ggml_type13ELi1ELb0ELb0EEvPKvS2_PKi31ggml_cuda_mm_fusion_args_devicePfj15HIP_vector_typeIjLj3EEjjjS8_jjjS8_jjjj.kd
    .uniform_work_group_size: 1
    .uses_dynamic_stack: false
    .vgpr_count:     39
    .vgpr_spill_count: 0
    .wavefront_size: 64
  - .agpr_count:     0
    .args:
      - .address_space:  global
        .offset:         0
        .size:           8
        .value_kind:     global_buffer
      - .address_space:  global
        .offset:         8
        .size:           8
        .value_kind:     global_buffer
      - .address_space:  global
        .offset:         16
        .size:           8
        .value_kind:     global_buffer
      - .offset:         24
        .size:           32
        .value_kind:     by_value
      - .address_space:  global
        .offset:         56
        .size:           8
        .value_kind:     global_buffer
      - .offset:         64
        .size:           4
        .value_kind:     by_value
      - .offset:         68
        .size:           12
        .value_kind:     by_value
      - .offset:         80
        .size:           4
        .value_kind:     by_value
      - .offset:         84
        .size:           4
        .value_kind:     by_value
      - .offset:         88
        .size:           4
        .value_kind:     by_value
      - .offset:         92
        .size:           12
        .value_kind:     by_value
      - .offset:         104
        .size:           4
        .value_kind:     by_value
      - .offset:         108
        .size:           4
        .value_kind:     by_value
      - .offset:         112
        .size:           4
        .value_kind:     by_value
      - .offset:         116
        .size:           12
        .value_kind:     by_value
      - .offset:         128
        .size:           4
        .value_kind:     by_value
      - .offset:         132
        .size:           4
        .value_kind:     by_value
      - .offset:         136
        .size:           4
        .value_kind:     by_value
      - .offset:         140
        .size:           4
        .value_kind:     by_value
    .group_segment_fixed_size: 3072
    .kernarg_segment_align: 8
    .kernarg_segment_size: 144
    .language:       OpenCL C
    .language_version:
      - 2
      - 0
    .max_flat_workgroup_size: 128
    .name:           _ZL13mul_mat_vec_qIL9ggml_type13ELi2ELb0ELb0EEvPKvS2_PKi31ggml_cuda_mm_fusion_args_devicePfj15HIP_vector_typeIjLj3EEjjjS8_jjjS8_jjjj
    .private_segment_fixed_size: 0
    .sgpr_count:     35
    .sgpr_spill_count: 0
    .symbol:         _ZL13mul_mat_vec_qIL9ggml_type13ELi2ELb0ELb0EEvPKvS2_PKi31ggml_cuda_mm_fusion_args_devicePfj15HIP_vector_typeIjLj3EEjjjS8_jjjS8_jjjj.kd
    .uniform_work_group_size: 1
    .uses_dynamic_stack: false
    .vgpr_count:     58
    .vgpr_spill_count: 0
    .wavefront_size: 64
  - .agpr_count:     0
    .args:
      - .address_space:  global
        .offset:         0
        .size:           8
        .value_kind:     global_buffer
      - .address_space:  global
        .offset:         8
        .size:           8
        .value_kind:     global_buffer
      - .address_space:  global
        .offset:         16
        .size:           8
        .value_kind:     global_buffer
      - .offset:         24
        .size:           32
        .value_kind:     by_value
      - .address_space:  global
        .offset:         56
        .size:           8
        .value_kind:     global_buffer
      - .offset:         64
        .size:           4
        .value_kind:     by_value
      - .offset:         68
        .size:           12
        .value_kind:     by_value
      - .offset:         80
        .size:           4
        .value_kind:     by_value
      - .offset:         84
        .size:           4
        .value_kind:     by_value
      - .offset:         88
        .size:           4
        .value_kind:     by_value
      - .offset:         92
        .size:           12
        .value_kind:     by_value
      - .offset:         104
        .size:           4
        .value_kind:     by_value
      - .offset:         108
        .size:           4
        .value_kind:     by_value
      - .offset:         112
        .size:           4
        .value_kind:     by_value
      - .offset:         116
        .size:           12
        .value_kind:     by_value
      - .offset:         128
        .size:           4
        .value_kind:     by_value
      - .offset:         132
        .size:           4
        .value_kind:     by_value
      - .offset:         136
        .size:           4
        .value_kind:     by_value
      - .offset:         140
        .size:           4
        .value_kind:     by_value
    .group_segment_fixed_size: 1536
    .kernarg_segment_align: 8
    .kernarg_segment_size: 144
    .language:       OpenCL C
    .language_version:
      - 2
      - 0
    .max_flat_workgroup_size: 128
    .name:           _ZL13mul_mat_vec_qIL9ggml_type13ELi3ELb0ELb0EEvPKvS2_PKi31ggml_cuda_mm_fusion_args_devicePfj15HIP_vector_typeIjLj3EEjjjS8_jjjS8_jjjj
    .private_segment_fixed_size: 32
    .sgpr_count:     36
    .sgpr_spill_count: 0
    .symbol:         _ZL13mul_mat_vec_qIL9ggml_type13ELi3ELb0ELb0EEvPKvS2_PKi31ggml_cuda_mm_fusion_args_devicePfj15HIP_vector_typeIjLj3EEjjjS8_jjjS8_jjjj.kd
    .uniform_work_group_size: 1
    .uses_dynamic_stack: false
    .vgpr_count:     74
    .vgpr_spill_count: 0
    .wavefront_size: 64
  - .agpr_count:     0
    .args:
      - .address_space:  global
        .offset:         0
        .size:           8
        .value_kind:     global_buffer
      - .address_space:  global
        .offset:         8
        .size:           8
        .value_kind:     global_buffer
      - .address_space:  global
        .offset:         16
        .size:           8
        .value_kind:     global_buffer
      - .offset:         24
        .size:           32
        .value_kind:     by_value
      - .address_space:  global
        .offset:         56
        .size:           8
        .value_kind:     global_buffer
      - .offset:         64
        .size:           4
        .value_kind:     by_value
      - .offset:         68
        .size:           12
        .value_kind:     by_value
      - .offset:         80
        .size:           4
        .value_kind:     by_value
      - .offset:         84
        .size:           4
        .value_kind:     by_value
      - .offset:         88
        .size:           4
        .value_kind:     by_value
      - .offset:         92
        .size:           12
        .value_kind:     by_value
      - .offset:         104
        .size:           4
        .value_kind:     by_value
      - .offset:         108
        .size:           4
        .value_kind:     by_value
      - .offset:         112
        .size:           4
        .value_kind:     by_value
      - .offset:         116
        .size:           12
        .value_kind:     by_value
      - .offset:         128
        .size:           4
        .value_kind:     by_value
      - .offset:         132
        .size:           4
        .value_kind:     by_value
      - .offset:         136
        .size:           4
        .value_kind:     by_value
      - .offset:         140
        .size:           4
        .value_kind:     by_value
    .group_segment_fixed_size: 2048
    .kernarg_segment_align: 8
    .kernarg_segment_size: 144
    .language:       OpenCL C
    .language_version:
      - 2
      - 0
    .max_flat_workgroup_size: 128
    .name:           _ZL13mul_mat_vec_qIL9ggml_type13ELi4ELb0ELb0EEvPKvS2_PKi31ggml_cuda_mm_fusion_args_devicePfj15HIP_vector_typeIjLj3EEjjjS8_jjjS8_jjjj
    .private_segment_fixed_size: 48
    .sgpr_count:     36
    .sgpr_spill_count: 0
    .symbol:         _ZL13mul_mat_vec_qIL9ggml_type13ELi4ELb0ELb0EEvPKvS2_PKi31ggml_cuda_mm_fusion_args_devicePfj15HIP_vector_typeIjLj3EEjjjS8_jjjS8_jjjj.kd
    .uniform_work_group_size: 1
    .uses_dynamic_stack: false
    .vgpr_count:     88
    .vgpr_spill_count: 0
    .wavefront_size: 64
  - .agpr_count:     0
    .args:
      - .address_space:  global
        .offset:         0
        .size:           8
        .value_kind:     global_buffer
      - .address_space:  global
        .offset:         8
        .size:           8
        .value_kind:     global_buffer
      - .address_space:  global
        .offset:         16
        .size:           8
        .value_kind:     global_buffer
      - .offset:         24
        .size:           32
        .value_kind:     by_value
      - .address_space:  global
        .offset:         56
        .size:           8
        .value_kind:     global_buffer
      - .offset:         64
        .size:           4
        .value_kind:     by_value
      - .offset:         68
        .size:           12
        .value_kind:     by_value
      - .offset:         80
        .size:           4
        .value_kind:     by_value
      - .offset:         84
        .size:           4
        .value_kind:     by_value
      - .offset:         88
        .size:           4
        .value_kind:     by_value
      - .offset:         92
        .size:           12
        .value_kind:     by_value
      - .offset:         104
        .size:           4
        .value_kind:     by_value
      - .offset:         108
        .size:           4
        .value_kind:     by_value
      - .offset:         112
        .size:           4
        .value_kind:     by_value
      - .offset:         116
        .size:           12
        .value_kind:     by_value
      - .offset:         128
        .size:           4
        .value_kind:     by_value
      - .offset:         132
        .size:           4
        .value_kind:     by_value
      - .offset:         136
        .size:           4
        .value_kind:     by_value
      - .offset:         140
        .size:           4
        .value_kind:     by_value
    .group_segment_fixed_size: 0
    .kernarg_segment_align: 8
    .kernarg_segment_size: 144
    .language:       OpenCL C
    .language_version:
      - 2
      - 0
    .max_flat_workgroup_size: 64
    .name:           _ZL13mul_mat_vec_qIL9ggml_type13ELi5ELb0ELb0EEvPKvS2_PKi31ggml_cuda_mm_fusion_args_devicePfj15HIP_vector_typeIjLj3EEjjjS8_jjjS8_jjjj
    .private_segment_fixed_size: 48
    .sgpr_count:     41
    .sgpr_spill_count: 0
    .symbol:         _ZL13mul_mat_vec_qIL9ggml_type13ELi5ELb0ELb0EEvPKvS2_PKi31ggml_cuda_mm_fusion_args_devicePfj15HIP_vector_typeIjLj3EEjjjS8_jjjS8_jjjj.kd
    .uniform_work_group_size: 1
    .uses_dynamic_stack: false
    .vgpr_count:     98
    .vgpr_spill_count: 0
    .wavefront_size: 64
  - .agpr_count:     0
    .args:
      - .address_space:  global
        .offset:         0
        .size:           8
        .value_kind:     global_buffer
      - .address_space:  global
        .offset:         8
        .size:           8
        .value_kind:     global_buffer
      - .address_space:  global
        .offset:         16
        .size:           8
        .value_kind:     global_buffer
      - .offset:         24
        .size:           32
        .value_kind:     by_value
      - .address_space:  global
        .offset:         56
        .size:           8
        .value_kind:     global_buffer
      - .offset:         64
        .size:           4
        .value_kind:     by_value
      - .offset:         68
        .size:           12
        .value_kind:     by_value
      - .offset:         80
        .size:           4
        .value_kind:     by_value
      - .offset:         84
        .size:           4
        .value_kind:     by_value
      - .offset:         88
        .size:           4
        .value_kind:     by_value
      - .offset:         92
        .size:           12
        .value_kind:     by_value
      - .offset:         104
        .size:           4
        .value_kind:     by_value
      - .offset:         108
        .size:           4
        .value_kind:     by_value
      - .offset:         112
        .size:           4
        .value_kind:     by_value
      - .offset:         116
        .size:           12
        .value_kind:     by_value
      - .offset:         128
        .size:           4
        .value_kind:     by_value
      - .offset:         132
        .size:           4
        .value_kind:     by_value
      - .offset:         136
        .size:           4
        .value_kind:     by_value
      - .offset:         140
        .size:           4
        .value_kind:     by_value
    .group_segment_fixed_size: 0
    .kernarg_segment_align: 8
    .kernarg_segment_size: 144
    .language:       OpenCL C
    .language_version:
      - 2
      - 0
    .max_flat_workgroup_size: 64
    .name:           _ZL13mul_mat_vec_qIL9ggml_type13ELi6ELb0ELb0EEvPKvS2_PKi31ggml_cuda_mm_fusion_args_devicePfj15HIP_vector_typeIjLj3EEjjjS8_jjjS8_jjjj
    .private_segment_fixed_size: 64
    .sgpr_count:     42
    .sgpr_spill_count: 0
    .symbol:         _ZL13mul_mat_vec_qIL9ggml_type13ELi6ELb0ELb0EEvPKvS2_PKi31ggml_cuda_mm_fusion_args_devicePfj15HIP_vector_typeIjLj3EEjjjS8_jjjS8_jjjj.kd
    .uniform_work_group_size: 1
    .uses_dynamic_stack: false
    .vgpr_count:     110
    .vgpr_spill_count: 0
    .wavefront_size: 64
  - .agpr_count:     0
    .args:
      - .address_space:  global
        .offset:         0
        .size:           8
        .value_kind:     global_buffer
      - .address_space:  global
        .offset:         8
        .size:           8
        .value_kind:     global_buffer
      - .address_space:  global
        .offset:         16
        .size:           8
        .value_kind:     global_buffer
      - .offset:         24
        .size:           32
        .value_kind:     by_value
      - .address_space:  global
        .offset:         56
        .size:           8
        .value_kind:     global_buffer
      - .offset:         64
        .size:           4
        .value_kind:     by_value
      - .offset:         68
        .size:           12
        .value_kind:     by_value
      - .offset:         80
        .size:           4
        .value_kind:     by_value
      - .offset:         84
        .size:           4
        .value_kind:     by_value
      - .offset:         88
        .size:           4
        .value_kind:     by_value
      - .offset:         92
        .size:           12
        .value_kind:     by_value
      - .offset:         104
        .size:           4
        .value_kind:     by_value
      - .offset:         108
        .size:           4
        .value_kind:     by_value
      - .offset:         112
        .size:           4
        .value_kind:     by_value
      - .offset:         116
        .size:           12
        .value_kind:     by_value
      - .offset:         128
        .size:           4
        .value_kind:     by_value
      - .offset:         132
        .size:           4
        .value_kind:     by_value
      - .offset:         136
        .size:           4
        .value_kind:     by_value
      - .offset:         140
        .size:           4
        .value_kind:     by_value
    .group_segment_fixed_size: 0
    .kernarg_segment_align: 8
    .kernarg_segment_size: 144
    .language:       OpenCL C
    .language_version:
      - 2
      - 0
    .max_flat_workgroup_size: 64
    .name:           _ZL13mul_mat_vec_qIL9ggml_type13ELi7ELb0ELb0EEvPKvS2_PKi31ggml_cuda_mm_fusion_args_devicePfj15HIP_vector_typeIjLj3EEjjjS8_jjjS8_jjjj
    .private_segment_fixed_size: 64
    .sgpr_count:     43
    .sgpr_spill_count: 0
    .symbol:         _ZL13mul_mat_vec_qIL9ggml_type13ELi7ELb0ELb0EEvPKvS2_PKi31ggml_cuda_mm_fusion_args_devicePfj15HIP_vector_typeIjLj3EEjjjS8_jjjS8_jjjj.kd
    .uniform_work_group_size: 1
    .uses_dynamic_stack: false
    .vgpr_count:     122
    .vgpr_spill_count: 0
    .wavefront_size: 64
  - .agpr_count:     0
    .args:
      - .address_space:  global
        .offset:         0
        .size:           8
        .value_kind:     global_buffer
      - .address_space:  global
        .offset:         8
        .size:           8
        .value_kind:     global_buffer
      - .address_space:  global
        .offset:         16
        .size:           8
        .value_kind:     global_buffer
      - .offset:         24
        .size:           32
        .value_kind:     by_value
      - .address_space:  global
        .offset:         56
        .size:           8
        .value_kind:     global_buffer
      - .offset:         64
        .size:           4
        .value_kind:     by_value
      - .offset:         68
        .size:           12
        .value_kind:     by_value
      - .offset:         80
        .size:           4
        .value_kind:     by_value
      - .offset:         84
        .size:           4
        .value_kind:     by_value
      - .offset:         88
        .size:           4
        .value_kind:     by_value
      - .offset:         92
        .size:           12
        .value_kind:     by_value
      - .offset:         104
        .size:           4
        .value_kind:     by_value
      - .offset:         108
        .size:           4
        .value_kind:     by_value
      - .offset:         112
        .size:           4
        .value_kind:     by_value
      - .offset:         116
        .size:           12
        .value_kind:     by_value
      - .offset:         128
        .size:           4
        .value_kind:     by_value
      - .offset:         132
        .size:           4
        .value_kind:     by_value
      - .offset:         136
        .size:           4
        .value_kind:     by_value
      - .offset:         140
        .size:           4
        .value_kind:     by_value
    .group_segment_fixed_size: 0
    .kernarg_segment_align: 8
    .kernarg_segment_size: 144
    .language:       OpenCL C
    .language_version:
      - 2
      - 0
    .max_flat_workgroup_size: 64
    .name:           _ZL13mul_mat_vec_qIL9ggml_type13ELi8ELb0ELb0EEvPKvS2_PKi31ggml_cuda_mm_fusion_args_devicePfj15HIP_vector_typeIjLj3EEjjjS8_jjjS8_jjjj
    .private_segment_fixed_size: 80
    .sgpr_count:     44
    .sgpr_spill_count: 0
    .symbol:         _ZL13mul_mat_vec_qIL9ggml_type13ELi8ELb0ELb0EEvPKvS2_PKi31ggml_cuda_mm_fusion_args_devicePfj15HIP_vector_typeIjLj3EEjjjS8_jjjS8_jjjj.kd
    .uniform_work_group_size: 1
    .uses_dynamic_stack: false
    .vgpr_count:     132
    .vgpr_spill_count: 0
    .wavefront_size: 64
  - .agpr_count:     0
    .args:
      - .address_space:  global
        .offset:         0
        .size:           8
        .value_kind:     global_buffer
      - .address_space:  global
        .offset:         8
        .size:           8
        .value_kind:     global_buffer
      - .address_space:  global
        .offset:         16
        .size:           8
        .value_kind:     global_buffer
      - .address_space:  global
        .offset:         24
        .size:           8
        .value_kind:     global_buffer
      - .offset:         32
        .size:           4
        .value_kind:     by_value
      - .offset:         36
        .size:           12
        .value_kind:     by_value
      - .offset:         48
        .size:           4
        .value_kind:     by_value
      - .offset:         52
        .size:           4
        .value_kind:     by_value
      - .offset:         56
        .size:           4
        .value_kind:     by_value
      - .offset:         60
        .size:           4
        .value_kind:     by_value
      - .offset:         64
        .size:           4
        .value_kind:     by_value
      - .offset:         68
        .size:           4
        .value_kind:     by_value
      - .offset:         72
        .size:           4
        .value_kind:     by_value
      - .offset:         76
        .size:           4
        .value_kind:     by_value
      - .offset:         80
        .size:           4
        .value_kind:     by_value
    .group_segment_fixed_size: 0
    .kernarg_segment_align: 8
    .kernarg_segment_size: 84
    .language:       OpenCL C
    .language_version:
      - 2
      - 0
    .max_flat_workgroup_size: 512
    .name:           _ZL17mul_mat_vec_q_moeIL9ggml_type14ELi2EEvPKvS2_PKiPfj15HIP_vector_typeIjLj3EEjjjjjjjjj
    .private_segment_fixed_size: 0
    .sgpr_count:     37
    .sgpr_spill_count: 0
    .symbol:         _ZL17mul_mat_vec_q_moeIL9ggml_type14ELi2EEvPKvS2_PKiPfj15HIP_vector_typeIjLj3EEjjjjjjjjj.kd
    .uniform_work_group_size: 1
    .uses_dynamic_stack: false
    .vgpr_count:     51
    .vgpr_spill_count: 0
    .wavefront_size: 64
  - .agpr_count:     0
    .args:
      - .address_space:  global
        .offset:         0
        .size:           8
        .value_kind:     global_buffer
      - .address_space:  global
        .offset:         8
        .size:           8
        .value_kind:     global_buffer
      - .address_space:  global
        .offset:         16
        .size:           8
        .value_kind:     global_buffer
      - .offset:         24
        .size:           32
        .value_kind:     by_value
      - .address_space:  global
        .offset:         56
        .size:           8
        .value_kind:     global_buffer
      - .offset:         64
        .size:           4
        .value_kind:     by_value
      - .offset:         68
        .size:           12
        .value_kind:     by_value
      - .offset:         80
        .size:           4
        .value_kind:     by_value
      - .offset:         84
        .size:           4
        .value_kind:     by_value
      - .offset:         88
        .size:           4
        .value_kind:     by_value
      - .offset:         92
        .size:           12
        .value_kind:     by_value
      - .offset:         104
        .size:           4
        .value_kind:     by_value
      - .offset:         108
        .size:           4
        .value_kind:     by_value
      - .offset:         112
        .size:           4
        .value_kind:     by_value
      - .offset:         116
        .size:           12
        .value_kind:     by_value
      - .offset:         128
        .size:           4
        .value_kind:     by_value
      - .offset:         132
        .size:           4
        .value_kind:     by_value
      - .offset:         136
        .size:           4
        .value_kind:     by_value
      - .offset:         140
        .size:           4
        .value_kind:     by_value
    .group_segment_fixed_size: 3072
    .kernarg_segment_align: 8
    .kernarg_segment_size: 144
    .language:       OpenCL C
    .language_version:
      - 2
      - 0
    .max_flat_workgroup_size: 128
    .name:           _ZL13mul_mat_vec_qIL9ggml_type14ELi1ELb1ELb1EEvPKvS2_PKi31ggml_cuda_mm_fusion_args_devicePfj15HIP_vector_typeIjLj3EEjjjS8_jjjS8_jjjj
    .private_segment_fixed_size: 0
    .sgpr_count:     52
    .sgpr_spill_count: 0
    .symbol:         _ZL13mul_mat_vec_qIL9ggml_type14ELi1ELb1ELb1EEvPKvS2_PKi31ggml_cuda_mm_fusion_args_devicePfj15HIP_vector_typeIjLj3EEjjjS8_jjjS8_jjjj.kd
    .uniform_work_group_size: 1
    .uses_dynamic_stack: false
    .vgpr_count:     54
    .vgpr_spill_count: 0
    .wavefront_size: 64
  - .agpr_count:     0
    .args:
      - .address_space:  global
        .offset:         0
        .size:           8
        .value_kind:     global_buffer
      - .address_space:  global
        .offset:         8
        .size:           8
        .value_kind:     global_buffer
      - .address_space:  global
        .offset:         16
        .size:           8
        .value_kind:     global_buffer
      - .offset:         24
        .size:           32
        .value_kind:     by_value
      - .address_space:  global
        .offset:         56
        .size:           8
        .value_kind:     global_buffer
      - .offset:         64
        .size:           4
        .value_kind:     by_value
      - .offset:         68
        .size:           12
        .value_kind:     by_value
      - .offset:         80
        .size:           4
        .value_kind:     by_value
      - .offset:         84
        .size:           4
        .value_kind:     by_value
      - .offset:         88
        .size:           4
        .value_kind:     by_value
      - .offset:         92
        .size:           12
        .value_kind:     by_value
      - .offset:         104
        .size:           4
        .value_kind:     by_value
      - .offset:         108
        .size:           4
        .value_kind:     by_value
      - .offset:         112
        .size:           4
        .value_kind:     by_value
      - .offset:         116
        .size:           12
        .value_kind:     by_value
      - .offset:         128
        .size:           4
        .value_kind:     by_value
      - .offset:         132
        .size:           4
        .value_kind:     by_value
      - .offset:         136
        .size:           4
        .value_kind:     by_value
      - .offset:         140
        .size:           4
        .value_kind:     by_value
    .group_segment_fixed_size: 1536
    .kernarg_segment_align: 8
    .kernarg_segment_size: 144
    .language:       OpenCL C
    .language_version:
      - 2
      - 0
    .max_flat_workgroup_size: 128
    .name:           _ZL13mul_mat_vec_qIL9ggml_type14ELi1ELb0ELb1EEvPKvS2_PKi31ggml_cuda_mm_fusion_args_devicePfj15HIP_vector_typeIjLj3EEjjjS8_jjjS8_jjjj
    .private_segment_fixed_size: 0
    .sgpr_count:     30
    .sgpr_spill_count: 0
    .symbol:         _ZL13mul_mat_vec_qIL9ggml_type14ELi1ELb0ELb1EEvPKvS2_PKi31ggml_cuda_mm_fusion_args_devicePfj15HIP_vector_typeIjLj3EEjjjS8_jjjS8_jjjj.kd
    .uniform_work_group_size: 1
    .uses_dynamic_stack: false
    .vgpr_count:     50
    .vgpr_spill_count: 0
    .wavefront_size: 64
  - .agpr_count:     0
    .args:
      - .address_space:  global
        .offset:         0
        .size:           8
        .value_kind:     global_buffer
      - .address_space:  global
        .offset:         8
        .size:           8
        .value_kind:     global_buffer
      - .address_space:  global
        .offset:         16
        .size:           8
        .value_kind:     global_buffer
      - .offset:         24
        .size:           32
        .value_kind:     by_value
      - .address_space:  global
        .offset:         56
        .size:           8
        .value_kind:     global_buffer
      - .offset:         64
        .size:           4
        .value_kind:     by_value
      - .offset:         68
        .size:           12
        .value_kind:     by_value
      - .offset:         80
        .size:           4
        .value_kind:     by_value
      - .offset:         84
        .size:           4
        .value_kind:     by_value
      - .offset:         88
        .size:           4
        .value_kind:     by_value
      - .offset:         92
        .size:           12
        .value_kind:     by_value
      - .offset:         104
        .size:           4
        .value_kind:     by_value
      - .offset:         108
        .size:           4
        .value_kind:     by_value
      - .offset:         112
        .size:           4
        .value_kind:     by_value
      - .offset:         116
        .size:           12
        .value_kind:     by_value
      - .offset:         128
        .size:           4
        .value_kind:     by_value
      - .offset:         132
        .size:           4
        .value_kind:     by_value
      - .offset:         136
        .size:           4
        .value_kind:     by_value
      - .offset:         140
        .size:           4
        .value_kind:     by_value
    .group_segment_fixed_size: 512
    .kernarg_segment_align: 8
    .kernarg_segment_size: 144
    .language:       OpenCL C
    .language_version:
      - 2
      - 0
    .max_flat_workgroup_size: 128
    .name:           _ZL13mul_mat_vec_qIL9ggml_type14ELi1ELb1ELb0EEvPKvS2_PKi31ggml_cuda_mm_fusion_args_devicePfj15HIP_vector_typeIjLj3EEjjjS8_jjjS8_jjjj
    .private_segment_fixed_size: 0
    .sgpr_count:     50
    .sgpr_spill_count: 0
    .symbol:         _ZL13mul_mat_vec_qIL9ggml_type14ELi1ELb1ELb0EEvPKvS2_PKi31ggml_cuda_mm_fusion_args_devicePfj15HIP_vector_typeIjLj3EEjjjS8_jjjS8_jjjj.kd
    .uniform_work_group_size: 1
    .uses_dynamic_stack: false
    .vgpr_count:     44
    .vgpr_spill_count: 0
    .wavefront_size: 64
  - .agpr_count:     0
    .args:
      - .address_space:  global
        .offset:         0
        .size:           8
        .value_kind:     global_buffer
      - .address_space:  global
        .offset:         8
        .size:           8
        .value_kind:     global_buffer
      - .address_space:  global
        .offset:         16
        .size:           8
        .value_kind:     global_buffer
      - .offset:         24
        .size:           32
        .value_kind:     by_value
      - .address_space:  global
        .offset:         56
        .size:           8
        .value_kind:     global_buffer
      - .offset:         64
        .size:           4
        .value_kind:     by_value
      - .offset:         68
        .size:           12
        .value_kind:     by_value
      - .offset:         80
        .size:           4
        .value_kind:     by_value
      - .offset:         84
        .size:           4
        .value_kind:     by_value
      - .offset:         88
        .size:           4
        .value_kind:     by_value
      - .offset:         92
        .size:           12
        .value_kind:     by_value
      - .offset:         104
        .size:           4
        .value_kind:     by_value
      - .offset:         108
        .size:           4
        .value_kind:     by_value
      - .offset:         112
        .size:           4
        .value_kind:     by_value
      - .offset:         116
        .size:           12
        .value_kind:     by_value
      - .offset:         128
        .size:           4
        .value_kind:     by_value
      - .offset:         132
        .size:           4
        .value_kind:     by_value
      - .offset:         136
        .size:           4
        .value_kind:     by_value
      - .offset:         140
        .size:           4
        .value_kind:     by_value
    .group_segment_fixed_size: 256
    .kernarg_segment_align: 8
    .kernarg_segment_size: 144
    .language:       OpenCL C
    .language_version:
      - 2
      - 0
    .max_flat_workgroup_size: 128
    .name:           _ZL13mul_mat_vec_qIL9ggml_type14ELi1ELb0ELb0EEvPKvS2_PKi31ggml_cuda_mm_fusion_args_devicePfj15HIP_vector_typeIjLj3EEjjjS8_jjjS8_jjjj
    .private_segment_fixed_size: 0
    .sgpr_count:     30
    .sgpr_spill_count: 0
    .symbol:         _ZL13mul_mat_vec_qIL9ggml_type14ELi1ELb0ELb0EEvPKvS2_PKi31ggml_cuda_mm_fusion_args_devicePfj15HIP_vector_typeIjLj3EEjjjS8_jjjS8_jjjj.kd
    .uniform_work_group_size: 1
    .uses_dynamic_stack: false
    .vgpr_count:     35
    .vgpr_spill_count: 0
    .wavefront_size: 64
  - .agpr_count:     0
    .args:
      - .address_space:  global
        .offset:         0
        .size:           8
        .value_kind:     global_buffer
      - .address_space:  global
        .offset:         8
        .size:           8
        .value_kind:     global_buffer
      - .address_space:  global
        .offset:         16
        .size:           8
        .value_kind:     global_buffer
      - .offset:         24
        .size:           32
        .value_kind:     by_value
      - .address_space:  global
        .offset:         56
        .size:           8
        .value_kind:     global_buffer
      - .offset:         64
        .size:           4
        .value_kind:     by_value
      - .offset:         68
        .size:           12
        .value_kind:     by_value
      - .offset:         80
        .size:           4
        .value_kind:     by_value
      - .offset:         84
        .size:           4
        .value_kind:     by_value
      - .offset:         88
        .size:           4
        .value_kind:     by_value
      - .offset:         92
        .size:           12
        .value_kind:     by_value
      - .offset:         104
        .size:           4
        .value_kind:     by_value
      - .offset:         108
        .size:           4
        .value_kind:     by_value
      - .offset:         112
        .size:           4
        .value_kind:     by_value
      - .offset:         116
        .size:           12
        .value_kind:     by_value
      - .offset:         128
        .size:           4
        .value_kind:     by_value
      - .offset:         132
        .size:           4
        .value_kind:     by_value
      - .offset:         136
        .size:           4
        .value_kind:     by_value
      - .offset:         140
        .size:           4
        .value_kind:     by_value
    .group_segment_fixed_size: 3072
    .kernarg_segment_align: 8
    .kernarg_segment_size: 144
    .language:       OpenCL C
    .language_version:
      - 2
      - 0
    .max_flat_workgroup_size: 128
    .name:           _ZL13mul_mat_vec_qIL9ggml_type14ELi2ELb0ELb0EEvPKvS2_PKi31ggml_cuda_mm_fusion_args_devicePfj15HIP_vector_typeIjLj3EEjjjS8_jjjS8_jjjj
    .private_segment_fixed_size: 0
    .sgpr_count:     32
    .sgpr_spill_count: 0
    .symbol:         _ZL13mul_mat_vec_qIL9ggml_type14ELi2ELb0ELb0EEvPKvS2_PKi31ggml_cuda_mm_fusion_args_devicePfj15HIP_vector_typeIjLj3EEjjjS8_jjjS8_jjjj.kd
    .uniform_work_group_size: 1
    .uses_dynamic_stack: false
    .vgpr_count:     64
    .vgpr_spill_count: 0
    .wavefront_size: 64
  - .agpr_count:     0
    .args:
      - .address_space:  global
        .offset:         0
        .size:           8
        .value_kind:     global_buffer
      - .address_space:  global
        .offset:         8
        .size:           8
        .value_kind:     global_buffer
      - .address_space:  global
        .offset:         16
        .size:           8
        .value_kind:     global_buffer
      - .offset:         24
        .size:           32
        .value_kind:     by_value
      - .address_space:  global
        .offset:         56
        .size:           8
        .value_kind:     global_buffer
      - .offset:         64
        .size:           4
        .value_kind:     by_value
      - .offset:         68
        .size:           12
        .value_kind:     by_value
      - .offset:         80
        .size:           4
        .value_kind:     by_value
      - .offset:         84
        .size:           4
        .value_kind:     by_value
      - .offset:         88
        .size:           4
        .value_kind:     by_value
      - .offset:         92
        .size:           12
        .value_kind:     by_value
      - .offset:         104
        .size:           4
        .value_kind:     by_value
      - .offset:         108
        .size:           4
        .value_kind:     by_value
      - .offset:         112
        .size:           4
        .value_kind:     by_value
      - .offset:         116
        .size:           12
        .value_kind:     by_value
      - .offset:         128
        .size:           4
        .value_kind:     by_value
      - .offset:         132
        .size:           4
        .value_kind:     by_value
      - .offset:         136
        .size:           4
        .value_kind:     by_value
      - .offset:         140
        .size:           4
        .value_kind:     by_value
    .group_segment_fixed_size: 1536
    .kernarg_segment_align: 8
    .kernarg_segment_size: 144
    .language:       OpenCL C
    .language_version:
      - 2
      - 0
    .max_flat_workgroup_size: 128
    .name:           _ZL13mul_mat_vec_qIL9ggml_type14ELi3ELb0ELb0EEvPKvS2_PKi31ggml_cuda_mm_fusion_args_devicePfj15HIP_vector_typeIjLj3EEjjjS8_jjjS8_jjjj
    .private_segment_fixed_size: 32
    .sgpr_count:     32
    .sgpr_spill_count: 0
    .symbol:         _ZL13mul_mat_vec_qIL9ggml_type14ELi3ELb0ELb0EEvPKvS2_PKi31ggml_cuda_mm_fusion_args_devicePfj15HIP_vector_typeIjLj3EEjjjS8_jjjS8_jjjj.kd
    .uniform_work_group_size: 1
    .uses_dynamic_stack: false
    .vgpr_count:     64
    .vgpr_spill_count: 0
    .wavefront_size: 64
  - .agpr_count:     0
    .args:
      - .address_space:  global
        .offset:         0
        .size:           8
        .value_kind:     global_buffer
      - .address_space:  global
        .offset:         8
        .size:           8
        .value_kind:     global_buffer
      - .address_space:  global
        .offset:         16
        .size:           8
        .value_kind:     global_buffer
      - .offset:         24
        .size:           32
        .value_kind:     by_value
      - .address_space:  global
        .offset:         56
        .size:           8
        .value_kind:     global_buffer
      - .offset:         64
        .size:           4
        .value_kind:     by_value
      - .offset:         68
        .size:           12
        .value_kind:     by_value
      - .offset:         80
        .size:           4
        .value_kind:     by_value
      - .offset:         84
        .size:           4
        .value_kind:     by_value
      - .offset:         88
        .size:           4
        .value_kind:     by_value
      - .offset:         92
        .size:           12
        .value_kind:     by_value
      - .offset:         104
        .size:           4
        .value_kind:     by_value
      - .offset:         108
        .size:           4
        .value_kind:     by_value
      - .offset:         112
        .size:           4
        .value_kind:     by_value
      - .offset:         116
        .size:           12
        .value_kind:     by_value
      - .offset:         128
        .size:           4
        .value_kind:     by_value
      - .offset:         132
        .size:           4
        .value_kind:     by_value
      - .offset:         136
        .size:           4
        .value_kind:     by_value
      - .offset:         140
        .size:           4
        .value_kind:     by_value
    .group_segment_fixed_size: 2048
    .kernarg_segment_align: 8
    .kernarg_segment_size: 144
    .language:       OpenCL C
    .language_version:
      - 2
      - 0
    .max_flat_workgroup_size: 128
    .name:           _ZL13mul_mat_vec_qIL9ggml_type14ELi4ELb0ELb0EEvPKvS2_PKi31ggml_cuda_mm_fusion_args_devicePfj15HIP_vector_typeIjLj3EEjjjS8_jjjS8_jjjj
    .private_segment_fixed_size: 48
    .sgpr_count:     32
    .sgpr_spill_count: 0
    .symbol:         _ZL13mul_mat_vec_qIL9ggml_type14ELi4ELb0ELb0EEvPKvS2_PKi31ggml_cuda_mm_fusion_args_devicePfj15HIP_vector_typeIjLj3EEjjjS8_jjjS8_jjjj.kd
    .uniform_work_group_size: 1
    .uses_dynamic_stack: false
    .vgpr_count:     63
    .vgpr_spill_count: 0
    .wavefront_size: 64
  - .agpr_count:     0
    .args:
      - .address_space:  global
        .offset:         0
        .size:           8
        .value_kind:     global_buffer
      - .address_space:  global
        .offset:         8
        .size:           8
        .value_kind:     global_buffer
      - .address_space:  global
        .offset:         16
        .size:           8
        .value_kind:     global_buffer
      - .offset:         24
        .size:           32
        .value_kind:     by_value
      - .address_space:  global
        .offset:         56
        .size:           8
        .value_kind:     global_buffer
      - .offset:         64
        .size:           4
        .value_kind:     by_value
      - .offset:         68
        .size:           12
        .value_kind:     by_value
      - .offset:         80
        .size:           4
        .value_kind:     by_value
      - .offset:         84
        .size:           4
        .value_kind:     by_value
      - .offset:         88
        .size:           4
        .value_kind:     by_value
      - .offset:         92
        .size:           12
        .value_kind:     by_value
      - .offset:         104
        .size:           4
        .value_kind:     by_value
      - .offset:         108
        .size:           4
        .value_kind:     by_value
      - .offset:         112
        .size:           4
        .value_kind:     by_value
      - .offset:         116
        .size:           12
        .value_kind:     by_value
      - .offset:         128
        .size:           4
        .value_kind:     by_value
      - .offset:         132
        .size:           4
        .value_kind:     by_value
      - .offset:         136
        .size:           4
        .value_kind:     by_value
      - .offset:         140
        .size:           4
        .value_kind:     by_value
    .group_segment_fixed_size: 0
    .kernarg_segment_align: 8
    .kernarg_segment_size: 144
    .language:       OpenCL C
    .language_version:
      - 2
      - 0
    .max_flat_workgroup_size: 64
    .name:           _ZL13mul_mat_vec_qIL9ggml_type14ELi5ELb0ELb0EEvPKvS2_PKi31ggml_cuda_mm_fusion_args_devicePfj15HIP_vector_typeIjLj3EEjjjS8_jjjS8_jjjj
    .private_segment_fixed_size: 48
    .sgpr_count:     34
    .sgpr_spill_count: 0
    .symbol:         _ZL13mul_mat_vec_qIL9ggml_type14ELi5ELb0ELb0EEvPKvS2_PKi31ggml_cuda_mm_fusion_args_devicePfj15HIP_vector_typeIjLj3EEjjjS8_jjjS8_jjjj.kd
    .uniform_work_group_size: 1
    .uses_dynamic_stack: false
    .vgpr_count:     60
    .vgpr_spill_count: 0
    .wavefront_size: 64
  - .agpr_count:     0
    .args:
      - .address_space:  global
        .offset:         0
        .size:           8
        .value_kind:     global_buffer
      - .address_space:  global
        .offset:         8
        .size:           8
        .value_kind:     global_buffer
      - .address_space:  global
        .offset:         16
        .size:           8
        .value_kind:     global_buffer
      - .offset:         24
        .size:           32
        .value_kind:     by_value
      - .address_space:  global
        .offset:         56
        .size:           8
        .value_kind:     global_buffer
      - .offset:         64
        .size:           4
        .value_kind:     by_value
      - .offset:         68
        .size:           12
        .value_kind:     by_value
      - .offset:         80
        .size:           4
        .value_kind:     by_value
      - .offset:         84
        .size:           4
        .value_kind:     by_value
      - .offset:         88
        .size:           4
        .value_kind:     by_value
      - .offset:         92
        .size:           12
        .value_kind:     by_value
      - .offset:         104
        .size:           4
        .value_kind:     by_value
      - .offset:         108
        .size:           4
        .value_kind:     by_value
      - .offset:         112
        .size:           4
        .value_kind:     by_value
      - .offset:         116
        .size:           12
        .value_kind:     by_value
      - .offset:         128
        .size:           4
        .value_kind:     by_value
      - .offset:         132
        .size:           4
        .value_kind:     by_value
      - .offset:         136
        .size:           4
        .value_kind:     by_value
      - .offset:         140
        .size:           4
        .value_kind:     by_value
    .group_segment_fixed_size: 0
    .kernarg_segment_align: 8
    .kernarg_segment_size: 144
    .language:       OpenCL C
    .language_version:
      - 2
      - 0
    .max_flat_workgroup_size: 64
    .name:           _ZL13mul_mat_vec_qIL9ggml_type14ELi6ELb0ELb0EEvPKvS2_PKi31ggml_cuda_mm_fusion_args_devicePfj15HIP_vector_typeIjLj3EEjjjS8_jjjS8_jjjj
    .private_segment_fixed_size: 64
    .sgpr_count:     34
    .sgpr_spill_count: 0
    .symbol:         _ZL13mul_mat_vec_qIL9ggml_type14ELi6ELb0ELb0EEvPKvS2_PKi31ggml_cuda_mm_fusion_args_devicePfj15HIP_vector_typeIjLj3EEjjjS8_jjjS8_jjjj.kd
    .uniform_work_group_size: 1
    .uses_dynamic_stack: false
    .vgpr_count:     62
    .vgpr_spill_count: 0
    .wavefront_size: 64
  - .agpr_count:     0
    .args:
      - .address_space:  global
        .offset:         0
        .size:           8
        .value_kind:     global_buffer
      - .address_space:  global
        .offset:         8
        .size:           8
        .value_kind:     global_buffer
      - .address_space:  global
        .offset:         16
        .size:           8
        .value_kind:     global_buffer
      - .offset:         24
        .size:           32
        .value_kind:     by_value
      - .address_space:  global
        .offset:         56
        .size:           8
        .value_kind:     global_buffer
      - .offset:         64
        .size:           4
        .value_kind:     by_value
      - .offset:         68
        .size:           12
        .value_kind:     by_value
      - .offset:         80
        .size:           4
        .value_kind:     by_value
      - .offset:         84
        .size:           4
        .value_kind:     by_value
      - .offset:         88
        .size:           4
        .value_kind:     by_value
      - .offset:         92
        .size:           12
        .value_kind:     by_value
      - .offset:         104
        .size:           4
        .value_kind:     by_value
      - .offset:         108
        .size:           4
        .value_kind:     by_value
      - .offset:         112
        .size:           4
        .value_kind:     by_value
      - .offset:         116
        .size:           12
        .value_kind:     by_value
      - .offset:         128
        .size:           4
        .value_kind:     by_value
      - .offset:         132
        .size:           4
        .value_kind:     by_value
      - .offset:         136
        .size:           4
        .value_kind:     by_value
      - .offset:         140
        .size:           4
        .value_kind:     by_value
    .group_segment_fixed_size: 0
    .kernarg_segment_align: 8
    .kernarg_segment_size: 144
    .language:       OpenCL C
    .language_version:
      - 2
      - 0
    .max_flat_workgroup_size: 64
    .name:           _ZL13mul_mat_vec_qIL9ggml_type14ELi7ELb0ELb0EEvPKvS2_PKi31ggml_cuda_mm_fusion_args_devicePfj15HIP_vector_typeIjLj3EEjjjS8_jjjS8_jjjj
    .private_segment_fixed_size: 64
    .sgpr_count:     36
    .sgpr_spill_count: 0
    .symbol:         _ZL13mul_mat_vec_qIL9ggml_type14ELi7ELb0ELb0EEvPKvS2_PKi31ggml_cuda_mm_fusion_args_devicePfj15HIP_vector_typeIjLj3EEjjjS8_jjjS8_jjjj.kd
    .uniform_work_group_size: 1
    .uses_dynamic_stack: false
    .vgpr_count:     64
    .vgpr_spill_count: 0
    .wavefront_size: 64
  - .agpr_count:     0
    .args:
      - .address_space:  global
        .offset:         0
        .size:           8
        .value_kind:     global_buffer
      - .address_space:  global
        .offset:         8
        .size:           8
        .value_kind:     global_buffer
      - .address_space:  global
        .offset:         16
        .size:           8
        .value_kind:     global_buffer
      - .offset:         24
        .size:           32
        .value_kind:     by_value
      - .address_space:  global
        .offset:         56
        .size:           8
        .value_kind:     global_buffer
      - .offset:         64
        .size:           4
        .value_kind:     by_value
      - .offset:         68
        .size:           12
        .value_kind:     by_value
      - .offset:         80
        .size:           4
        .value_kind:     by_value
      - .offset:         84
        .size:           4
        .value_kind:     by_value
      - .offset:         88
        .size:           4
        .value_kind:     by_value
      - .offset:         92
        .size:           12
        .value_kind:     by_value
      - .offset:         104
        .size:           4
        .value_kind:     by_value
      - .offset:         108
        .size:           4
        .value_kind:     by_value
      - .offset:         112
        .size:           4
        .value_kind:     by_value
      - .offset:         116
        .size:           12
        .value_kind:     by_value
      - .offset:         128
        .size:           4
        .value_kind:     by_value
      - .offset:         132
        .size:           4
        .value_kind:     by_value
      - .offset:         136
        .size:           4
        .value_kind:     by_value
      - .offset:         140
        .size:           4
        .value_kind:     by_value
    .group_segment_fixed_size: 0
    .kernarg_segment_align: 8
    .kernarg_segment_size: 144
    .language:       OpenCL C
    .language_version:
      - 2
      - 0
    .max_flat_workgroup_size: 64
    .name:           _ZL13mul_mat_vec_qIL9ggml_type14ELi8ELb0ELb0EEvPKvS2_PKi31ggml_cuda_mm_fusion_args_devicePfj15HIP_vector_typeIjLj3EEjjjS8_jjjS8_jjjj
    .private_segment_fixed_size: 80
    .sgpr_count:     36
    .sgpr_spill_count: 0
    .symbol:         _ZL13mul_mat_vec_qIL9ggml_type14ELi8ELb0ELb0EEvPKvS2_PKi31ggml_cuda_mm_fusion_args_devicePfj15HIP_vector_typeIjLj3EEjjjS8_jjjS8_jjjj.kd
    .uniform_work_group_size: 1
    .uses_dynamic_stack: false
    .vgpr_count:     66
    .vgpr_spill_count: 0
    .wavefront_size: 64
  - .agpr_count:     0
    .args:
      - .address_space:  global
        .offset:         0
        .size:           8
        .value_kind:     global_buffer
      - .address_space:  global
        .offset:         8
        .size:           8
        .value_kind:     global_buffer
      - .address_space:  global
        .offset:         16
        .size:           8
        .value_kind:     global_buffer
      - .address_space:  global
        .offset:         24
        .size:           8
        .value_kind:     global_buffer
      - .offset:         32
        .size:           4
        .value_kind:     by_value
      - .offset:         36
        .size:           12
        .value_kind:     by_value
      - .offset:         48
        .size:           4
        .value_kind:     by_value
      - .offset:         52
        .size:           4
        .value_kind:     by_value
      - .offset:         56
        .size:           4
        .value_kind:     by_value
      - .offset:         60
        .size:           4
        .value_kind:     by_value
      - .offset:         64
        .size:           4
        .value_kind:     by_value
      - .offset:         68
        .size:           4
        .value_kind:     by_value
      - .offset:         72
        .size:           4
        .value_kind:     by_value
      - .offset:         76
        .size:           4
        .value_kind:     by_value
      - .offset:         80
        .size:           4
        .value_kind:     by_value
    .group_segment_fixed_size: 0
    .kernarg_segment_align: 8
    .kernarg_segment_size: 84
    .language:       OpenCL C
    .language_version:
      - 2
      - 0
    .max_flat_workgroup_size: 320
    .name:           _ZL17mul_mat_vec_q_moeIL9ggml_type16ELi2EEvPKvS2_PKiPfj15HIP_vector_typeIjLj3EEjjjjjjjjj
    .private_segment_fixed_size: 0
    .sgpr_count:     35
    .sgpr_spill_count: 0
    .symbol:         _ZL17mul_mat_vec_q_moeIL9ggml_type16ELi2EEvPKvS2_PKiPfj15HIP_vector_typeIjLj3EEjjjjjjjjj.kd
    .uniform_work_group_size: 1
    .uses_dynamic_stack: false
    .vgpr_count:     125
    .vgpr_spill_count: 0
    .wavefront_size: 64
  - .agpr_count:     0
    .args:
      - .address_space:  global
        .offset:         0
        .size:           8
        .value_kind:     global_buffer
      - .address_space:  global
        .offset:         8
        .size:           8
        .value_kind:     global_buffer
      - .address_space:  global
        .offset:         16
        .size:           8
        .value_kind:     global_buffer
      - .offset:         24
        .size:           32
        .value_kind:     by_value
      - .address_space:  global
        .offset:         56
        .size:           8
        .value_kind:     global_buffer
      - .offset:         64
        .size:           4
        .value_kind:     by_value
      - .offset:         68
        .size:           12
        .value_kind:     by_value
      - .offset:         80
        .size:           4
        .value_kind:     by_value
      - .offset:         84
        .size:           4
        .value_kind:     by_value
      - .offset:         88
        .size:           4
        .value_kind:     by_value
      - .offset:         92
        .size:           12
        .value_kind:     by_value
      - .offset:         104
        .size:           4
        .value_kind:     by_value
      - .offset:         108
        .size:           4
        .value_kind:     by_value
      - .offset:         112
        .size:           4
        .value_kind:     by_value
      - .offset:         116
        .size:           12
        .value_kind:     by_value
      - .offset:         128
        .size:           4
        .value_kind:     by_value
      - .offset:         132
        .size:           4
        .value_kind:     by_value
      - .offset:         136
        .size:           4
        .value_kind:     by_value
      - .offset:         140
        .size:           4
        .value_kind:     by_value
    .group_segment_fixed_size: 3072
    .kernarg_segment_align: 8
    .kernarg_segment_size: 144
    .language:       OpenCL C
    .language_version:
      - 2
      - 0
    .max_flat_workgroup_size: 128
    .name:           _ZL13mul_mat_vec_qIL9ggml_type16ELi1ELb1ELb1EEvPKvS2_PKi31ggml_cuda_mm_fusion_args_devicePfj15HIP_vector_typeIjLj3EEjjjS8_jjjS8_jjjj
    .private_segment_fixed_size: 0
    .sgpr_count:     52
    .sgpr_spill_count: 0
    .symbol:         _ZL13mul_mat_vec_qIL9ggml_type16ELi1ELb1ELb1EEvPKvS2_PKi31ggml_cuda_mm_fusion_args_devicePfj15HIP_vector_typeIjLj3EEjjjS8_jjjS8_jjjj.kd
    .uniform_work_group_size: 1
    .uses_dynamic_stack: false
    .vgpr_count:     63
    .vgpr_spill_count: 0
    .wavefront_size: 64
  - .agpr_count:     0
    .args:
      - .address_space:  global
        .offset:         0
        .size:           8
        .value_kind:     global_buffer
      - .address_space:  global
        .offset:         8
        .size:           8
        .value_kind:     global_buffer
      - .address_space:  global
        .offset:         16
        .size:           8
        .value_kind:     global_buffer
      - .offset:         24
        .size:           32
        .value_kind:     by_value
      - .address_space:  global
        .offset:         56
        .size:           8
        .value_kind:     global_buffer
      - .offset:         64
        .size:           4
        .value_kind:     by_value
      - .offset:         68
        .size:           12
        .value_kind:     by_value
      - .offset:         80
        .size:           4
        .value_kind:     by_value
      - .offset:         84
        .size:           4
        .value_kind:     by_value
      - .offset:         88
        .size:           4
        .value_kind:     by_value
      - .offset:         92
        .size:           12
        .value_kind:     by_value
      - .offset:         104
        .size:           4
        .value_kind:     by_value
      - .offset:         108
        .size:           4
        .value_kind:     by_value
      - .offset:         112
        .size:           4
        .value_kind:     by_value
      - .offset:         116
        .size:           12
        .value_kind:     by_value
      - .offset:         128
        .size:           4
        .value_kind:     by_value
      - .offset:         132
        .size:           4
        .value_kind:     by_value
      - .offset:         136
        .size:           4
        .value_kind:     by_value
      - .offset:         140
        .size:           4
        .value_kind:     by_value
    .group_segment_fixed_size: 1536
    .kernarg_segment_align: 8
    .kernarg_segment_size: 144
    .language:       OpenCL C
    .language_version:
      - 2
      - 0
    .max_flat_workgroup_size: 128
    .name:           _ZL13mul_mat_vec_qIL9ggml_type16ELi1ELb0ELb1EEvPKvS2_PKi31ggml_cuda_mm_fusion_args_devicePfj15HIP_vector_typeIjLj3EEjjjS8_jjjS8_jjjj
    .private_segment_fixed_size: 0
    .sgpr_count:     34
    .sgpr_spill_count: 0
    .symbol:         _ZL13mul_mat_vec_qIL9ggml_type16ELi1ELb0ELb1EEvPKvS2_PKi31ggml_cuda_mm_fusion_args_devicePfj15HIP_vector_typeIjLj3EEjjjS8_jjjS8_jjjj.kd
    .uniform_work_group_size: 1
    .uses_dynamic_stack: false
    .vgpr_count:     50
    .vgpr_spill_count: 0
    .wavefront_size: 64
  - .agpr_count:     0
    .args:
      - .address_space:  global
        .offset:         0
        .size:           8
        .value_kind:     global_buffer
      - .address_space:  global
        .offset:         8
        .size:           8
        .value_kind:     global_buffer
      - .address_space:  global
        .offset:         16
        .size:           8
        .value_kind:     global_buffer
      - .offset:         24
        .size:           32
        .value_kind:     by_value
      - .address_space:  global
        .offset:         56
        .size:           8
        .value_kind:     global_buffer
      - .offset:         64
        .size:           4
        .value_kind:     by_value
      - .offset:         68
        .size:           12
        .value_kind:     by_value
      - .offset:         80
        .size:           4
        .value_kind:     by_value
      - .offset:         84
        .size:           4
        .value_kind:     by_value
      - .offset:         88
        .size:           4
        .value_kind:     by_value
      - .offset:         92
        .size:           12
        .value_kind:     by_value
      - .offset:         104
        .size:           4
        .value_kind:     by_value
      - .offset:         108
        .size:           4
        .value_kind:     by_value
      - .offset:         112
        .size:           4
        .value_kind:     by_value
      - .offset:         116
        .size:           12
        .value_kind:     by_value
      - .offset:         128
        .size:           4
        .value_kind:     by_value
      - .offset:         132
        .size:           4
        .value_kind:     by_value
      - .offset:         136
        .size:           4
        .value_kind:     by_value
      - .offset:         140
        .size:           4
        .value_kind:     by_value
    .group_segment_fixed_size: 512
    .kernarg_segment_align: 8
    .kernarg_segment_size: 144
    .language:       OpenCL C
    .language_version:
      - 2
      - 0
    .max_flat_workgroup_size: 128
    .name:           _ZL13mul_mat_vec_qIL9ggml_type16ELi1ELb1ELb0EEvPKvS2_PKi31ggml_cuda_mm_fusion_args_devicePfj15HIP_vector_typeIjLj3EEjjjS8_jjjS8_jjjj
    .private_segment_fixed_size: 0
    .sgpr_count:     50
    .sgpr_spill_count: 0
    .symbol:         _ZL13mul_mat_vec_qIL9ggml_type16ELi1ELb1ELb0EEvPKvS2_PKi31ggml_cuda_mm_fusion_args_devicePfj15HIP_vector_typeIjLj3EEjjjS8_jjjS8_jjjj.kd
    .uniform_work_group_size: 1
    .uses_dynamic_stack: false
    .vgpr_count:     50
    .vgpr_spill_count: 0
    .wavefront_size: 64
  - .agpr_count:     0
    .args:
      - .address_space:  global
        .offset:         0
        .size:           8
        .value_kind:     global_buffer
      - .address_space:  global
        .offset:         8
        .size:           8
        .value_kind:     global_buffer
      - .address_space:  global
        .offset:         16
        .size:           8
        .value_kind:     global_buffer
      - .offset:         24
        .size:           32
        .value_kind:     by_value
      - .address_space:  global
        .offset:         56
        .size:           8
        .value_kind:     global_buffer
      - .offset:         64
        .size:           4
        .value_kind:     by_value
      - .offset:         68
        .size:           12
        .value_kind:     by_value
      - .offset:         80
        .size:           4
        .value_kind:     by_value
      - .offset:         84
        .size:           4
        .value_kind:     by_value
      - .offset:         88
        .size:           4
        .value_kind:     by_value
      - .offset:         92
        .size:           12
        .value_kind:     by_value
      - .offset:         104
        .size:           4
        .value_kind:     by_value
      - .offset:         108
        .size:           4
        .value_kind:     by_value
      - .offset:         112
        .size:           4
        .value_kind:     by_value
      - .offset:         116
        .size:           12
        .value_kind:     by_value
      - .offset:         128
        .size:           4
        .value_kind:     by_value
      - .offset:         132
        .size:           4
        .value_kind:     by_value
      - .offset:         136
        .size:           4
        .value_kind:     by_value
      - .offset:         140
        .size:           4
        .value_kind:     by_value
    .group_segment_fixed_size: 256
    .kernarg_segment_align: 8
    .kernarg_segment_size: 144
    .language:       OpenCL C
    .language_version:
      - 2
      - 0
    .max_flat_workgroup_size: 128
    .name:           _ZL13mul_mat_vec_qIL9ggml_type16ELi1ELb0ELb0EEvPKvS2_PKi31ggml_cuda_mm_fusion_args_devicePfj15HIP_vector_typeIjLj3EEjjjS8_jjjS8_jjjj
    .private_segment_fixed_size: 0
    .sgpr_count:     34
    .sgpr_spill_count: 0
    .symbol:         _ZL13mul_mat_vec_qIL9ggml_type16ELi1ELb0ELb0EEvPKvS2_PKi31ggml_cuda_mm_fusion_args_devicePfj15HIP_vector_typeIjLj3EEjjjS8_jjjS8_jjjj.kd
    .uniform_work_group_size: 1
    .uses_dynamic_stack: false
    .vgpr_count:     63
    .vgpr_spill_count: 0
    .wavefront_size: 64
  - .agpr_count:     0
    .args:
      - .address_space:  global
        .offset:         0
        .size:           8
        .value_kind:     global_buffer
      - .address_space:  global
        .offset:         8
        .size:           8
        .value_kind:     global_buffer
      - .address_space:  global
        .offset:         16
        .size:           8
        .value_kind:     global_buffer
      - .offset:         24
        .size:           32
        .value_kind:     by_value
      - .address_space:  global
        .offset:         56
        .size:           8
        .value_kind:     global_buffer
      - .offset:         64
        .size:           4
        .value_kind:     by_value
      - .offset:         68
        .size:           12
        .value_kind:     by_value
      - .offset:         80
        .size:           4
        .value_kind:     by_value
      - .offset:         84
        .size:           4
        .value_kind:     by_value
      - .offset:         88
        .size:           4
        .value_kind:     by_value
      - .offset:         92
        .size:           12
        .value_kind:     by_value
      - .offset:         104
        .size:           4
        .value_kind:     by_value
      - .offset:         108
        .size:           4
        .value_kind:     by_value
      - .offset:         112
        .size:           4
        .value_kind:     by_value
      - .offset:         116
        .size:           12
        .value_kind:     by_value
      - .offset:         128
        .size:           4
        .value_kind:     by_value
      - .offset:         132
        .size:           4
        .value_kind:     by_value
      - .offset:         136
        .size:           4
        .value_kind:     by_value
      - .offset:         140
        .size:           4
        .value_kind:     by_value
    .group_segment_fixed_size: 3072
    .kernarg_segment_align: 8
    .kernarg_segment_size: 144
    .language:       OpenCL C
    .language_version:
      - 2
      - 0
    .max_flat_workgroup_size: 128
    .name:           _ZL13mul_mat_vec_qIL9ggml_type16ELi2ELb0ELb0EEvPKvS2_PKi31ggml_cuda_mm_fusion_args_devicePfj15HIP_vector_typeIjLj3EEjjjS8_jjjS8_jjjj
    .private_segment_fixed_size: 0
    .sgpr_count:     36
    .sgpr_spill_count: 0
    .symbol:         _ZL13mul_mat_vec_qIL9ggml_type16ELi2ELb0ELb0EEvPKvS2_PKi31ggml_cuda_mm_fusion_args_devicePfj15HIP_vector_typeIjLj3EEjjjS8_jjjS8_jjjj.kd
    .uniform_work_group_size: 1
    .uses_dynamic_stack: false
    .vgpr_count:     58
    .vgpr_spill_count: 0
    .wavefront_size: 64
  - .agpr_count:     0
    .args:
      - .address_space:  global
        .offset:         0
        .size:           8
        .value_kind:     global_buffer
      - .address_space:  global
        .offset:         8
        .size:           8
        .value_kind:     global_buffer
      - .address_space:  global
        .offset:         16
        .size:           8
        .value_kind:     global_buffer
      - .offset:         24
        .size:           32
        .value_kind:     by_value
      - .address_space:  global
        .offset:         56
        .size:           8
        .value_kind:     global_buffer
      - .offset:         64
        .size:           4
        .value_kind:     by_value
      - .offset:         68
        .size:           12
        .value_kind:     by_value
      - .offset:         80
        .size:           4
        .value_kind:     by_value
      - .offset:         84
        .size:           4
        .value_kind:     by_value
      - .offset:         88
        .size:           4
        .value_kind:     by_value
      - .offset:         92
        .size:           12
        .value_kind:     by_value
      - .offset:         104
        .size:           4
        .value_kind:     by_value
      - .offset:         108
        .size:           4
        .value_kind:     by_value
      - .offset:         112
        .size:           4
        .value_kind:     by_value
      - .offset:         116
        .size:           12
        .value_kind:     by_value
      - .offset:         128
        .size:           4
        .value_kind:     by_value
      - .offset:         132
        .size:           4
        .value_kind:     by_value
      - .offset:         136
        .size:           4
        .value_kind:     by_value
      - .offset:         140
        .size:           4
        .value_kind:     by_value
    .group_segment_fixed_size: 1536
    .kernarg_segment_align: 8
    .kernarg_segment_size: 144
    .language:       OpenCL C
    .language_version:
      - 2
      - 0
    .max_flat_workgroup_size: 128
    .name:           _ZL13mul_mat_vec_qIL9ggml_type16ELi3ELb0ELb0EEvPKvS2_PKi31ggml_cuda_mm_fusion_args_devicePfj15HIP_vector_typeIjLj3EEjjjS8_jjjS8_jjjj
    .private_segment_fixed_size: 32
    .sgpr_count:     36
    .sgpr_spill_count: 0
    .symbol:         _ZL13mul_mat_vec_qIL9ggml_type16ELi3ELb0ELb0EEvPKvS2_PKi31ggml_cuda_mm_fusion_args_devicePfj15HIP_vector_typeIjLj3EEjjjS8_jjjS8_jjjj.kd
    .uniform_work_group_size: 1
    .uses_dynamic_stack: false
    .vgpr_count:     60
    .vgpr_spill_count: 0
    .wavefront_size: 64
  - .agpr_count:     0
    .args:
      - .address_space:  global
        .offset:         0
        .size:           8
        .value_kind:     global_buffer
      - .address_space:  global
        .offset:         8
        .size:           8
        .value_kind:     global_buffer
      - .address_space:  global
        .offset:         16
        .size:           8
        .value_kind:     global_buffer
      - .offset:         24
        .size:           32
        .value_kind:     by_value
      - .address_space:  global
        .offset:         56
        .size:           8
        .value_kind:     global_buffer
      - .offset:         64
        .size:           4
        .value_kind:     by_value
      - .offset:         68
        .size:           12
        .value_kind:     by_value
      - .offset:         80
        .size:           4
        .value_kind:     by_value
      - .offset:         84
        .size:           4
        .value_kind:     by_value
      - .offset:         88
        .size:           4
        .value_kind:     by_value
      - .offset:         92
        .size:           12
        .value_kind:     by_value
      - .offset:         104
        .size:           4
        .value_kind:     by_value
      - .offset:         108
        .size:           4
        .value_kind:     by_value
      - .offset:         112
        .size:           4
        .value_kind:     by_value
      - .offset:         116
        .size:           12
        .value_kind:     by_value
      - .offset:         128
        .size:           4
        .value_kind:     by_value
      - .offset:         132
        .size:           4
        .value_kind:     by_value
      - .offset:         136
        .size:           4
        .value_kind:     by_value
      - .offset:         140
        .size:           4
        .value_kind:     by_value
    .group_segment_fixed_size: 2048
    .kernarg_segment_align: 8
    .kernarg_segment_size: 144
    .language:       OpenCL C
    .language_version:
      - 2
      - 0
    .max_flat_workgroup_size: 128
    .name:           _ZL13mul_mat_vec_qIL9ggml_type16ELi4ELb0ELb0EEvPKvS2_PKi31ggml_cuda_mm_fusion_args_devicePfj15HIP_vector_typeIjLj3EEjjjS8_jjjS8_jjjj
    .private_segment_fixed_size: 48
    .sgpr_count:     36
    .sgpr_spill_count: 0
    .symbol:         _ZL13mul_mat_vec_qIL9ggml_type16ELi4ELb0ELb0EEvPKvS2_PKi31ggml_cuda_mm_fusion_args_devicePfj15HIP_vector_typeIjLj3EEjjjS8_jjjS8_jjjj.kd
    .uniform_work_group_size: 1
    .uses_dynamic_stack: false
    .vgpr_count:     63
    .vgpr_spill_count: 0
    .wavefront_size: 64
  - .agpr_count:     0
    .args:
      - .address_space:  global
        .offset:         0
        .size:           8
        .value_kind:     global_buffer
      - .address_space:  global
        .offset:         8
        .size:           8
        .value_kind:     global_buffer
      - .address_space:  global
        .offset:         16
        .size:           8
        .value_kind:     global_buffer
      - .offset:         24
        .size:           32
        .value_kind:     by_value
      - .address_space:  global
        .offset:         56
        .size:           8
        .value_kind:     global_buffer
      - .offset:         64
        .size:           4
        .value_kind:     by_value
      - .offset:         68
        .size:           12
        .value_kind:     by_value
      - .offset:         80
        .size:           4
        .value_kind:     by_value
      - .offset:         84
        .size:           4
        .value_kind:     by_value
      - .offset:         88
        .size:           4
        .value_kind:     by_value
      - .offset:         92
        .size:           12
        .value_kind:     by_value
      - .offset:         104
        .size:           4
        .value_kind:     by_value
      - .offset:         108
        .size:           4
        .value_kind:     by_value
      - .offset:         112
        .size:           4
        .value_kind:     by_value
      - .offset:         116
        .size:           12
        .value_kind:     by_value
      - .offset:         128
        .size:           4
        .value_kind:     by_value
      - .offset:         132
        .size:           4
        .value_kind:     by_value
      - .offset:         136
        .size:           4
        .value_kind:     by_value
      - .offset:         140
        .size:           4
        .value_kind:     by_value
    .group_segment_fixed_size: 0
    .kernarg_segment_align: 8
    .kernarg_segment_size: 144
    .language:       OpenCL C
    .language_version:
      - 2
      - 0
    .max_flat_workgroup_size: 64
    .name:           _ZL13mul_mat_vec_qIL9ggml_type16ELi5ELb0ELb0EEvPKvS2_PKi31ggml_cuda_mm_fusion_args_devicePfj15HIP_vector_typeIjLj3EEjjjS8_jjjS8_jjjj
    .private_segment_fixed_size: 48
    .sgpr_count:     36
    .sgpr_spill_count: 0
    .symbol:         _ZL13mul_mat_vec_qIL9ggml_type16ELi5ELb0ELb0EEvPKvS2_PKi31ggml_cuda_mm_fusion_args_devicePfj15HIP_vector_typeIjLj3EEjjjS8_jjjS8_jjjj.kd
    .uniform_work_group_size: 1
    .uses_dynamic_stack: false
    .vgpr_count:     63
    .vgpr_spill_count: 0
    .wavefront_size: 64
  - .agpr_count:     0
    .args:
      - .address_space:  global
        .offset:         0
        .size:           8
        .value_kind:     global_buffer
      - .address_space:  global
        .offset:         8
        .size:           8
        .value_kind:     global_buffer
      - .address_space:  global
        .offset:         16
        .size:           8
        .value_kind:     global_buffer
      - .offset:         24
        .size:           32
        .value_kind:     by_value
      - .address_space:  global
        .offset:         56
        .size:           8
        .value_kind:     global_buffer
      - .offset:         64
        .size:           4
        .value_kind:     by_value
      - .offset:         68
        .size:           12
        .value_kind:     by_value
      - .offset:         80
        .size:           4
        .value_kind:     by_value
      - .offset:         84
        .size:           4
        .value_kind:     by_value
      - .offset:         88
        .size:           4
        .value_kind:     by_value
      - .offset:         92
        .size:           12
        .value_kind:     by_value
      - .offset:         104
        .size:           4
        .value_kind:     by_value
      - .offset:         108
        .size:           4
        .value_kind:     by_value
      - .offset:         112
        .size:           4
        .value_kind:     by_value
      - .offset:         116
        .size:           12
        .value_kind:     by_value
      - .offset:         128
        .size:           4
        .value_kind:     by_value
      - .offset:         132
        .size:           4
        .value_kind:     by_value
      - .offset:         136
        .size:           4
        .value_kind:     by_value
      - .offset:         140
        .size:           4
        .value_kind:     by_value
    .group_segment_fixed_size: 0
    .kernarg_segment_align: 8
    .kernarg_segment_size: 144
    .language:       OpenCL C
    .language_version:
      - 2
      - 0
    .max_flat_workgroup_size: 64
    .name:           _ZL13mul_mat_vec_qIL9ggml_type16ELi6ELb0ELb0EEvPKvS2_PKi31ggml_cuda_mm_fusion_args_devicePfj15HIP_vector_typeIjLj3EEjjjS8_jjjS8_jjjj
    .private_segment_fixed_size: 64
    .sgpr_count:     38
    .sgpr_spill_count: 0
    .symbol:         _ZL13mul_mat_vec_qIL9ggml_type16ELi6ELb0ELb0EEvPKvS2_PKi31ggml_cuda_mm_fusion_args_devicePfj15HIP_vector_typeIjLj3EEjjjS8_jjjS8_jjjj.kd
    .uniform_work_group_size: 1
    .uses_dynamic_stack: false
    .vgpr_count:     65
    .vgpr_spill_count: 0
    .wavefront_size: 64
  - .agpr_count:     0
    .args:
      - .address_space:  global
        .offset:         0
        .size:           8
        .value_kind:     global_buffer
      - .address_space:  global
        .offset:         8
        .size:           8
        .value_kind:     global_buffer
      - .address_space:  global
        .offset:         16
        .size:           8
        .value_kind:     global_buffer
      - .offset:         24
        .size:           32
        .value_kind:     by_value
      - .address_space:  global
        .offset:         56
        .size:           8
        .value_kind:     global_buffer
      - .offset:         64
        .size:           4
        .value_kind:     by_value
      - .offset:         68
        .size:           12
        .value_kind:     by_value
      - .offset:         80
        .size:           4
        .value_kind:     by_value
      - .offset:         84
        .size:           4
        .value_kind:     by_value
      - .offset:         88
        .size:           4
        .value_kind:     by_value
      - .offset:         92
        .size:           12
        .value_kind:     by_value
      - .offset:         104
        .size:           4
        .value_kind:     by_value
      - .offset:         108
        .size:           4
        .value_kind:     by_value
      - .offset:         112
        .size:           4
        .value_kind:     by_value
      - .offset:         116
        .size:           12
        .value_kind:     by_value
      - .offset:         128
        .size:           4
        .value_kind:     by_value
      - .offset:         132
        .size:           4
        .value_kind:     by_value
      - .offset:         136
        .size:           4
        .value_kind:     by_value
      - .offset:         140
        .size:           4
        .value_kind:     by_value
    .group_segment_fixed_size: 0
    .kernarg_segment_align: 8
    .kernarg_segment_size: 144
    .language:       OpenCL C
    .language_version:
      - 2
      - 0
    .max_flat_workgroup_size: 64
    .name:           _ZL13mul_mat_vec_qIL9ggml_type16ELi7ELb0ELb0EEvPKvS2_PKi31ggml_cuda_mm_fusion_args_devicePfj15HIP_vector_typeIjLj3EEjjjS8_jjjS8_jjjj
    .private_segment_fixed_size: 64
    .sgpr_count:     42
    .sgpr_spill_count: 0
    .symbol:         _ZL13mul_mat_vec_qIL9ggml_type16ELi7ELb0ELb0EEvPKvS2_PKi31ggml_cuda_mm_fusion_args_devicePfj15HIP_vector_typeIjLj3EEjjjS8_jjjS8_jjjj.kd
    .uniform_work_group_size: 1
    .uses_dynamic_stack: false
    .vgpr_count:     83
    .vgpr_spill_count: 0
    .wavefront_size: 64
  - .agpr_count:     0
    .args:
      - .address_space:  global
        .offset:         0
        .size:           8
        .value_kind:     global_buffer
      - .address_space:  global
        .offset:         8
        .size:           8
        .value_kind:     global_buffer
      - .address_space:  global
        .offset:         16
        .size:           8
        .value_kind:     global_buffer
      - .offset:         24
        .size:           32
        .value_kind:     by_value
      - .address_space:  global
        .offset:         56
        .size:           8
        .value_kind:     global_buffer
      - .offset:         64
        .size:           4
        .value_kind:     by_value
      - .offset:         68
        .size:           12
        .value_kind:     by_value
      - .offset:         80
        .size:           4
        .value_kind:     by_value
      - .offset:         84
        .size:           4
        .value_kind:     by_value
      - .offset:         88
        .size:           4
        .value_kind:     by_value
      - .offset:         92
        .size:           12
        .value_kind:     by_value
      - .offset:         104
        .size:           4
        .value_kind:     by_value
      - .offset:         108
        .size:           4
        .value_kind:     by_value
      - .offset:         112
        .size:           4
        .value_kind:     by_value
      - .offset:         116
        .size:           12
        .value_kind:     by_value
      - .offset:         128
        .size:           4
        .value_kind:     by_value
      - .offset:         132
        .size:           4
        .value_kind:     by_value
      - .offset:         136
        .size:           4
        .value_kind:     by_value
      - .offset:         140
        .size:           4
        .value_kind:     by_value
    .group_segment_fixed_size: 0
    .kernarg_segment_align: 8
    .kernarg_segment_size: 144
    .language:       OpenCL C
    .language_version:
      - 2
      - 0
    .max_flat_workgroup_size: 64
    .name:           _ZL13mul_mat_vec_qIL9ggml_type16ELi8ELb0ELb0EEvPKvS2_PKi31ggml_cuda_mm_fusion_args_devicePfj15HIP_vector_typeIjLj3EEjjjS8_jjjS8_jjjj
    .private_segment_fixed_size: 80
    .sgpr_count:     42
    .sgpr_spill_count: 0
    .symbol:         _ZL13mul_mat_vec_qIL9ggml_type16ELi8ELb0ELb0EEvPKvS2_PKi31ggml_cuda_mm_fusion_args_devicePfj15HIP_vector_typeIjLj3EEjjjS8_jjjS8_jjjj.kd
    .uniform_work_group_size: 1
    .uses_dynamic_stack: false
    .vgpr_count:     82
    .vgpr_spill_count: 0
    .wavefront_size: 64
  - .agpr_count:     0
    .args:
      - .address_space:  global
        .offset:         0
        .size:           8
        .value_kind:     global_buffer
      - .address_space:  global
        .offset:         8
        .size:           8
        .value_kind:     global_buffer
      - .address_space:  global
        .offset:         16
        .size:           8
        .value_kind:     global_buffer
      - .address_space:  global
        .offset:         24
        .size:           8
        .value_kind:     global_buffer
      - .offset:         32
        .size:           4
        .value_kind:     by_value
      - .offset:         36
        .size:           12
        .value_kind:     by_value
      - .offset:         48
        .size:           4
        .value_kind:     by_value
      - .offset:         52
        .size:           4
        .value_kind:     by_value
      - .offset:         56
        .size:           4
        .value_kind:     by_value
      - .offset:         60
        .size:           4
        .value_kind:     by_value
      - .offset:         64
        .size:           4
        .value_kind:     by_value
      - .offset:         68
        .size:           4
        .value_kind:     by_value
      - .offset:         72
        .size:           4
        .value_kind:     by_value
      - .offset:         76
        .size:           4
        .value_kind:     by_value
      - .offset:         80
        .size:           4
        .value_kind:     by_value
    .group_segment_fixed_size: 0
    .kernarg_segment_align: 8
    .kernarg_segment_size: 84
    .language:       OpenCL C
    .language_version:
      - 2
      - 0
    .max_flat_workgroup_size: 320
    .name:           _ZL17mul_mat_vec_q_moeIL9ggml_type17ELi2EEvPKvS2_PKiPfj15HIP_vector_typeIjLj3EEjjjjjjjjj
    .private_segment_fixed_size: 0
    .sgpr_count:     35
    .sgpr_spill_count: 0
    .symbol:         _ZL17mul_mat_vec_q_moeIL9ggml_type17ELi2EEvPKvS2_PKiPfj15HIP_vector_typeIjLj3EEjjjjjjjjj.kd
    .uniform_work_group_size: 1
    .uses_dynamic_stack: false
    .vgpr_count:     125
    .vgpr_spill_count: 0
    .wavefront_size: 64
  - .agpr_count:     0
    .args:
      - .address_space:  global
        .offset:         0
        .size:           8
        .value_kind:     global_buffer
      - .address_space:  global
        .offset:         8
        .size:           8
        .value_kind:     global_buffer
      - .address_space:  global
        .offset:         16
        .size:           8
        .value_kind:     global_buffer
      - .offset:         24
        .size:           32
        .value_kind:     by_value
      - .address_space:  global
        .offset:         56
        .size:           8
        .value_kind:     global_buffer
      - .offset:         64
        .size:           4
        .value_kind:     by_value
      - .offset:         68
        .size:           12
        .value_kind:     by_value
      - .offset:         80
        .size:           4
        .value_kind:     by_value
      - .offset:         84
        .size:           4
        .value_kind:     by_value
      - .offset:         88
        .size:           4
        .value_kind:     by_value
      - .offset:         92
        .size:           12
        .value_kind:     by_value
      - .offset:         104
        .size:           4
        .value_kind:     by_value
      - .offset:         108
        .size:           4
        .value_kind:     by_value
      - .offset:         112
        .size:           4
        .value_kind:     by_value
      - .offset:         116
        .size:           12
        .value_kind:     by_value
      - .offset:         128
        .size:           4
        .value_kind:     by_value
      - .offset:         132
        .size:           4
        .value_kind:     by_value
      - .offset:         136
        .size:           4
        .value_kind:     by_value
      - .offset:         140
        .size:           4
        .value_kind:     by_value
    .group_segment_fixed_size: 3072
    .kernarg_segment_align: 8
    .kernarg_segment_size: 144
    .language:       OpenCL C
    .language_version:
      - 2
      - 0
    .max_flat_workgroup_size: 128
    .name:           _ZL13mul_mat_vec_qIL9ggml_type17ELi1ELb1ELb1EEvPKvS2_PKi31ggml_cuda_mm_fusion_args_devicePfj15HIP_vector_typeIjLj3EEjjjS8_jjjS8_jjjj
    .private_segment_fixed_size: 0
    .sgpr_count:     52
    .sgpr_spill_count: 0
    .symbol:         _ZL13mul_mat_vec_qIL9ggml_type17ELi1ELb1ELb1EEvPKvS2_PKi31ggml_cuda_mm_fusion_args_devicePfj15HIP_vector_typeIjLj3EEjjjS8_jjjS8_jjjj.kd
    .uniform_work_group_size: 1
    .uses_dynamic_stack: false
    .vgpr_count:     71
    .vgpr_spill_count: 0
    .wavefront_size: 64
  - .agpr_count:     0
    .args:
      - .address_space:  global
        .offset:         0
        .size:           8
        .value_kind:     global_buffer
      - .address_space:  global
        .offset:         8
        .size:           8
        .value_kind:     global_buffer
      - .address_space:  global
        .offset:         16
        .size:           8
        .value_kind:     global_buffer
      - .offset:         24
        .size:           32
        .value_kind:     by_value
      - .address_space:  global
        .offset:         56
        .size:           8
        .value_kind:     global_buffer
      - .offset:         64
        .size:           4
        .value_kind:     by_value
      - .offset:         68
        .size:           12
        .value_kind:     by_value
      - .offset:         80
        .size:           4
        .value_kind:     by_value
      - .offset:         84
        .size:           4
        .value_kind:     by_value
      - .offset:         88
        .size:           4
        .value_kind:     by_value
      - .offset:         92
        .size:           12
        .value_kind:     by_value
      - .offset:         104
        .size:           4
        .value_kind:     by_value
      - .offset:         108
        .size:           4
        .value_kind:     by_value
      - .offset:         112
        .size:           4
        .value_kind:     by_value
      - .offset:         116
        .size:           12
        .value_kind:     by_value
      - .offset:         128
        .size:           4
        .value_kind:     by_value
      - .offset:         132
        .size:           4
        .value_kind:     by_value
      - .offset:         136
        .size:           4
        .value_kind:     by_value
      - .offset:         140
        .size:           4
        .value_kind:     by_value
    .group_segment_fixed_size: 1536
    .kernarg_segment_align: 8
    .kernarg_segment_size: 144
    .language:       OpenCL C
    .language_version:
      - 2
      - 0
    .max_flat_workgroup_size: 128
    .name:           _ZL13mul_mat_vec_qIL9ggml_type17ELi1ELb0ELb1EEvPKvS2_PKi31ggml_cuda_mm_fusion_args_devicePfj15HIP_vector_typeIjLj3EEjjjS8_jjjS8_jjjj
    .private_segment_fixed_size: 0
    .sgpr_count:     34
    .sgpr_spill_count: 0
    .symbol:         _ZL13mul_mat_vec_qIL9ggml_type17ELi1ELb0ELb1EEvPKvS2_PKi31ggml_cuda_mm_fusion_args_devicePfj15HIP_vector_typeIjLj3EEjjjS8_jjjS8_jjjj.kd
    .uniform_work_group_size: 1
    .uses_dynamic_stack: false
    .vgpr_count:     48
    .vgpr_spill_count: 0
    .wavefront_size: 64
  - .agpr_count:     0
    .args:
      - .address_space:  global
        .offset:         0
        .size:           8
        .value_kind:     global_buffer
      - .address_space:  global
        .offset:         8
        .size:           8
        .value_kind:     global_buffer
      - .address_space:  global
        .offset:         16
        .size:           8
        .value_kind:     global_buffer
      - .offset:         24
        .size:           32
        .value_kind:     by_value
      - .address_space:  global
        .offset:         56
        .size:           8
        .value_kind:     global_buffer
      - .offset:         64
        .size:           4
        .value_kind:     by_value
      - .offset:         68
        .size:           12
        .value_kind:     by_value
      - .offset:         80
        .size:           4
        .value_kind:     by_value
      - .offset:         84
        .size:           4
        .value_kind:     by_value
      - .offset:         88
        .size:           4
        .value_kind:     by_value
      - .offset:         92
        .size:           12
        .value_kind:     by_value
      - .offset:         104
        .size:           4
        .value_kind:     by_value
      - .offset:         108
        .size:           4
        .value_kind:     by_value
      - .offset:         112
        .size:           4
        .value_kind:     by_value
      - .offset:         116
        .size:           12
        .value_kind:     by_value
      - .offset:         128
        .size:           4
        .value_kind:     by_value
      - .offset:         132
        .size:           4
        .value_kind:     by_value
      - .offset:         136
        .size:           4
        .value_kind:     by_value
      - .offset:         140
        .size:           4
        .value_kind:     by_value
    .group_segment_fixed_size: 512
    .kernarg_segment_align: 8
    .kernarg_segment_size: 144
    .language:       OpenCL C
    .language_version:
      - 2
      - 0
    .max_flat_workgroup_size: 128
    .name:           _ZL13mul_mat_vec_qIL9ggml_type17ELi1ELb1ELb0EEvPKvS2_PKi31ggml_cuda_mm_fusion_args_devicePfj15HIP_vector_typeIjLj3EEjjjS8_jjjS8_jjjj
    .private_segment_fixed_size: 0
    .sgpr_count:     50
    .sgpr_spill_count: 0
    .symbol:         _ZL13mul_mat_vec_qIL9ggml_type17ELi1ELb1ELb0EEvPKvS2_PKi31ggml_cuda_mm_fusion_args_devicePfj15HIP_vector_typeIjLj3EEjjjS8_jjjS8_jjjj.kd
    .uniform_work_group_size: 1
    .uses_dynamic_stack: false
    .vgpr_count:     56
    .vgpr_spill_count: 0
    .wavefront_size: 64
  - .agpr_count:     0
    .args:
      - .address_space:  global
        .offset:         0
        .size:           8
        .value_kind:     global_buffer
      - .address_space:  global
        .offset:         8
        .size:           8
        .value_kind:     global_buffer
      - .address_space:  global
        .offset:         16
        .size:           8
        .value_kind:     global_buffer
      - .offset:         24
        .size:           32
        .value_kind:     by_value
      - .address_space:  global
        .offset:         56
        .size:           8
        .value_kind:     global_buffer
      - .offset:         64
        .size:           4
        .value_kind:     by_value
      - .offset:         68
        .size:           12
        .value_kind:     by_value
      - .offset:         80
        .size:           4
        .value_kind:     by_value
      - .offset:         84
        .size:           4
        .value_kind:     by_value
      - .offset:         88
        .size:           4
        .value_kind:     by_value
      - .offset:         92
        .size:           12
        .value_kind:     by_value
      - .offset:         104
        .size:           4
        .value_kind:     by_value
      - .offset:         108
        .size:           4
        .value_kind:     by_value
      - .offset:         112
        .size:           4
        .value_kind:     by_value
      - .offset:         116
        .size:           12
        .value_kind:     by_value
      - .offset:         128
        .size:           4
        .value_kind:     by_value
      - .offset:         132
        .size:           4
        .value_kind:     by_value
      - .offset:         136
        .size:           4
        .value_kind:     by_value
      - .offset:         140
        .size:           4
        .value_kind:     by_value
    .group_segment_fixed_size: 256
    .kernarg_segment_align: 8
    .kernarg_segment_size: 144
    .language:       OpenCL C
    .language_version:
      - 2
      - 0
    .max_flat_workgroup_size: 128
    .name:           _ZL13mul_mat_vec_qIL9ggml_type17ELi1ELb0ELb0EEvPKvS2_PKi31ggml_cuda_mm_fusion_args_devicePfj15HIP_vector_typeIjLj3EEjjjS8_jjjS8_jjjj
    .private_segment_fixed_size: 0
    .sgpr_count:     34
    .sgpr_spill_count: 0
    .symbol:         _ZL13mul_mat_vec_qIL9ggml_type17ELi1ELb0ELb0EEvPKvS2_PKi31ggml_cuda_mm_fusion_args_devicePfj15HIP_vector_typeIjLj3EEjjjS8_jjjS8_jjjj.kd
    .uniform_work_group_size: 1
    .uses_dynamic_stack: false
    .vgpr_count:     65
    .vgpr_spill_count: 0
    .wavefront_size: 64
  - .agpr_count:     0
    .args:
      - .address_space:  global
        .offset:         0
        .size:           8
        .value_kind:     global_buffer
      - .address_space:  global
        .offset:         8
        .size:           8
        .value_kind:     global_buffer
      - .address_space:  global
        .offset:         16
        .size:           8
        .value_kind:     global_buffer
      - .offset:         24
        .size:           32
        .value_kind:     by_value
      - .address_space:  global
        .offset:         56
        .size:           8
        .value_kind:     global_buffer
      - .offset:         64
        .size:           4
        .value_kind:     by_value
      - .offset:         68
        .size:           12
        .value_kind:     by_value
      - .offset:         80
        .size:           4
        .value_kind:     by_value
      - .offset:         84
        .size:           4
        .value_kind:     by_value
      - .offset:         88
        .size:           4
        .value_kind:     by_value
      - .offset:         92
        .size:           12
        .value_kind:     by_value
      - .offset:         104
        .size:           4
        .value_kind:     by_value
      - .offset:         108
        .size:           4
        .value_kind:     by_value
      - .offset:         112
        .size:           4
        .value_kind:     by_value
      - .offset:         116
        .size:           12
        .value_kind:     by_value
      - .offset:         128
        .size:           4
        .value_kind:     by_value
      - .offset:         132
        .size:           4
        .value_kind:     by_value
      - .offset:         136
        .size:           4
        .value_kind:     by_value
      - .offset:         140
        .size:           4
        .value_kind:     by_value
    .group_segment_fixed_size: 3072
    .kernarg_segment_align: 8
    .kernarg_segment_size: 144
    .language:       OpenCL C
    .language_version:
      - 2
      - 0
    .max_flat_workgroup_size: 128
    .name:           _ZL13mul_mat_vec_qIL9ggml_type17ELi2ELb0ELb0EEvPKvS2_PKi31ggml_cuda_mm_fusion_args_devicePfj15HIP_vector_typeIjLj3EEjjjS8_jjjS8_jjjj
    .private_segment_fixed_size: 0
    .sgpr_count:     36
    .sgpr_spill_count: 0
    .symbol:         _ZL13mul_mat_vec_qIL9ggml_type17ELi2ELb0ELb0EEvPKvS2_PKi31ggml_cuda_mm_fusion_args_devicePfj15HIP_vector_typeIjLj3EEjjjS8_jjjS8_jjjj.kd
    .uniform_work_group_size: 1
    .uses_dynamic_stack: false
    .vgpr_count:     58
    .vgpr_spill_count: 0
    .wavefront_size: 64
  - .agpr_count:     0
    .args:
      - .address_space:  global
        .offset:         0
        .size:           8
        .value_kind:     global_buffer
      - .address_space:  global
        .offset:         8
        .size:           8
        .value_kind:     global_buffer
      - .address_space:  global
        .offset:         16
        .size:           8
        .value_kind:     global_buffer
      - .offset:         24
        .size:           32
        .value_kind:     by_value
      - .address_space:  global
        .offset:         56
        .size:           8
        .value_kind:     global_buffer
      - .offset:         64
        .size:           4
        .value_kind:     by_value
      - .offset:         68
        .size:           12
        .value_kind:     by_value
      - .offset:         80
        .size:           4
        .value_kind:     by_value
      - .offset:         84
        .size:           4
        .value_kind:     by_value
      - .offset:         88
        .size:           4
        .value_kind:     by_value
      - .offset:         92
        .size:           12
        .value_kind:     by_value
      - .offset:         104
        .size:           4
        .value_kind:     by_value
      - .offset:         108
        .size:           4
        .value_kind:     by_value
      - .offset:         112
        .size:           4
        .value_kind:     by_value
      - .offset:         116
        .size:           12
        .value_kind:     by_value
      - .offset:         128
        .size:           4
        .value_kind:     by_value
      - .offset:         132
        .size:           4
        .value_kind:     by_value
      - .offset:         136
        .size:           4
        .value_kind:     by_value
      - .offset:         140
        .size:           4
        .value_kind:     by_value
    .group_segment_fixed_size: 1536
    .kernarg_segment_align: 8
    .kernarg_segment_size: 144
    .language:       OpenCL C
    .language_version:
      - 2
      - 0
    .max_flat_workgroup_size: 128
    .name:           _ZL13mul_mat_vec_qIL9ggml_type17ELi3ELb0ELb0EEvPKvS2_PKi31ggml_cuda_mm_fusion_args_devicePfj15HIP_vector_typeIjLj3EEjjjS8_jjjS8_jjjj
    .private_segment_fixed_size: 32
    .sgpr_count:     36
    .sgpr_spill_count: 0
    .symbol:         _ZL13mul_mat_vec_qIL9ggml_type17ELi3ELb0ELb0EEvPKvS2_PKi31ggml_cuda_mm_fusion_args_devicePfj15HIP_vector_typeIjLj3EEjjjS8_jjjS8_jjjj.kd
    .uniform_work_group_size: 1
    .uses_dynamic_stack: false
    .vgpr_count:     60
    .vgpr_spill_count: 0
    .wavefront_size: 64
  - .agpr_count:     0
    .args:
      - .address_space:  global
        .offset:         0
        .size:           8
        .value_kind:     global_buffer
      - .address_space:  global
        .offset:         8
        .size:           8
        .value_kind:     global_buffer
      - .address_space:  global
        .offset:         16
        .size:           8
        .value_kind:     global_buffer
      - .offset:         24
        .size:           32
        .value_kind:     by_value
      - .address_space:  global
        .offset:         56
        .size:           8
        .value_kind:     global_buffer
      - .offset:         64
        .size:           4
        .value_kind:     by_value
      - .offset:         68
        .size:           12
        .value_kind:     by_value
      - .offset:         80
        .size:           4
        .value_kind:     by_value
      - .offset:         84
        .size:           4
        .value_kind:     by_value
      - .offset:         88
        .size:           4
        .value_kind:     by_value
      - .offset:         92
        .size:           12
        .value_kind:     by_value
      - .offset:         104
        .size:           4
        .value_kind:     by_value
      - .offset:         108
        .size:           4
        .value_kind:     by_value
      - .offset:         112
        .size:           4
        .value_kind:     by_value
      - .offset:         116
        .size:           12
        .value_kind:     by_value
      - .offset:         128
        .size:           4
        .value_kind:     by_value
      - .offset:         132
        .size:           4
        .value_kind:     by_value
      - .offset:         136
        .size:           4
        .value_kind:     by_value
      - .offset:         140
        .size:           4
        .value_kind:     by_value
    .group_segment_fixed_size: 2048
    .kernarg_segment_align: 8
    .kernarg_segment_size: 144
    .language:       OpenCL C
    .language_version:
      - 2
      - 0
    .max_flat_workgroup_size: 128
    .name:           _ZL13mul_mat_vec_qIL9ggml_type17ELi4ELb0ELb0EEvPKvS2_PKi31ggml_cuda_mm_fusion_args_devicePfj15HIP_vector_typeIjLj3EEjjjS8_jjjS8_jjjj
    .private_segment_fixed_size: 48
    .sgpr_count:     36
    .sgpr_spill_count: 0
    .symbol:         _ZL13mul_mat_vec_qIL9ggml_type17ELi4ELb0ELb0EEvPKvS2_PKi31ggml_cuda_mm_fusion_args_devicePfj15HIP_vector_typeIjLj3EEjjjS8_jjjS8_jjjj.kd
    .uniform_work_group_size: 1
    .uses_dynamic_stack: false
    .vgpr_count:     63
    .vgpr_spill_count: 0
    .wavefront_size: 64
  - .agpr_count:     0
    .args:
      - .address_space:  global
        .offset:         0
        .size:           8
        .value_kind:     global_buffer
      - .address_space:  global
        .offset:         8
        .size:           8
        .value_kind:     global_buffer
      - .address_space:  global
        .offset:         16
        .size:           8
        .value_kind:     global_buffer
      - .offset:         24
        .size:           32
        .value_kind:     by_value
      - .address_space:  global
        .offset:         56
        .size:           8
        .value_kind:     global_buffer
      - .offset:         64
        .size:           4
        .value_kind:     by_value
      - .offset:         68
        .size:           12
        .value_kind:     by_value
      - .offset:         80
        .size:           4
        .value_kind:     by_value
      - .offset:         84
        .size:           4
        .value_kind:     by_value
      - .offset:         88
        .size:           4
        .value_kind:     by_value
      - .offset:         92
        .size:           12
        .value_kind:     by_value
      - .offset:         104
        .size:           4
        .value_kind:     by_value
      - .offset:         108
        .size:           4
        .value_kind:     by_value
      - .offset:         112
        .size:           4
        .value_kind:     by_value
      - .offset:         116
        .size:           12
        .value_kind:     by_value
      - .offset:         128
        .size:           4
        .value_kind:     by_value
      - .offset:         132
        .size:           4
        .value_kind:     by_value
      - .offset:         136
        .size:           4
        .value_kind:     by_value
      - .offset:         140
        .size:           4
        .value_kind:     by_value
    .group_segment_fixed_size: 0
    .kernarg_segment_align: 8
    .kernarg_segment_size: 144
    .language:       OpenCL C
    .language_version:
      - 2
      - 0
    .max_flat_workgroup_size: 64
    .name:           _ZL13mul_mat_vec_qIL9ggml_type17ELi5ELb0ELb0EEvPKvS2_PKi31ggml_cuda_mm_fusion_args_devicePfj15HIP_vector_typeIjLj3EEjjjS8_jjjS8_jjjj
    .private_segment_fixed_size: 48
    .sgpr_count:     36
    .sgpr_spill_count: 0
    .symbol:         _ZL13mul_mat_vec_qIL9ggml_type17ELi5ELb0ELb0EEvPKvS2_PKi31ggml_cuda_mm_fusion_args_devicePfj15HIP_vector_typeIjLj3EEjjjS8_jjjS8_jjjj.kd
    .uniform_work_group_size: 1
    .uses_dynamic_stack: false
    .vgpr_count:     63
    .vgpr_spill_count: 0
    .wavefront_size: 64
  - .agpr_count:     0
    .args:
      - .address_space:  global
        .offset:         0
        .size:           8
        .value_kind:     global_buffer
      - .address_space:  global
        .offset:         8
        .size:           8
        .value_kind:     global_buffer
      - .address_space:  global
        .offset:         16
        .size:           8
        .value_kind:     global_buffer
      - .offset:         24
        .size:           32
        .value_kind:     by_value
      - .address_space:  global
        .offset:         56
        .size:           8
        .value_kind:     global_buffer
      - .offset:         64
        .size:           4
        .value_kind:     by_value
      - .offset:         68
        .size:           12
        .value_kind:     by_value
      - .offset:         80
        .size:           4
        .value_kind:     by_value
      - .offset:         84
        .size:           4
        .value_kind:     by_value
      - .offset:         88
        .size:           4
        .value_kind:     by_value
      - .offset:         92
        .size:           12
        .value_kind:     by_value
      - .offset:         104
        .size:           4
        .value_kind:     by_value
      - .offset:         108
        .size:           4
        .value_kind:     by_value
      - .offset:         112
        .size:           4
        .value_kind:     by_value
      - .offset:         116
        .size:           12
        .value_kind:     by_value
      - .offset:         128
        .size:           4
        .value_kind:     by_value
      - .offset:         132
        .size:           4
        .value_kind:     by_value
      - .offset:         136
        .size:           4
        .value_kind:     by_value
      - .offset:         140
        .size:           4
        .value_kind:     by_value
    .group_segment_fixed_size: 0
    .kernarg_segment_align: 8
    .kernarg_segment_size: 144
    .language:       OpenCL C
    .language_version:
      - 2
      - 0
    .max_flat_workgroup_size: 64
    .name:           _ZL13mul_mat_vec_qIL9ggml_type17ELi6ELb0ELb0EEvPKvS2_PKi31ggml_cuda_mm_fusion_args_devicePfj15HIP_vector_typeIjLj3EEjjjS8_jjjS8_jjjj
    .private_segment_fixed_size: 64
    .sgpr_count:     38
    .sgpr_spill_count: 0
    .symbol:         _ZL13mul_mat_vec_qIL9ggml_type17ELi6ELb0ELb0EEvPKvS2_PKi31ggml_cuda_mm_fusion_args_devicePfj15HIP_vector_typeIjLj3EEjjjS8_jjjS8_jjjj.kd
    .uniform_work_group_size: 1
    .uses_dynamic_stack: false
    .vgpr_count:     65
    .vgpr_spill_count: 0
    .wavefront_size: 64
  - .agpr_count:     0
    .args:
      - .address_space:  global
        .offset:         0
        .size:           8
        .value_kind:     global_buffer
      - .address_space:  global
        .offset:         8
        .size:           8
        .value_kind:     global_buffer
      - .address_space:  global
        .offset:         16
        .size:           8
        .value_kind:     global_buffer
      - .offset:         24
        .size:           32
        .value_kind:     by_value
      - .address_space:  global
        .offset:         56
        .size:           8
        .value_kind:     global_buffer
      - .offset:         64
        .size:           4
        .value_kind:     by_value
      - .offset:         68
        .size:           12
        .value_kind:     by_value
      - .offset:         80
        .size:           4
        .value_kind:     by_value
      - .offset:         84
        .size:           4
        .value_kind:     by_value
      - .offset:         88
        .size:           4
        .value_kind:     by_value
      - .offset:         92
        .size:           12
        .value_kind:     by_value
      - .offset:         104
        .size:           4
        .value_kind:     by_value
      - .offset:         108
        .size:           4
        .value_kind:     by_value
      - .offset:         112
        .size:           4
        .value_kind:     by_value
      - .offset:         116
        .size:           12
        .value_kind:     by_value
      - .offset:         128
        .size:           4
        .value_kind:     by_value
      - .offset:         132
        .size:           4
        .value_kind:     by_value
      - .offset:         136
        .size:           4
        .value_kind:     by_value
      - .offset:         140
        .size:           4
        .value_kind:     by_value
    .group_segment_fixed_size: 0
    .kernarg_segment_align: 8
    .kernarg_segment_size: 144
    .language:       OpenCL C
    .language_version:
      - 2
      - 0
    .max_flat_workgroup_size: 64
    .name:           _ZL13mul_mat_vec_qIL9ggml_type17ELi7ELb0ELb0EEvPKvS2_PKi31ggml_cuda_mm_fusion_args_devicePfj15HIP_vector_typeIjLj3EEjjjS8_jjjS8_jjjj
    .private_segment_fixed_size: 64
    .sgpr_count:     38
    .sgpr_spill_count: 0
    .symbol:         _ZL13mul_mat_vec_qIL9ggml_type17ELi7ELb0ELb0EEvPKvS2_PKi31ggml_cuda_mm_fusion_args_devicePfj15HIP_vector_typeIjLj3EEjjjS8_jjjS8_jjjj.kd
    .uniform_work_group_size: 1
    .uses_dynamic_stack: false
    .vgpr_count:     68
    .vgpr_spill_count: 0
    .wavefront_size: 64
  - .agpr_count:     0
    .args:
      - .address_space:  global
        .offset:         0
        .size:           8
        .value_kind:     global_buffer
      - .address_space:  global
        .offset:         8
        .size:           8
        .value_kind:     global_buffer
      - .address_space:  global
        .offset:         16
        .size:           8
        .value_kind:     global_buffer
      - .offset:         24
        .size:           32
        .value_kind:     by_value
      - .address_space:  global
        .offset:         56
        .size:           8
        .value_kind:     global_buffer
      - .offset:         64
        .size:           4
        .value_kind:     by_value
      - .offset:         68
        .size:           12
        .value_kind:     by_value
      - .offset:         80
        .size:           4
        .value_kind:     by_value
      - .offset:         84
        .size:           4
        .value_kind:     by_value
      - .offset:         88
        .size:           4
        .value_kind:     by_value
      - .offset:         92
        .size:           12
        .value_kind:     by_value
      - .offset:         104
        .size:           4
        .value_kind:     by_value
      - .offset:         108
        .size:           4
        .value_kind:     by_value
      - .offset:         112
        .size:           4
        .value_kind:     by_value
      - .offset:         116
        .size:           12
        .value_kind:     by_value
      - .offset:         128
        .size:           4
        .value_kind:     by_value
      - .offset:         132
        .size:           4
        .value_kind:     by_value
      - .offset:         136
        .size:           4
        .value_kind:     by_value
      - .offset:         140
        .size:           4
        .value_kind:     by_value
    .group_segment_fixed_size: 0
    .kernarg_segment_align: 8
    .kernarg_segment_size: 144
    .language:       OpenCL C
    .language_version:
      - 2
      - 0
    .max_flat_workgroup_size: 64
    .name:           _ZL13mul_mat_vec_qIL9ggml_type17ELi8ELb0ELb0EEvPKvS2_PKi31ggml_cuda_mm_fusion_args_devicePfj15HIP_vector_typeIjLj3EEjjjS8_jjjS8_jjjj
    .private_segment_fixed_size: 80
    .sgpr_count:     42
    .sgpr_spill_count: 0
    .symbol:         _ZL13mul_mat_vec_qIL9ggml_type17ELi8ELb0ELb0EEvPKvS2_PKi31ggml_cuda_mm_fusion_args_devicePfj15HIP_vector_typeIjLj3EEjjjS8_jjjS8_jjjj.kd
    .uniform_work_group_size: 1
    .uses_dynamic_stack: false
    .vgpr_count:     68
    .vgpr_spill_count: 0
    .wavefront_size: 64
  - .agpr_count:     0
    .args:
      - .address_space:  global
        .offset:         0
        .size:           8
        .value_kind:     global_buffer
      - .address_space:  global
        .offset:         8
        .size:           8
        .value_kind:     global_buffer
      - .address_space:  global
        .offset:         16
        .size:           8
        .value_kind:     global_buffer
      - .address_space:  global
        .offset:         24
        .size:           8
        .value_kind:     global_buffer
      - .offset:         32
        .size:           4
        .value_kind:     by_value
      - .offset:         36
        .size:           12
        .value_kind:     by_value
      - .offset:         48
        .size:           4
        .value_kind:     by_value
      - .offset:         52
        .size:           4
        .value_kind:     by_value
      - .offset:         56
        .size:           4
        .value_kind:     by_value
      - .offset:         60
        .size:           4
        .value_kind:     by_value
      - .offset:         64
        .size:           4
        .value_kind:     by_value
      - .offset:         68
        .size:           4
        .value_kind:     by_value
      - .offset:         72
        .size:           4
        .value_kind:     by_value
      - .offset:         76
        .size:           4
        .value_kind:     by_value
      - .offset:         80
        .size:           4
        .value_kind:     by_value
    .group_segment_fixed_size: 0
    .kernarg_segment_align: 8
    .kernarg_segment_size: 84
    .language:       OpenCL C
    .language_version:
      - 2
      - 0
    .max_flat_workgroup_size: 320
    .name:           _ZL17mul_mat_vec_q_moeIL9ggml_type22ELi2EEvPKvS2_PKiPfj15HIP_vector_typeIjLj3EEjjjjjjjjj
    .private_segment_fixed_size: 0
    .sgpr_count:     35
    .sgpr_spill_count: 0
    .symbol:         _ZL17mul_mat_vec_q_moeIL9ggml_type22ELi2EEvPKvS2_PKiPfj15HIP_vector_typeIjLj3EEjjjjjjjjj.kd
    .uniform_work_group_size: 1
    .uses_dynamic_stack: false
    .vgpr_count:     131
    .vgpr_spill_count: 0
    .wavefront_size: 64
  - .agpr_count:     0
    .args:
      - .address_space:  global
        .offset:         0
        .size:           8
        .value_kind:     global_buffer
      - .address_space:  global
        .offset:         8
        .size:           8
        .value_kind:     global_buffer
      - .address_space:  global
        .offset:         16
        .size:           8
        .value_kind:     global_buffer
      - .offset:         24
        .size:           32
        .value_kind:     by_value
      - .address_space:  global
        .offset:         56
        .size:           8
        .value_kind:     global_buffer
      - .offset:         64
        .size:           4
        .value_kind:     by_value
      - .offset:         68
        .size:           12
        .value_kind:     by_value
      - .offset:         80
        .size:           4
        .value_kind:     by_value
      - .offset:         84
        .size:           4
        .value_kind:     by_value
      - .offset:         88
        .size:           4
        .value_kind:     by_value
      - .offset:         92
        .size:           12
        .value_kind:     by_value
      - .offset:         104
        .size:           4
        .value_kind:     by_value
      - .offset:         108
        .size:           4
        .value_kind:     by_value
      - .offset:         112
        .size:           4
        .value_kind:     by_value
      - .offset:         116
        .size:           12
        .value_kind:     by_value
      - .offset:         128
        .size:           4
        .value_kind:     by_value
      - .offset:         132
        .size:           4
        .value_kind:     by_value
      - .offset:         136
        .size:           4
        .value_kind:     by_value
      - .offset:         140
        .size:           4
        .value_kind:     by_value
    .group_segment_fixed_size: 3072
    .kernarg_segment_align: 8
    .kernarg_segment_size: 144
    .language:       OpenCL C
    .language_version:
      - 2
      - 0
    .max_flat_workgroup_size: 128
    .name:           _ZL13mul_mat_vec_qIL9ggml_type22ELi1ELb1ELb1EEvPKvS2_PKi31ggml_cuda_mm_fusion_args_devicePfj15HIP_vector_typeIjLj3EEjjjS8_jjjS8_jjjj
    .private_segment_fixed_size: 0
    .sgpr_count:     52
    .sgpr_spill_count: 0
    .symbol:         _ZL13mul_mat_vec_qIL9ggml_type22ELi1ELb1ELb1EEvPKvS2_PKi31ggml_cuda_mm_fusion_args_devicePfj15HIP_vector_typeIjLj3EEjjjS8_jjjS8_jjjj.kd
    .uniform_work_group_size: 1
    .uses_dynamic_stack: false
    .vgpr_count:     75
    .vgpr_spill_count: 0
    .wavefront_size: 64
  - .agpr_count:     0
    .args:
      - .address_space:  global
        .offset:         0
        .size:           8
        .value_kind:     global_buffer
      - .address_space:  global
        .offset:         8
        .size:           8
        .value_kind:     global_buffer
      - .address_space:  global
        .offset:         16
        .size:           8
        .value_kind:     global_buffer
      - .offset:         24
        .size:           32
        .value_kind:     by_value
      - .address_space:  global
        .offset:         56
        .size:           8
        .value_kind:     global_buffer
      - .offset:         64
        .size:           4
        .value_kind:     by_value
      - .offset:         68
        .size:           12
        .value_kind:     by_value
      - .offset:         80
        .size:           4
        .value_kind:     by_value
      - .offset:         84
        .size:           4
        .value_kind:     by_value
      - .offset:         88
        .size:           4
        .value_kind:     by_value
      - .offset:         92
        .size:           12
        .value_kind:     by_value
      - .offset:         104
        .size:           4
        .value_kind:     by_value
      - .offset:         108
        .size:           4
        .value_kind:     by_value
      - .offset:         112
        .size:           4
        .value_kind:     by_value
      - .offset:         116
        .size:           12
        .value_kind:     by_value
      - .offset:         128
        .size:           4
        .value_kind:     by_value
      - .offset:         132
        .size:           4
        .value_kind:     by_value
      - .offset:         136
        .size:           4
        .value_kind:     by_value
      - .offset:         140
        .size:           4
        .value_kind:     by_value
    .group_segment_fixed_size: 1536
    .kernarg_segment_align: 8
    .kernarg_segment_size: 144
    .language:       OpenCL C
    .language_version:
      - 2
      - 0
    .max_flat_workgroup_size: 128
    .name:           _ZL13mul_mat_vec_qIL9ggml_type22ELi1ELb0ELb1EEvPKvS2_PKi31ggml_cuda_mm_fusion_args_devicePfj15HIP_vector_typeIjLj3EEjjjS8_jjjS8_jjjj
    .private_segment_fixed_size: 0
    .sgpr_count:     34
    .sgpr_spill_count: 0
    .symbol:         _ZL13mul_mat_vec_qIL9ggml_type22ELi1ELb0ELb1EEvPKvS2_PKi31ggml_cuda_mm_fusion_args_devicePfj15HIP_vector_typeIjLj3EEjjjS8_jjjS8_jjjj.kd
    .uniform_work_group_size: 1
    .uses_dynamic_stack: false
    .vgpr_count:     55
    .vgpr_spill_count: 0
    .wavefront_size: 64
  - .agpr_count:     0
    .args:
      - .address_space:  global
        .offset:         0
        .size:           8
        .value_kind:     global_buffer
      - .address_space:  global
        .offset:         8
        .size:           8
        .value_kind:     global_buffer
      - .address_space:  global
        .offset:         16
        .size:           8
        .value_kind:     global_buffer
      - .offset:         24
        .size:           32
        .value_kind:     by_value
      - .address_space:  global
        .offset:         56
        .size:           8
        .value_kind:     global_buffer
      - .offset:         64
        .size:           4
        .value_kind:     by_value
      - .offset:         68
        .size:           12
        .value_kind:     by_value
      - .offset:         80
        .size:           4
        .value_kind:     by_value
      - .offset:         84
        .size:           4
        .value_kind:     by_value
      - .offset:         88
        .size:           4
        .value_kind:     by_value
      - .offset:         92
        .size:           12
        .value_kind:     by_value
      - .offset:         104
        .size:           4
        .value_kind:     by_value
      - .offset:         108
        .size:           4
        .value_kind:     by_value
      - .offset:         112
        .size:           4
        .value_kind:     by_value
      - .offset:         116
        .size:           12
        .value_kind:     by_value
      - .offset:         128
        .size:           4
        .value_kind:     by_value
      - .offset:         132
        .size:           4
        .value_kind:     by_value
      - .offset:         136
        .size:           4
        .value_kind:     by_value
      - .offset:         140
        .size:           4
        .value_kind:     by_value
    .group_segment_fixed_size: 512
    .kernarg_segment_align: 8
    .kernarg_segment_size: 144
    .language:       OpenCL C
    .language_version:
      - 2
      - 0
    .max_flat_workgroup_size: 128
    .name:           _ZL13mul_mat_vec_qIL9ggml_type22ELi1ELb1ELb0EEvPKvS2_PKi31ggml_cuda_mm_fusion_args_devicePfj15HIP_vector_typeIjLj3EEjjjS8_jjjS8_jjjj
    .private_segment_fixed_size: 0
    .sgpr_count:     50
    .sgpr_spill_count: 0
    .symbol:         _ZL13mul_mat_vec_qIL9ggml_type22ELi1ELb1ELb0EEvPKvS2_PKi31ggml_cuda_mm_fusion_args_devicePfj15HIP_vector_typeIjLj3EEjjjS8_jjjS8_jjjj.kd
    .uniform_work_group_size: 1
    .uses_dynamic_stack: false
    .vgpr_count:     61
    .vgpr_spill_count: 0
    .wavefront_size: 64
  - .agpr_count:     0
    .args:
      - .address_space:  global
        .offset:         0
        .size:           8
        .value_kind:     global_buffer
      - .address_space:  global
        .offset:         8
        .size:           8
        .value_kind:     global_buffer
      - .address_space:  global
        .offset:         16
        .size:           8
        .value_kind:     global_buffer
      - .offset:         24
        .size:           32
        .value_kind:     by_value
      - .address_space:  global
        .offset:         56
        .size:           8
        .value_kind:     global_buffer
      - .offset:         64
        .size:           4
        .value_kind:     by_value
      - .offset:         68
        .size:           12
        .value_kind:     by_value
      - .offset:         80
        .size:           4
        .value_kind:     by_value
      - .offset:         84
        .size:           4
        .value_kind:     by_value
      - .offset:         88
        .size:           4
        .value_kind:     by_value
      - .offset:         92
        .size:           12
        .value_kind:     by_value
      - .offset:         104
        .size:           4
        .value_kind:     by_value
      - .offset:         108
        .size:           4
        .value_kind:     by_value
      - .offset:         112
        .size:           4
        .value_kind:     by_value
      - .offset:         116
        .size:           12
        .value_kind:     by_value
      - .offset:         128
        .size:           4
        .value_kind:     by_value
      - .offset:         132
        .size:           4
        .value_kind:     by_value
      - .offset:         136
        .size:           4
        .value_kind:     by_value
      - .offset:         140
        .size:           4
        .value_kind:     by_value
    .group_segment_fixed_size: 256
    .kernarg_segment_align: 8
    .kernarg_segment_size: 144
    .language:       OpenCL C
    .language_version:
      - 2
      - 0
    .max_flat_workgroup_size: 128
    .name:           _ZL13mul_mat_vec_qIL9ggml_type22ELi1ELb0ELb0EEvPKvS2_PKi31ggml_cuda_mm_fusion_args_devicePfj15HIP_vector_typeIjLj3EEjjjS8_jjjS8_jjjj
    .private_segment_fixed_size: 0
    .sgpr_count:     34
    .sgpr_spill_count: 0
    .symbol:         _ZL13mul_mat_vec_qIL9ggml_type22ELi1ELb0ELb0EEvPKvS2_PKi31ggml_cuda_mm_fusion_args_devicePfj15HIP_vector_typeIjLj3EEjjjS8_jjjS8_jjjj.kd
    .uniform_work_group_size: 1
    .uses_dynamic_stack: false
    .vgpr_count:     64
    .vgpr_spill_count: 0
    .wavefront_size: 64
  - .agpr_count:     0
    .args:
      - .address_space:  global
        .offset:         0
        .size:           8
        .value_kind:     global_buffer
      - .address_space:  global
        .offset:         8
        .size:           8
        .value_kind:     global_buffer
      - .address_space:  global
        .offset:         16
        .size:           8
        .value_kind:     global_buffer
      - .offset:         24
        .size:           32
        .value_kind:     by_value
      - .address_space:  global
        .offset:         56
        .size:           8
        .value_kind:     global_buffer
      - .offset:         64
        .size:           4
        .value_kind:     by_value
      - .offset:         68
        .size:           12
        .value_kind:     by_value
      - .offset:         80
        .size:           4
        .value_kind:     by_value
      - .offset:         84
        .size:           4
        .value_kind:     by_value
      - .offset:         88
        .size:           4
        .value_kind:     by_value
      - .offset:         92
        .size:           12
        .value_kind:     by_value
      - .offset:         104
        .size:           4
        .value_kind:     by_value
      - .offset:         108
        .size:           4
        .value_kind:     by_value
      - .offset:         112
        .size:           4
        .value_kind:     by_value
      - .offset:         116
        .size:           12
        .value_kind:     by_value
      - .offset:         128
        .size:           4
        .value_kind:     by_value
      - .offset:         132
        .size:           4
        .value_kind:     by_value
      - .offset:         136
        .size:           4
        .value_kind:     by_value
      - .offset:         140
        .size:           4
        .value_kind:     by_value
    .group_segment_fixed_size: 3072
    .kernarg_segment_align: 8
    .kernarg_segment_size: 144
    .language:       OpenCL C
    .language_version:
      - 2
      - 0
    .max_flat_workgroup_size: 128
    .name:           _ZL13mul_mat_vec_qIL9ggml_type22ELi2ELb0ELb0EEvPKvS2_PKi31ggml_cuda_mm_fusion_args_devicePfj15HIP_vector_typeIjLj3EEjjjS8_jjjS8_jjjj
    .private_segment_fixed_size: 0
    .sgpr_count:     36
    .sgpr_spill_count: 0
    .symbol:         _ZL13mul_mat_vec_qIL9ggml_type22ELi2ELb0ELb0EEvPKvS2_PKi31ggml_cuda_mm_fusion_args_devicePfj15HIP_vector_typeIjLj3EEjjjS8_jjjS8_jjjj.kd
    .uniform_work_group_size: 1
    .uses_dynamic_stack: false
    .vgpr_count:     66
    .vgpr_spill_count: 0
    .wavefront_size: 64
  - .agpr_count:     0
    .args:
      - .address_space:  global
        .offset:         0
        .size:           8
        .value_kind:     global_buffer
      - .address_space:  global
        .offset:         8
        .size:           8
        .value_kind:     global_buffer
      - .address_space:  global
        .offset:         16
        .size:           8
        .value_kind:     global_buffer
      - .offset:         24
        .size:           32
        .value_kind:     by_value
      - .address_space:  global
        .offset:         56
        .size:           8
        .value_kind:     global_buffer
      - .offset:         64
        .size:           4
        .value_kind:     by_value
      - .offset:         68
        .size:           12
        .value_kind:     by_value
      - .offset:         80
        .size:           4
        .value_kind:     by_value
      - .offset:         84
        .size:           4
        .value_kind:     by_value
      - .offset:         88
        .size:           4
        .value_kind:     by_value
      - .offset:         92
        .size:           12
        .value_kind:     by_value
      - .offset:         104
        .size:           4
        .value_kind:     by_value
      - .offset:         108
        .size:           4
        .value_kind:     by_value
      - .offset:         112
        .size:           4
        .value_kind:     by_value
      - .offset:         116
        .size:           12
        .value_kind:     by_value
      - .offset:         128
        .size:           4
        .value_kind:     by_value
      - .offset:         132
        .size:           4
        .value_kind:     by_value
      - .offset:         136
        .size:           4
        .value_kind:     by_value
      - .offset:         140
        .size:           4
        .value_kind:     by_value
    .group_segment_fixed_size: 1536
    .kernarg_segment_align: 8
    .kernarg_segment_size: 144
    .language:       OpenCL C
    .language_version:
      - 2
      - 0
    .max_flat_workgroup_size: 128
    .name:           _ZL13mul_mat_vec_qIL9ggml_type22ELi3ELb0ELb0EEvPKvS2_PKi31ggml_cuda_mm_fusion_args_devicePfj15HIP_vector_typeIjLj3EEjjjS8_jjjS8_jjjj
    .private_segment_fixed_size: 32
    .sgpr_count:     36
    .sgpr_spill_count: 0
    .symbol:         _ZL13mul_mat_vec_qIL9ggml_type22ELi3ELb0ELb0EEvPKvS2_PKi31ggml_cuda_mm_fusion_args_devicePfj15HIP_vector_typeIjLj3EEjjjS8_jjjS8_jjjj.kd
    .uniform_work_group_size: 1
    .uses_dynamic_stack: false
    .vgpr_count:     68
    .vgpr_spill_count: 0
    .wavefront_size: 64
  - .agpr_count:     0
    .args:
      - .address_space:  global
        .offset:         0
        .size:           8
        .value_kind:     global_buffer
      - .address_space:  global
        .offset:         8
        .size:           8
        .value_kind:     global_buffer
      - .address_space:  global
        .offset:         16
        .size:           8
        .value_kind:     global_buffer
      - .offset:         24
        .size:           32
        .value_kind:     by_value
      - .address_space:  global
        .offset:         56
        .size:           8
        .value_kind:     global_buffer
      - .offset:         64
        .size:           4
        .value_kind:     by_value
      - .offset:         68
        .size:           12
        .value_kind:     by_value
      - .offset:         80
        .size:           4
        .value_kind:     by_value
      - .offset:         84
        .size:           4
        .value_kind:     by_value
      - .offset:         88
        .size:           4
        .value_kind:     by_value
      - .offset:         92
        .size:           12
        .value_kind:     by_value
      - .offset:         104
        .size:           4
        .value_kind:     by_value
      - .offset:         108
        .size:           4
        .value_kind:     by_value
      - .offset:         112
        .size:           4
        .value_kind:     by_value
      - .offset:         116
        .size:           12
        .value_kind:     by_value
      - .offset:         128
        .size:           4
        .value_kind:     by_value
      - .offset:         132
        .size:           4
        .value_kind:     by_value
      - .offset:         136
        .size:           4
        .value_kind:     by_value
      - .offset:         140
        .size:           4
        .value_kind:     by_value
    .group_segment_fixed_size: 2048
    .kernarg_segment_align: 8
    .kernarg_segment_size: 144
    .language:       OpenCL C
    .language_version:
      - 2
      - 0
    .max_flat_workgroup_size: 128
    .name:           _ZL13mul_mat_vec_qIL9ggml_type22ELi4ELb0ELb0EEvPKvS2_PKi31ggml_cuda_mm_fusion_args_devicePfj15HIP_vector_typeIjLj3EEjjjS8_jjjS8_jjjj
    .private_segment_fixed_size: 48
    .sgpr_count:     36
    .sgpr_spill_count: 0
    .symbol:         _ZL13mul_mat_vec_qIL9ggml_type22ELi4ELb0ELb0EEvPKvS2_PKi31ggml_cuda_mm_fusion_args_devicePfj15HIP_vector_typeIjLj3EEjjjS8_jjjS8_jjjj.kd
    .uniform_work_group_size: 1
    .uses_dynamic_stack: false
    .vgpr_count:     71
    .vgpr_spill_count: 0
    .wavefront_size: 64
  - .agpr_count:     0
    .args:
      - .address_space:  global
        .offset:         0
        .size:           8
        .value_kind:     global_buffer
      - .address_space:  global
        .offset:         8
        .size:           8
        .value_kind:     global_buffer
      - .address_space:  global
        .offset:         16
        .size:           8
        .value_kind:     global_buffer
      - .offset:         24
        .size:           32
        .value_kind:     by_value
      - .address_space:  global
        .offset:         56
        .size:           8
        .value_kind:     global_buffer
      - .offset:         64
        .size:           4
        .value_kind:     by_value
      - .offset:         68
        .size:           12
        .value_kind:     by_value
      - .offset:         80
        .size:           4
        .value_kind:     by_value
      - .offset:         84
        .size:           4
        .value_kind:     by_value
      - .offset:         88
        .size:           4
        .value_kind:     by_value
      - .offset:         92
        .size:           12
        .value_kind:     by_value
      - .offset:         104
        .size:           4
        .value_kind:     by_value
      - .offset:         108
        .size:           4
        .value_kind:     by_value
      - .offset:         112
        .size:           4
        .value_kind:     by_value
      - .offset:         116
        .size:           12
        .value_kind:     by_value
      - .offset:         128
        .size:           4
        .value_kind:     by_value
      - .offset:         132
        .size:           4
        .value_kind:     by_value
      - .offset:         136
        .size:           4
        .value_kind:     by_value
      - .offset:         140
        .size:           4
        .value_kind:     by_value
    .group_segment_fixed_size: 0
    .kernarg_segment_align: 8
    .kernarg_segment_size: 144
    .language:       OpenCL C
    .language_version:
      - 2
      - 0
    .max_flat_workgroup_size: 64
    .name:           _ZL13mul_mat_vec_qIL9ggml_type22ELi5ELb0ELb0EEvPKvS2_PKi31ggml_cuda_mm_fusion_args_devicePfj15HIP_vector_typeIjLj3EEjjjS8_jjjS8_jjjj
    .private_segment_fixed_size: 48
    .sgpr_count:     36
    .sgpr_spill_count: 0
    .symbol:         _ZL13mul_mat_vec_qIL9ggml_type22ELi5ELb0ELb0EEvPKvS2_PKi31ggml_cuda_mm_fusion_args_devicePfj15HIP_vector_typeIjLj3EEjjjS8_jjjS8_jjjj.kd
    .uniform_work_group_size: 1
    .uses_dynamic_stack: false
    .vgpr_count:     71
    .vgpr_spill_count: 0
    .wavefront_size: 64
  - .agpr_count:     0
    .args:
      - .address_space:  global
        .offset:         0
        .size:           8
        .value_kind:     global_buffer
      - .address_space:  global
        .offset:         8
        .size:           8
        .value_kind:     global_buffer
      - .address_space:  global
        .offset:         16
        .size:           8
        .value_kind:     global_buffer
      - .offset:         24
        .size:           32
        .value_kind:     by_value
      - .address_space:  global
        .offset:         56
        .size:           8
        .value_kind:     global_buffer
      - .offset:         64
        .size:           4
        .value_kind:     by_value
      - .offset:         68
        .size:           12
        .value_kind:     by_value
      - .offset:         80
        .size:           4
        .value_kind:     by_value
      - .offset:         84
        .size:           4
        .value_kind:     by_value
      - .offset:         88
        .size:           4
        .value_kind:     by_value
      - .offset:         92
        .size:           12
        .value_kind:     by_value
      - .offset:         104
        .size:           4
        .value_kind:     by_value
      - .offset:         108
        .size:           4
        .value_kind:     by_value
      - .offset:         112
        .size:           4
        .value_kind:     by_value
      - .offset:         116
        .size:           12
        .value_kind:     by_value
      - .offset:         128
        .size:           4
        .value_kind:     by_value
      - .offset:         132
        .size:           4
        .value_kind:     by_value
      - .offset:         136
        .size:           4
        .value_kind:     by_value
      - .offset:         140
        .size:           4
        .value_kind:     by_value
    .group_segment_fixed_size: 0
    .kernarg_segment_align: 8
    .kernarg_segment_size: 144
    .language:       OpenCL C
    .language_version:
      - 2
      - 0
    .max_flat_workgroup_size: 64
    .name:           _ZL13mul_mat_vec_qIL9ggml_type22ELi6ELb0ELb0EEvPKvS2_PKi31ggml_cuda_mm_fusion_args_devicePfj15HIP_vector_typeIjLj3EEjjjS8_jjjS8_jjjj
    .private_segment_fixed_size: 64
    .sgpr_count:     38
    .sgpr_spill_count: 0
    .symbol:         _ZL13mul_mat_vec_qIL9ggml_type22ELi6ELb0ELb0EEvPKvS2_PKi31ggml_cuda_mm_fusion_args_devicePfj15HIP_vector_typeIjLj3EEjjjS8_jjjS8_jjjj.kd
    .uniform_work_group_size: 1
    .uses_dynamic_stack: false
    .vgpr_count:     73
    .vgpr_spill_count: 0
    .wavefront_size: 64
  - .agpr_count:     0
    .args:
      - .address_space:  global
        .offset:         0
        .size:           8
        .value_kind:     global_buffer
      - .address_space:  global
        .offset:         8
        .size:           8
        .value_kind:     global_buffer
      - .address_space:  global
        .offset:         16
        .size:           8
        .value_kind:     global_buffer
      - .offset:         24
        .size:           32
        .value_kind:     by_value
      - .address_space:  global
        .offset:         56
        .size:           8
        .value_kind:     global_buffer
      - .offset:         64
        .size:           4
        .value_kind:     by_value
      - .offset:         68
        .size:           12
        .value_kind:     by_value
      - .offset:         80
        .size:           4
        .value_kind:     by_value
      - .offset:         84
        .size:           4
        .value_kind:     by_value
      - .offset:         88
        .size:           4
        .value_kind:     by_value
      - .offset:         92
        .size:           12
        .value_kind:     by_value
      - .offset:         104
        .size:           4
        .value_kind:     by_value
      - .offset:         108
        .size:           4
        .value_kind:     by_value
      - .offset:         112
        .size:           4
        .value_kind:     by_value
      - .offset:         116
        .size:           12
        .value_kind:     by_value
      - .offset:         128
        .size:           4
        .value_kind:     by_value
      - .offset:         132
        .size:           4
        .value_kind:     by_value
      - .offset:         136
        .size:           4
        .value_kind:     by_value
      - .offset:         140
        .size:           4
        .value_kind:     by_value
    .group_segment_fixed_size: 0
    .kernarg_segment_align: 8
    .kernarg_segment_size: 144
    .language:       OpenCL C
    .language_version:
      - 2
      - 0
    .max_flat_workgroup_size: 64
    .name:           _ZL13mul_mat_vec_qIL9ggml_type22ELi7ELb0ELb0EEvPKvS2_PKi31ggml_cuda_mm_fusion_args_devicePfj15HIP_vector_typeIjLj3EEjjjS8_jjjS8_jjjj
    .private_segment_fixed_size: 64
    .sgpr_count:     42
    .sgpr_spill_count: 0
    .symbol:         _ZL13mul_mat_vec_qIL9ggml_type22ELi7ELb0ELb0EEvPKvS2_PKi31ggml_cuda_mm_fusion_args_devicePfj15HIP_vector_typeIjLj3EEjjjS8_jjjS8_jjjj.kd
    .uniform_work_group_size: 1
    .uses_dynamic_stack: false
    .vgpr_count:     72
    .vgpr_spill_count: 0
    .wavefront_size: 64
  - .agpr_count:     0
    .args:
      - .address_space:  global
        .offset:         0
        .size:           8
        .value_kind:     global_buffer
      - .address_space:  global
        .offset:         8
        .size:           8
        .value_kind:     global_buffer
      - .address_space:  global
        .offset:         16
        .size:           8
        .value_kind:     global_buffer
      - .offset:         24
        .size:           32
        .value_kind:     by_value
      - .address_space:  global
        .offset:         56
        .size:           8
        .value_kind:     global_buffer
      - .offset:         64
        .size:           4
        .value_kind:     by_value
      - .offset:         68
        .size:           12
        .value_kind:     by_value
      - .offset:         80
        .size:           4
        .value_kind:     by_value
      - .offset:         84
        .size:           4
        .value_kind:     by_value
      - .offset:         88
        .size:           4
        .value_kind:     by_value
      - .offset:         92
        .size:           12
        .value_kind:     by_value
      - .offset:         104
        .size:           4
        .value_kind:     by_value
      - .offset:         108
        .size:           4
        .value_kind:     by_value
      - .offset:         112
        .size:           4
        .value_kind:     by_value
      - .offset:         116
        .size:           12
        .value_kind:     by_value
      - .offset:         128
        .size:           4
        .value_kind:     by_value
      - .offset:         132
        .size:           4
        .value_kind:     by_value
      - .offset:         136
        .size:           4
        .value_kind:     by_value
      - .offset:         140
        .size:           4
        .value_kind:     by_value
    .group_segment_fixed_size: 0
    .kernarg_segment_align: 8
    .kernarg_segment_size: 144
    .language:       OpenCL C
    .language_version:
      - 2
      - 0
    .max_flat_workgroup_size: 64
    .name:           _ZL13mul_mat_vec_qIL9ggml_type22ELi8ELb0ELb0EEvPKvS2_PKi31ggml_cuda_mm_fusion_args_devicePfj15HIP_vector_typeIjLj3EEjjjS8_jjjS8_jjjj
    .private_segment_fixed_size: 80
    .sgpr_count:     42
    .sgpr_spill_count: 0
    .symbol:         _ZL13mul_mat_vec_qIL9ggml_type22ELi8ELb0ELb0EEvPKvS2_PKi31ggml_cuda_mm_fusion_args_devicePfj15HIP_vector_typeIjLj3EEjjjS8_jjjS8_jjjj.kd
    .uniform_work_group_size: 1
    .uses_dynamic_stack: false
    .vgpr_count:     72
    .vgpr_spill_count: 0
    .wavefront_size: 64
  - .agpr_count:     0
    .args:
      - .address_space:  global
        .offset:         0
        .size:           8
        .value_kind:     global_buffer
      - .address_space:  global
        .offset:         8
        .size:           8
        .value_kind:     global_buffer
      - .address_space:  global
        .offset:         16
        .size:           8
        .value_kind:     global_buffer
      - .address_space:  global
        .offset:         24
        .size:           8
        .value_kind:     global_buffer
      - .offset:         32
        .size:           4
        .value_kind:     by_value
      - .offset:         36
        .size:           12
        .value_kind:     by_value
      - .offset:         48
        .size:           4
        .value_kind:     by_value
      - .offset:         52
        .size:           4
        .value_kind:     by_value
      - .offset:         56
        .size:           4
        .value_kind:     by_value
      - .offset:         60
        .size:           4
        .value_kind:     by_value
      - .offset:         64
        .size:           4
        .value_kind:     by_value
      - .offset:         68
        .size:           4
        .value_kind:     by_value
      - .offset:         72
        .size:           4
        .value_kind:     by_value
      - .offset:         76
        .size:           4
        .value_kind:     by_value
      - .offset:         80
        .size:           4
        .value_kind:     by_value
    .group_segment_fixed_size: 0
    .kernarg_segment_align: 8
    .kernarg_segment_size: 84
    .language:       OpenCL C
    .language_version:
      - 2
      - 0
    .max_flat_workgroup_size: 320
    .name:           _ZL17mul_mat_vec_q_moeIL9ggml_type18ELi2EEvPKvS2_PKiPfj15HIP_vector_typeIjLj3EEjjjjjjjjj
    .private_segment_fixed_size: 0
    .sgpr_count:     36
    .sgpr_spill_count: 0
    .symbol:         _ZL17mul_mat_vec_q_moeIL9ggml_type18ELi2EEvPKvS2_PKiPfj15HIP_vector_typeIjLj3EEjjjjjjjjj.kd
    .uniform_work_group_size: 1
    .uses_dynamic_stack: false
    .vgpr_count:     128
    .vgpr_spill_count: 0
    .wavefront_size: 64
  - .agpr_count:     0
    .args:
      - .address_space:  global
        .offset:         0
        .size:           8
        .value_kind:     global_buffer
      - .address_space:  global
        .offset:         8
        .size:           8
        .value_kind:     global_buffer
      - .address_space:  global
        .offset:         16
        .size:           8
        .value_kind:     global_buffer
      - .offset:         24
        .size:           32
        .value_kind:     by_value
      - .address_space:  global
        .offset:         56
        .size:           8
        .value_kind:     global_buffer
      - .offset:         64
        .size:           4
        .value_kind:     by_value
      - .offset:         68
        .size:           12
        .value_kind:     by_value
      - .offset:         80
        .size:           4
        .value_kind:     by_value
      - .offset:         84
        .size:           4
        .value_kind:     by_value
      - .offset:         88
        .size:           4
        .value_kind:     by_value
      - .offset:         92
        .size:           12
        .value_kind:     by_value
      - .offset:         104
        .size:           4
        .value_kind:     by_value
      - .offset:         108
        .size:           4
        .value_kind:     by_value
      - .offset:         112
        .size:           4
        .value_kind:     by_value
      - .offset:         116
        .size:           12
        .value_kind:     by_value
      - .offset:         128
        .size:           4
        .value_kind:     by_value
      - .offset:         132
        .size:           4
        .value_kind:     by_value
      - .offset:         136
        .size:           4
        .value_kind:     by_value
      - .offset:         140
        .size:           4
        .value_kind:     by_value
    .group_segment_fixed_size: 3072
    .kernarg_segment_align: 8
    .kernarg_segment_size: 144
    .language:       OpenCL C
    .language_version:
      - 2
      - 0
    .max_flat_workgroup_size: 128
    .name:           _ZL13mul_mat_vec_qIL9ggml_type18ELi1ELb1ELb1EEvPKvS2_PKi31ggml_cuda_mm_fusion_args_devicePfj15HIP_vector_typeIjLj3EEjjjS8_jjjS8_jjjj
    .private_segment_fixed_size: 0
    .sgpr_count:     52
    .sgpr_spill_count: 0
    .symbol:         _ZL13mul_mat_vec_qIL9ggml_type18ELi1ELb1ELb1EEvPKvS2_PKi31ggml_cuda_mm_fusion_args_devicePfj15HIP_vector_typeIjLj3EEjjjS8_jjjS8_jjjj.kd
    .uniform_work_group_size: 1
    .uses_dynamic_stack: false
    .vgpr_count:     68
    .vgpr_spill_count: 0
    .wavefront_size: 64
  - .agpr_count:     0
    .args:
      - .address_space:  global
        .offset:         0
        .size:           8
        .value_kind:     global_buffer
      - .address_space:  global
        .offset:         8
        .size:           8
        .value_kind:     global_buffer
      - .address_space:  global
        .offset:         16
        .size:           8
        .value_kind:     global_buffer
      - .offset:         24
        .size:           32
        .value_kind:     by_value
      - .address_space:  global
        .offset:         56
        .size:           8
        .value_kind:     global_buffer
      - .offset:         64
        .size:           4
        .value_kind:     by_value
      - .offset:         68
        .size:           12
        .value_kind:     by_value
      - .offset:         80
        .size:           4
        .value_kind:     by_value
      - .offset:         84
        .size:           4
        .value_kind:     by_value
      - .offset:         88
        .size:           4
        .value_kind:     by_value
      - .offset:         92
        .size:           12
        .value_kind:     by_value
      - .offset:         104
        .size:           4
        .value_kind:     by_value
      - .offset:         108
        .size:           4
        .value_kind:     by_value
      - .offset:         112
        .size:           4
        .value_kind:     by_value
      - .offset:         116
        .size:           12
        .value_kind:     by_value
      - .offset:         128
        .size:           4
        .value_kind:     by_value
      - .offset:         132
        .size:           4
        .value_kind:     by_value
      - .offset:         136
        .size:           4
        .value_kind:     by_value
      - .offset:         140
        .size:           4
        .value_kind:     by_value
    .group_segment_fixed_size: 1536
    .kernarg_segment_align: 8
    .kernarg_segment_size: 144
    .language:       OpenCL C
    .language_version:
      - 2
      - 0
    .max_flat_workgroup_size: 128
    .name:           _ZL13mul_mat_vec_qIL9ggml_type18ELi1ELb0ELb1EEvPKvS2_PKi31ggml_cuda_mm_fusion_args_devicePfj15HIP_vector_typeIjLj3EEjjjS8_jjjS8_jjjj
    .private_segment_fixed_size: 0
    .sgpr_count:     34
    .sgpr_spill_count: 0
    .symbol:         _ZL13mul_mat_vec_qIL9ggml_type18ELi1ELb0ELb1EEvPKvS2_PKi31ggml_cuda_mm_fusion_args_devicePfj15HIP_vector_typeIjLj3EEjjjS8_jjjS8_jjjj.kd
    .uniform_work_group_size: 1
    .uses_dynamic_stack: false
    .vgpr_count:     55
    .vgpr_spill_count: 0
    .wavefront_size: 64
  - .agpr_count:     0
    .args:
      - .address_space:  global
        .offset:         0
        .size:           8
        .value_kind:     global_buffer
      - .address_space:  global
        .offset:         8
        .size:           8
        .value_kind:     global_buffer
      - .address_space:  global
        .offset:         16
        .size:           8
        .value_kind:     global_buffer
      - .offset:         24
        .size:           32
        .value_kind:     by_value
      - .address_space:  global
        .offset:         56
        .size:           8
        .value_kind:     global_buffer
      - .offset:         64
        .size:           4
        .value_kind:     by_value
      - .offset:         68
        .size:           12
        .value_kind:     by_value
      - .offset:         80
        .size:           4
        .value_kind:     by_value
      - .offset:         84
        .size:           4
        .value_kind:     by_value
      - .offset:         88
        .size:           4
        .value_kind:     by_value
      - .offset:         92
        .size:           12
        .value_kind:     by_value
      - .offset:         104
        .size:           4
        .value_kind:     by_value
      - .offset:         108
        .size:           4
        .value_kind:     by_value
      - .offset:         112
        .size:           4
        .value_kind:     by_value
      - .offset:         116
        .size:           12
        .value_kind:     by_value
      - .offset:         128
        .size:           4
        .value_kind:     by_value
      - .offset:         132
        .size:           4
        .value_kind:     by_value
      - .offset:         136
        .size:           4
        .value_kind:     by_value
      - .offset:         140
        .size:           4
        .value_kind:     by_value
    .group_segment_fixed_size: 512
    .kernarg_segment_align: 8
    .kernarg_segment_size: 144
    .language:       OpenCL C
    .language_version:
      - 2
      - 0
    .max_flat_workgroup_size: 128
    .name:           _ZL13mul_mat_vec_qIL9ggml_type18ELi1ELb1ELb0EEvPKvS2_PKi31ggml_cuda_mm_fusion_args_devicePfj15HIP_vector_typeIjLj3EEjjjS8_jjjS8_jjjj
    .private_segment_fixed_size: 0
    .sgpr_count:     50
    .sgpr_spill_count: 0
    .symbol:         _ZL13mul_mat_vec_qIL9ggml_type18ELi1ELb1ELb0EEvPKvS2_PKi31ggml_cuda_mm_fusion_args_devicePfj15HIP_vector_typeIjLj3EEjjjS8_jjjS8_jjjj.kd
    .uniform_work_group_size: 1
    .uses_dynamic_stack: false
    .vgpr_count:     54
    .vgpr_spill_count: 0
    .wavefront_size: 64
  - .agpr_count:     0
    .args:
      - .address_space:  global
        .offset:         0
        .size:           8
        .value_kind:     global_buffer
      - .address_space:  global
        .offset:         8
        .size:           8
        .value_kind:     global_buffer
      - .address_space:  global
        .offset:         16
        .size:           8
        .value_kind:     global_buffer
      - .offset:         24
        .size:           32
        .value_kind:     by_value
      - .address_space:  global
        .offset:         56
        .size:           8
        .value_kind:     global_buffer
      - .offset:         64
        .size:           4
        .value_kind:     by_value
      - .offset:         68
        .size:           12
        .value_kind:     by_value
      - .offset:         80
        .size:           4
        .value_kind:     by_value
      - .offset:         84
        .size:           4
        .value_kind:     by_value
      - .offset:         88
        .size:           4
        .value_kind:     by_value
      - .offset:         92
        .size:           12
        .value_kind:     by_value
      - .offset:         104
        .size:           4
        .value_kind:     by_value
      - .offset:         108
        .size:           4
        .value_kind:     by_value
      - .offset:         112
        .size:           4
        .value_kind:     by_value
      - .offset:         116
        .size:           12
        .value_kind:     by_value
      - .offset:         128
        .size:           4
        .value_kind:     by_value
      - .offset:         132
        .size:           4
        .value_kind:     by_value
      - .offset:         136
        .size:           4
        .value_kind:     by_value
      - .offset:         140
        .size:           4
        .value_kind:     by_value
    .group_segment_fixed_size: 256
    .kernarg_segment_align: 8
    .kernarg_segment_size: 144
    .language:       OpenCL C
    .language_version:
      - 2
      - 0
    .max_flat_workgroup_size: 128
    .name:           _ZL13mul_mat_vec_qIL9ggml_type18ELi1ELb0ELb0EEvPKvS2_PKi31ggml_cuda_mm_fusion_args_devicePfj15HIP_vector_typeIjLj3EEjjjS8_jjjS8_jjjj
    .private_segment_fixed_size: 0
    .sgpr_count:     34
    .sgpr_spill_count: 0
    .symbol:         _ZL13mul_mat_vec_qIL9ggml_type18ELi1ELb0ELb0EEvPKvS2_PKi31ggml_cuda_mm_fusion_args_devicePfj15HIP_vector_typeIjLj3EEjjjS8_jjjS8_jjjj.kd
    .uniform_work_group_size: 1
    .uses_dynamic_stack: false
    .vgpr_count:     38
    .vgpr_spill_count: 0
    .wavefront_size: 64
  - .agpr_count:     0
    .args:
      - .address_space:  global
        .offset:         0
        .size:           8
        .value_kind:     global_buffer
      - .address_space:  global
        .offset:         8
        .size:           8
        .value_kind:     global_buffer
      - .address_space:  global
        .offset:         16
        .size:           8
        .value_kind:     global_buffer
      - .offset:         24
        .size:           32
        .value_kind:     by_value
      - .address_space:  global
        .offset:         56
        .size:           8
        .value_kind:     global_buffer
      - .offset:         64
        .size:           4
        .value_kind:     by_value
      - .offset:         68
        .size:           12
        .value_kind:     by_value
      - .offset:         80
        .size:           4
        .value_kind:     by_value
      - .offset:         84
        .size:           4
        .value_kind:     by_value
      - .offset:         88
        .size:           4
        .value_kind:     by_value
      - .offset:         92
        .size:           12
        .value_kind:     by_value
      - .offset:         104
        .size:           4
        .value_kind:     by_value
      - .offset:         108
        .size:           4
        .value_kind:     by_value
      - .offset:         112
        .size:           4
        .value_kind:     by_value
      - .offset:         116
        .size:           12
        .value_kind:     by_value
      - .offset:         128
        .size:           4
        .value_kind:     by_value
      - .offset:         132
        .size:           4
        .value_kind:     by_value
      - .offset:         136
        .size:           4
        .value_kind:     by_value
      - .offset:         140
        .size:           4
        .value_kind:     by_value
    .group_segment_fixed_size: 3072
    .kernarg_segment_align: 8
    .kernarg_segment_size: 144
    .language:       OpenCL C
    .language_version:
      - 2
      - 0
    .max_flat_workgroup_size: 128
    .name:           _ZL13mul_mat_vec_qIL9ggml_type18ELi2ELb0ELb0EEvPKvS2_PKi31ggml_cuda_mm_fusion_args_devicePfj15HIP_vector_typeIjLj3EEjjjS8_jjjS8_jjjj
    .private_segment_fixed_size: 0
    .sgpr_count:     36
    .sgpr_spill_count: 0
    .symbol:         _ZL13mul_mat_vec_qIL9ggml_type18ELi2ELb0ELb0EEvPKvS2_PKi31ggml_cuda_mm_fusion_args_devicePfj15HIP_vector_typeIjLj3EEjjjS8_jjjS8_jjjj.kd
    .uniform_work_group_size: 1
    .uses_dynamic_stack: false
    .vgpr_count:     63
    .vgpr_spill_count: 0
    .wavefront_size: 64
  - .agpr_count:     0
    .args:
      - .address_space:  global
        .offset:         0
        .size:           8
        .value_kind:     global_buffer
      - .address_space:  global
        .offset:         8
        .size:           8
        .value_kind:     global_buffer
      - .address_space:  global
        .offset:         16
        .size:           8
        .value_kind:     global_buffer
      - .offset:         24
        .size:           32
        .value_kind:     by_value
      - .address_space:  global
        .offset:         56
        .size:           8
        .value_kind:     global_buffer
      - .offset:         64
        .size:           4
        .value_kind:     by_value
      - .offset:         68
        .size:           12
        .value_kind:     by_value
      - .offset:         80
        .size:           4
        .value_kind:     by_value
      - .offset:         84
        .size:           4
        .value_kind:     by_value
      - .offset:         88
        .size:           4
        .value_kind:     by_value
      - .offset:         92
        .size:           12
        .value_kind:     by_value
      - .offset:         104
        .size:           4
        .value_kind:     by_value
      - .offset:         108
        .size:           4
        .value_kind:     by_value
      - .offset:         112
        .size:           4
        .value_kind:     by_value
      - .offset:         116
        .size:           12
        .value_kind:     by_value
      - .offset:         128
        .size:           4
        .value_kind:     by_value
      - .offset:         132
        .size:           4
        .value_kind:     by_value
      - .offset:         136
        .size:           4
        .value_kind:     by_value
      - .offset:         140
        .size:           4
        .value_kind:     by_value
    .group_segment_fixed_size: 1536
    .kernarg_segment_align: 8
    .kernarg_segment_size: 144
    .language:       OpenCL C
    .language_version:
      - 2
      - 0
    .max_flat_workgroup_size: 128
    .name:           _ZL13mul_mat_vec_qIL9ggml_type18ELi3ELb0ELb0EEvPKvS2_PKi31ggml_cuda_mm_fusion_args_devicePfj15HIP_vector_typeIjLj3EEjjjS8_jjjS8_jjjj
    .private_segment_fixed_size: 32
    .sgpr_count:     36
    .sgpr_spill_count: 0
    .symbol:         _ZL13mul_mat_vec_qIL9ggml_type18ELi3ELb0ELb0EEvPKvS2_PKi31ggml_cuda_mm_fusion_args_devicePfj15HIP_vector_typeIjLj3EEjjjS8_jjjS8_jjjj.kd
    .uniform_work_group_size: 1
    .uses_dynamic_stack: false
    .vgpr_count:     65
    .vgpr_spill_count: 0
    .wavefront_size: 64
  - .agpr_count:     0
    .args:
      - .address_space:  global
        .offset:         0
        .size:           8
        .value_kind:     global_buffer
      - .address_space:  global
        .offset:         8
        .size:           8
        .value_kind:     global_buffer
      - .address_space:  global
        .offset:         16
        .size:           8
        .value_kind:     global_buffer
      - .offset:         24
        .size:           32
        .value_kind:     by_value
      - .address_space:  global
        .offset:         56
        .size:           8
        .value_kind:     global_buffer
      - .offset:         64
        .size:           4
        .value_kind:     by_value
      - .offset:         68
        .size:           12
        .value_kind:     by_value
      - .offset:         80
        .size:           4
        .value_kind:     by_value
      - .offset:         84
        .size:           4
        .value_kind:     by_value
      - .offset:         88
        .size:           4
        .value_kind:     by_value
      - .offset:         92
        .size:           12
        .value_kind:     by_value
      - .offset:         104
        .size:           4
        .value_kind:     by_value
      - .offset:         108
        .size:           4
        .value_kind:     by_value
      - .offset:         112
        .size:           4
        .value_kind:     by_value
      - .offset:         116
        .size:           12
        .value_kind:     by_value
      - .offset:         128
        .size:           4
        .value_kind:     by_value
      - .offset:         132
        .size:           4
        .value_kind:     by_value
      - .offset:         136
        .size:           4
        .value_kind:     by_value
      - .offset:         140
        .size:           4
        .value_kind:     by_value
    .group_segment_fixed_size: 2048
    .kernarg_segment_align: 8
    .kernarg_segment_size: 144
    .language:       OpenCL C
    .language_version:
      - 2
      - 0
    .max_flat_workgroup_size: 128
    .name:           _ZL13mul_mat_vec_qIL9ggml_type18ELi4ELb0ELb0EEvPKvS2_PKi31ggml_cuda_mm_fusion_args_devicePfj15HIP_vector_typeIjLj3EEjjjS8_jjjS8_jjjj
    .private_segment_fixed_size: 48
    .sgpr_count:     36
    .sgpr_spill_count: 0
    .symbol:         _ZL13mul_mat_vec_qIL9ggml_type18ELi4ELb0ELb0EEvPKvS2_PKi31ggml_cuda_mm_fusion_args_devicePfj15HIP_vector_typeIjLj3EEjjjS8_jjjS8_jjjj.kd
    .uniform_work_group_size: 1
    .uses_dynamic_stack: false
    .vgpr_count:     68
    .vgpr_spill_count: 0
    .wavefront_size: 64
  - .agpr_count:     0
    .args:
      - .address_space:  global
        .offset:         0
        .size:           8
        .value_kind:     global_buffer
      - .address_space:  global
        .offset:         8
        .size:           8
        .value_kind:     global_buffer
      - .address_space:  global
        .offset:         16
        .size:           8
        .value_kind:     global_buffer
      - .offset:         24
        .size:           32
        .value_kind:     by_value
      - .address_space:  global
        .offset:         56
        .size:           8
        .value_kind:     global_buffer
      - .offset:         64
        .size:           4
        .value_kind:     by_value
      - .offset:         68
        .size:           12
        .value_kind:     by_value
      - .offset:         80
        .size:           4
        .value_kind:     by_value
      - .offset:         84
        .size:           4
        .value_kind:     by_value
      - .offset:         88
        .size:           4
        .value_kind:     by_value
      - .offset:         92
        .size:           12
        .value_kind:     by_value
      - .offset:         104
        .size:           4
        .value_kind:     by_value
      - .offset:         108
        .size:           4
        .value_kind:     by_value
      - .offset:         112
        .size:           4
        .value_kind:     by_value
      - .offset:         116
        .size:           12
        .value_kind:     by_value
      - .offset:         128
        .size:           4
        .value_kind:     by_value
      - .offset:         132
        .size:           4
        .value_kind:     by_value
      - .offset:         136
        .size:           4
        .value_kind:     by_value
      - .offset:         140
        .size:           4
        .value_kind:     by_value
    .group_segment_fixed_size: 0
    .kernarg_segment_align: 8
    .kernarg_segment_size: 144
    .language:       OpenCL C
    .language_version:
      - 2
      - 0
    .max_flat_workgroup_size: 64
    .name:           _ZL13mul_mat_vec_qIL9ggml_type18ELi5ELb0ELb0EEvPKvS2_PKi31ggml_cuda_mm_fusion_args_devicePfj15HIP_vector_typeIjLj3EEjjjS8_jjjS8_jjjj
    .private_segment_fixed_size: 48
    .sgpr_count:     38
    .sgpr_spill_count: 0
    .symbol:         _ZL13mul_mat_vec_qIL9ggml_type18ELi5ELb0ELb0EEvPKvS2_PKi31ggml_cuda_mm_fusion_args_devicePfj15HIP_vector_typeIjLj3EEjjjS8_jjjS8_jjjj.kd
    .uniform_work_group_size: 1
    .uses_dynamic_stack: false
    .vgpr_count:     68
    .vgpr_spill_count: 0
    .wavefront_size: 64
  - .agpr_count:     0
    .args:
      - .address_space:  global
        .offset:         0
        .size:           8
        .value_kind:     global_buffer
      - .address_space:  global
        .offset:         8
        .size:           8
        .value_kind:     global_buffer
      - .address_space:  global
        .offset:         16
        .size:           8
        .value_kind:     global_buffer
      - .offset:         24
        .size:           32
        .value_kind:     by_value
      - .address_space:  global
        .offset:         56
        .size:           8
        .value_kind:     global_buffer
      - .offset:         64
        .size:           4
        .value_kind:     by_value
      - .offset:         68
        .size:           12
        .value_kind:     by_value
      - .offset:         80
        .size:           4
        .value_kind:     by_value
      - .offset:         84
        .size:           4
        .value_kind:     by_value
      - .offset:         88
        .size:           4
        .value_kind:     by_value
      - .offset:         92
        .size:           12
        .value_kind:     by_value
      - .offset:         104
        .size:           4
        .value_kind:     by_value
      - .offset:         108
        .size:           4
        .value_kind:     by_value
      - .offset:         112
        .size:           4
        .value_kind:     by_value
      - .offset:         116
        .size:           12
        .value_kind:     by_value
      - .offset:         128
        .size:           4
        .value_kind:     by_value
      - .offset:         132
        .size:           4
        .value_kind:     by_value
      - .offset:         136
        .size:           4
        .value_kind:     by_value
      - .offset:         140
        .size:           4
        .value_kind:     by_value
    .group_segment_fixed_size: 0
    .kernarg_segment_align: 8
    .kernarg_segment_size: 144
    .language:       OpenCL C
    .language_version:
      - 2
      - 0
    .max_flat_workgroup_size: 64
    .name:           _ZL13mul_mat_vec_qIL9ggml_type18ELi6ELb0ELb0EEvPKvS2_PKi31ggml_cuda_mm_fusion_args_devicePfj15HIP_vector_typeIjLj3EEjjjS8_jjjS8_jjjj
    .private_segment_fixed_size: 64
    .sgpr_count:     38
    .sgpr_spill_count: 0
    .symbol:         _ZL13mul_mat_vec_qIL9ggml_type18ELi6ELb0ELb0EEvPKvS2_PKi31ggml_cuda_mm_fusion_args_devicePfj15HIP_vector_typeIjLj3EEjjjS8_jjjS8_jjjj.kd
    .uniform_work_group_size: 1
    .uses_dynamic_stack: false
    .vgpr_count:     70
    .vgpr_spill_count: 0
    .wavefront_size: 64
  - .agpr_count:     0
    .args:
      - .address_space:  global
        .offset:         0
        .size:           8
        .value_kind:     global_buffer
      - .address_space:  global
        .offset:         8
        .size:           8
        .value_kind:     global_buffer
      - .address_space:  global
        .offset:         16
        .size:           8
        .value_kind:     global_buffer
      - .offset:         24
        .size:           32
        .value_kind:     by_value
      - .address_space:  global
        .offset:         56
        .size:           8
        .value_kind:     global_buffer
      - .offset:         64
        .size:           4
        .value_kind:     by_value
      - .offset:         68
        .size:           12
        .value_kind:     by_value
      - .offset:         80
        .size:           4
        .value_kind:     by_value
      - .offset:         84
        .size:           4
        .value_kind:     by_value
      - .offset:         88
        .size:           4
        .value_kind:     by_value
      - .offset:         92
        .size:           12
        .value_kind:     by_value
      - .offset:         104
        .size:           4
        .value_kind:     by_value
      - .offset:         108
        .size:           4
        .value_kind:     by_value
      - .offset:         112
        .size:           4
        .value_kind:     by_value
      - .offset:         116
        .size:           12
        .value_kind:     by_value
      - .offset:         128
        .size:           4
        .value_kind:     by_value
      - .offset:         132
        .size:           4
        .value_kind:     by_value
      - .offset:         136
        .size:           4
        .value_kind:     by_value
      - .offset:         140
        .size:           4
        .value_kind:     by_value
    .group_segment_fixed_size: 0
    .kernarg_segment_align: 8
    .kernarg_segment_size: 144
    .language:       OpenCL C
    .language_version:
      - 2
      - 0
    .max_flat_workgroup_size: 64
    .name:           _ZL13mul_mat_vec_qIL9ggml_type18ELi7ELb0ELb0EEvPKvS2_PKi31ggml_cuda_mm_fusion_args_devicePfj15HIP_vector_typeIjLj3EEjjjS8_jjjS8_jjjj
    .private_segment_fixed_size: 64
    .sgpr_count:     42
    .sgpr_spill_count: 0
    .symbol:         _ZL13mul_mat_vec_qIL9ggml_type18ELi7ELb0ELb0EEvPKvS2_PKi31ggml_cuda_mm_fusion_args_devicePfj15HIP_vector_typeIjLj3EEjjjS8_jjjS8_jjjj.kd
    .uniform_work_group_size: 1
    .uses_dynamic_stack: false
    .vgpr_count:     95
    .vgpr_spill_count: 0
    .wavefront_size: 64
  - .agpr_count:     0
    .args:
      - .address_space:  global
        .offset:         0
        .size:           8
        .value_kind:     global_buffer
      - .address_space:  global
        .offset:         8
        .size:           8
        .value_kind:     global_buffer
      - .address_space:  global
        .offset:         16
        .size:           8
        .value_kind:     global_buffer
      - .offset:         24
        .size:           32
        .value_kind:     by_value
      - .address_space:  global
        .offset:         56
        .size:           8
        .value_kind:     global_buffer
      - .offset:         64
        .size:           4
        .value_kind:     by_value
      - .offset:         68
        .size:           12
        .value_kind:     by_value
      - .offset:         80
        .size:           4
        .value_kind:     by_value
      - .offset:         84
        .size:           4
        .value_kind:     by_value
      - .offset:         88
        .size:           4
        .value_kind:     by_value
      - .offset:         92
        .size:           12
        .value_kind:     by_value
      - .offset:         104
        .size:           4
        .value_kind:     by_value
      - .offset:         108
        .size:           4
        .value_kind:     by_value
      - .offset:         112
        .size:           4
        .value_kind:     by_value
      - .offset:         116
        .size:           12
        .value_kind:     by_value
      - .offset:         128
        .size:           4
        .value_kind:     by_value
      - .offset:         132
        .size:           4
        .value_kind:     by_value
      - .offset:         136
        .size:           4
        .value_kind:     by_value
      - .offset:         140
        .size:           4
        .value_kind:     by_value
    .group_segment_fixed_size: 0
    .kernarg_segment_align: 8
    .kernarg_segment_size: 144
    .language:       OpenCL C
    .language_version:
      - 2
      - 0
    .max_flat_workgroup_size: 64
    .name:           _ZL13mul_mat_vec_qIL9ggml_type18ELi8ELb0ELb0EEvPKvS2_PKi31ggml_cuda_mm_fusion_args_devicePfj15HIP_vector_typeIjLj3EEjjjS8_jjjS8_jjjj
    .private_segment_fixed_size: 80
    .sgpr_count:     42
    .sgpr_spill_count: 0
    .symbol:         _ZL13mul_mat_vec_qIL9ggml_type18ELi8ELb0ELb0EEvPKvS2_PKi31ggml_cuda_mm_fusion_args_devicePfj15HIP_vector_typeIjLj3EEjjjS8_jjjS8_jjjj.kd
    .uniform_work_group_size: 1
    .uses_dynamic_stack: false
    .vgpr_count:     95
    .vgpr_spill_count: 0
    .wavefront_size: 64
  - .agpr_count:     0
    .args:
      - .address_space:  global
        .offset:         0
        .size:           8
        .value_kind:     global_buffer
      - .address_space:  global
        .offset:         8
        .size:           8
        .value_kind:     global_buffer
      - .address_space:  global
        .offset:         16
        .size:           8
        .value_kind:     global_buffer
      - .address_space:  global
        .offset:         24
        .size:           8
        .value_kind:     global_buffer
      - .offset:         32
        .size:           4
        .value_kind:     by_value
      - .offset:         36
        .size:           12
        .value_kind:     by_value
      - .offset:         48
        .size:           4
        .value_kind:     by_value
      - .offset:         52
        .size:           4
        .value_kind:     by_value
      - .offset:         56
        .size:           4
        .value_kind:     by_value
      - .offset:         60
        .size:           4
        .value_kind:     by_value
      - .offset:         64
        .size:           4
        .value_kind:     by_value
      - .offset:         68
        .size:           4
        .value_kind:     by_value
      - .offset:         72
        .size:           4
        .value_kind:     by_value
      - .offset:         76
        .size:           4
        .value_kind:     by_value
      - .offset:         80
        .size:           4
        .value_kind:     by_value
    .group_segment_fixed_size: 0
    .kernarg_segment_align: 8
    .kernarg_segment_size: 84
    .language:       OpenCL C
    .language_version:
      - 2
      - 0
    .max_flat_workgroup_size: 512
    .name:           _ZL17mul_mat_vec_q_moeIL9ggml_type19ELi2EEvPKvS2_PKiPfj15HIP_vector_typeIjLj3EEjjjjjjjjj
    .private_segment_fixed_size: 0
    .sgpr_count:     37
    .sgpr_spill_count: 0
    .symbol:         _ZL17mul_mat_vec_q_moeIL9ggml_type19ELi2EEvPKvS2_PKiPfj15HIP_vector_typeIjLj3EEjjjjjjjjj.kd
    .uniform_work_group_size: 1
    .uses_dynamic_stack: false
    .vgpr_count:     50
    .vgpr_spill_count: 0
    .wavefront_size: 64
  - .agpr_count:     0
    .args:
      - .address_space:  global
        .offset:         0
        .size:           8
        .value_kind:     global_buffer
      - .address_space:  global
        .offset:         8
        .size:           8
        .value_kind:     global_buffer
      - .address_space:  global
        .offset:         16
        .size:           8
        .value_kind:     global_buffer
      - .offset:         24
        .size:           32
        .value_kind:     by_value
      - .address_space:  global
        .offset:         56
        .size:           8
        .value_kind:     global_buffer
      - .offset:         64
        .size:           4
        .value_kind:     by_value
      - .offset:         68
        .size:           12
        .value_kind:     by_value
      - .offset:         80
        .size:           4
        .value_kind:     by_value
      - .offset:         84
        .size:           4
        .value_kind:     by_value
      - .offset:         88
        .size:           4
        .value_kind:     by_value
      - .offset:         92
        .size:           12
        .value_kind:     by_value
      - .offset:         104
        .size:           4
        .value_kind:     by_value
      - .offset:         108
        .size:           4
        .value_kind:     by_value
      - .offset:         112
        .size:           4
        .value_kind:     by_value
      - .offset:         116
        .size:           12
        .value_kind:     by_value
      - .offset:         128
        .size:           4
        .value_kind:     by_value
      - .offset:         132
        .size:           4
        .value_kind:     by_value
      - .offset:         136
        .size:           4
        .value_kind:     by_value
      - .offset:         140
        .size:           4
        .value_kind:     by_value
    .group_segment_fixed_size: 3072
    .kernarg_segment_align: 8
    .kernarg_segment_size: 144
    .language:       OpenCL C
    .language_version:
      - 2
      - 0
    .max_flat_workgroup_size: 128
    .name:           _ZL13mul_mat_vec_qIL9ggml_type19ELi1ELb1ELb1EEvPKvS2_PKi31ggml_cuda_mm_fusion_args_devicePfj15HIP_vector_typeIjLj3EEjjjS8_jjjS8_jjjj
    .private_segment_fixed_size: 0
    .sgpr_count:     52
    .sgpr_spill_count: 0
    .symbol:         _ZL13mul_mat_vec_qIL9ggml_type19ELi1ELb1ELb1EEvPKvS2_PKi31ggml_cuda_mm_fusion_args_devicePfj15HIP_vector_typeIjLj3EEjjjS8_jjjS8_jjjj.kd
    .uniform_work_group_size: 1
    .uses_dynamic_stack: false
    .vgpr_count:     53
    .vgpr_spill_count: 0
    .wavefront_size: 64
  - .agpr_count:     0
    .args:
      - .address_space:  global
        .offset:         0
        .size:           8
        .value_kind:     global_buffer
      - .address_space:  global
        .offset:         8
        .size:           8
        .value_kind:     global_buffer
      - .address_space:  global
        .offset:         16
        .size:           8
        .value_kind:     global_buffer
      - .offset:         24
        .size:           32
        .value_kind:     by_value
      - .address_space:  global
        .offset:         56
        .size:           8
        .value_kind:     global_buffer
      - .offset:         64
        .size:           4
        .value_kind:     by_value
      - .offset:         68
        .size:           12
        .value_kind:     by_value
      - .offset:         80
        .size:           4
        .value_kind:     by_value
      - .offset:         84
        .size:           4
        .value_kind:     by_value
      - .offset:         88
        .size:           4
        .value_kind:     by_value
      - .offset:         92
        .size:           12
        .value_kind:     by_value
      - .offset:         104
        .size:           4
        .value_kind:     by_value
      - .offset:         108
        .size:           4
        .value_kind:     by_value
      - .offset:         112
        .size:           4
        .value_kind:     by_value
      - .offset:         116
        .size:           12
        .value_kind:     by_value
      - .offset:         128
        .size:           4
        .value_kind:     by_value
      - .offset:         132
        .size:           4
        .value_kind:     by_value
      - .offset:         136
        .size:           4
        .value_kind:     by_value
      - .offset:         140
        .size:           4
        .value_kind:     by_value
    .group_segment_fixed_size: 1536
    .kernarg_segment_align: 8
    .kernarg_segment_size: 144
    .language:       OpenCL C
    .language_version:
      - 2
      - 0
    .max_flat_workgroup_size: 128
    .name:           _ZL13mul_mat_vec_qIL9ggml_type19ELi1ELb0ELb1EEvPKvS2_PKi31ggml_cuda_mm_fusion_args_devicePfj15HIP_vector_typeIjLj3EEjjjS8_jjjS8_jjjj
    .private_segment_fixed_size: 0
    .sgpr_count:     30
    .sgpr_spill_count: 0
    .symbol:         _ZL13mul_mat_vec_qIL9ggml_type19ELi1ELb0ELb1EEvPKvS2_PKi31ggml_cuda_mm_fusion_args_devicePfj15HIP_vector_typeIjLj3EEjjjS8_jjjS8_jjjj.kd
    .uniform_work_group_size: 1
    .uses_dynamic_stack: false
    .vgpr_count:     51
    .vgpr_spill_count: 0
    .wavefront_size: 64
  - .agpr_count:     0
    .args:
      - .address_space:  global
        .offset:         0
        .size:           8
        .value_kind:     global_buffer
      - .address_space:  global
        .offset:         8
        .size:           8
        .value_kind:     global_buffer
      - .address_space:  global
        .offset:         16
        .size:           8
        .value_kind:     global_buffer
      - .offset:         24
        .size:           32
        .value_kind:     by_value
      - .address_space:  global
        .offset:         56
        .size:           8
        .value_kind:     global_buffer
      - .offset:         64
        .size:           4
        .value_kind:     by_value
      - .offset:         68
        .size:           12
        .value_kind:     by_value
      - .offset:         80
        .size:           4
        .value_kind:     by_value
      - .offset:         84
        .size:           4
        .value_kind:     by_value
      - .offset:         88
        .size:           4
        .value_kind:     by_value
      - .offset:         92
        .size:           12
        .value_kind:     by_value
      - .offset:         104
        .size:           4
        .value_kind:     by_value
      - .offset:         108
        .size:           4
        .value_kind:     by_value
      - .offset:         112
        .size:           4
        .value_kind:     by_value
      - .offset:         116
        .size:           12
        .value_kind:     by_value
      - .offset:         128
        .size:           4
        .value_kind:     by_value
      - .offset:         132
        .size:           4
        .value_kind:     by_value
      - .offset:         136
        .size:           4
        .value_kind:     by_value
      - .offset:         140
        .size:           4
        .value_kind:     by_value
    .group_segment_fixed_size: 512
    .kernarg_segment_align: 8
    .kernarg_segment_size: 144
    .language:       OpenCL C
    .language_version:
      - 2
      - 0
    .max_flat_workgroup_size: 128
    .name:           _ZL13mul_mat_vec_qIL9ggml_type19ELi1ELb1ELb0EEvPKvS2_PKi31ggml_cuda_mm_fusion_args_devicePfj15HIP_vector_typeIjLj3EEjjjS8_jjjS8_jjjj
    .private_segment_fixed_size: 0
    .sgpr_count:     50
    .sgpr_spill_count: 0
    .symbol:         _ZL13mul_mat_vec_qIL9ggml_type19ELi1ELb1ELb0EEvPKvS2_PKi31ggml_cuda_mm_fusion_args_devicePfj15HIP_vector_typeIjLj3EEjjjS8_jjjS8_jjjj.kd
    .uniform_work_group_size: 1
    .uses_dynamic_stack: false
    .vgpr_count:     43
    .vgpr_spill_count: 0
    .wavefront_size: 64
  - .agpr_count:     0
    .args:
      - .address_space:  global
        .offset:         0
        .size:           8
        .value_kind:     global_buffer
      - .address_space:  global
        .offset:         8
        .size:           8
        .value_kind:     global_buffer
      - .address_space:  global
        .offset:         16
        .size:           8
        .value_kind:     global_buffer
      - .offset:         24
        .size:           32
        .value_kind:     by_value
      - .address_space:  global
        .offset:         56
        .size:           8
        .value_kind:     global_buffer
      - .offset:         64
        .size:           4
        .value_kind:     by_value
      - .offset:         68
        .size:           12
        .value_kind:     by_value
      - .offset:         80
        .size:           4
        .value_kind:     by_value
      - .offset:         84
        .size:           4
        .value_kind:     by_value
      - .offset:         88
        .size:           4
        .value_kind:     by_value
      - .offset:         92
        .size:           12
        .value_kind:     by_value
      - .offset:         104
        .size:           4
        .value_kind:     by_value
      - .offset:         108
        .size:           4
        .value_kind:     by_value
      - .offset:         112
        .size:           4
        .value_kind:     by_value
      - .offset:         116
        .size:           12
        .value_kind:     by_value
      - .offset:         128
        .size:           4
        .value_kind:     by_value
      - .offset:         132
        .size:           4
        .value_kind:     by_value
      - .offset:         136
        .size:           4
        .value_kind:     by_value
      - .offset:         140
        .size:           4
        .value_kind:     by_value
    .group_segment_fixed_size: 256
    .kernarg_segment_align: 8
    .kernarg_segment_size: 144
    .language:       OpenCL C
    .language_version:
      - 2
      - 0
    .max_flat_workgroup_size: 128
    .name:           _ZL13mul_mat_vec_qIL9ggml_type19ELi1ELb0ELb0EEvPKvS2_PKi31ggml_cuda_mm_fusion_args_devicePfj15HIP_vector_typeIjLj3EEjjjS8_jjjS8_jjjj
    .private_segment_fixed_size: 0
    .sgpr_count:     30
    .sgpr_spill_count: 0
    .symbol:         _ZL13mul_mat_vec_qIL9ggml_type19ELi1ELb0ELb0EEvPKvS2_PKi31ggml_cuda_mm_fusion_args_devicePfj15HIP_vector_typeIjLj3EEjjjS8_jjjS8_jjjj.kd
    .uniform_work_group_size: 1
    .uses_dynamic_stack: false
    .vgpr_count:     33
    .vgpr_spill_count: 0
    .wavefront_size: 64
  - .agpr_count:     0
    .args:
      - .address_space:  global
        .offset:         0
        .size:           8
        .value_kind:     global_buffer
      - .address_space:  global
        .offset:         8
        .size:           8
        .value_kind:     global_buffer
      - .address_space:  global
        .offset:         16
        .size:           8
        .value_kind:     global_buffer
      - .offset:         24
        .size:           32
        .value_kind:     by_value
      - .address_space:  global
        .offset:         56
        .size:           8
        .value_kind:     global_buffer
      - .offset:         64
        .size:           4
        .value_kind:     by_value
      - .offset:         68
        .size:           12
        .value_kind:     by_value
      - .offset:         80
        .size:           4
        .value_kind:     by_value
      - .offset:         84
        .size:           4
        .value_kind:     by_value
      - .offset:         88
        .size:           4
        .value_kind:     by_value
      - .offset:         92
        .size:           12
        .value_kind:     by_value
      - .offset:         104
        .size:           4
        .value_kind:     by_value
      - .offset:         108
        .size:           4
        .value_kind:     by_value
      - .offset:         112
        .size:           4
        .value_kind:     by_value
      - .offset:         116
        .size:           12
        .value_kind:     by_value
      - .offset:         128
        .size:           4
        .value_kind:     by_value
      - .offset:         132
        .size:           4
        .value_kind:     by_value
      - .offset:         136
        .size:           4
        .value_kind:     by_value
      - .offset:         140
        .size:           4
        .value_kind:     by_value
    .group_segment_fixed_size: 3072
    .kernarg_segment_align: 8
    .kernarg_segment_size: 144
    .language:       OpenCL C
    .language_version:
      - 2
      - 0
    .max_flat_workgroup_size: 128
    .name:           _ZL13mul_mat_vec_qIL9ggml_type19ELi2ELb0ELb0EEvPKvS2_PKi31ggml_cuda_mm_fusion_args_devicePfj15HIP_vector_typeIjLj3EEjjjS8_jjjS8_jjjj
    .private_segment_fixed_size: 0
    .sgpr_count:     36
    .sgpr_spill_count: 0
    .symbol:         _ZL13mul_mat_vec_qIL9ggml_type19ELi2ELb0ELb0EEvPKvS2_PKi31ggml_cuda_mm_fusion_args_devicePfj15HIP_vector_typeIjLj3EEjjjS8_jjjS8_jjjj.kd
    .uniform_work_group_size: 1
    .uses_dynamic_stack: false
    .vgpr_count:     59
    .vgpr_spill_count: 0
    .wavefront_size: 64
  - .agpr_count:     0
    .args:
      - .address_space:  global
        .offset:         0
        .size:           8
        .value_kind:     global_buffer
      - .address_space:  global
        .offset:         8
        .size:           8
        .value_kind:     global_buffer
      - .address_space:  global
        .offset:         16
        .size:           8
        .value_kind:     global_buffer
      - .offset:         24
        .size:           32
        .value_kind:     by_value
      - .address_space:  global
        .offset:         56
        .size:           8
        .value_kind:     global_buffer
      - .offset:         64
        .size:           4
        .value_kind:     by_value
      - .offset:         68
        .size:           12
        .value_kind:     by_value
      - .offset:         80
        .size:           4
        .value_kind:     by_value
      - .offset:         84
        .size:           4
        .value_kind:     by_value
      - .offset:         88
        .size:           4
        .value_kind:     by_value
      - .offset:         92
        .size:           12
        .value_kind:     by_value
      - .offset:         104
        .size:           4
        .value_kind:     by_value
      - .offset:         108
        .size:           4
        .value_kind:     by_value
      - .offset:         112
        .size:           4
        .value_kind:     by_value
      - .offset:         116
        .size:           12
        .value_kind:     by_value
      - .offset:         128
        .size:           4
        .value_kind:     by_value
      - .offset:         132
        .size:           4
        .value_kind:     by_value
      - .offset:         136
        .size:           4
        .value_kind:     by_value
      - .offset:         140
        .size:           4
        .value_kind:     by_value
    .group_segment_fixed_size: 1536
    .kernarg_segment_align: 8
    .kernarg_segment_size: 144
    .language:       OpenCL C
    .language_version:
      - 2
      - 0
    .max_flat_workgroup_size: 128
    .name:           _ZL13mul_mat_vec_qIL9ggml_type19ELi3ELb0ELb0EEvPKvS2_PKi31ggml_cuda_mm_fusion_args_devicePfj15HIP_vector_typeIjLj3EEjjjS8_jjjS8_jjjj
    .private_segment_fixed_size: 32
    .sgpr_count:     36
    .sgpr_spill_count: 0
    .symbol:         _ZL13mul_mat_vec_qIL9ggml_type19ELi3ELb0ELb0EEvPKvS2_PKi31ggml_cuda_mm_fusion_args_devicePfj15HIP_vector_typeIjLj3EEjjjS8_jjjS8_jjjj.kd
    .uniform_work_group_size: 1
    .uses_dynamic_stack: false
    .vgpr_count:     66
    .vgpr_spill_count: 0
    .wavefront_size: 64
  - .agpr_count:     0
    .args:
      - .address_space:  global
        .offset:         0
        .size:           8
        .value_kind:     global_buffer
      - .address_space:  global
        .offset:         8
        .size:           8
        .value_kind:     global_buffer
      - .address_space:  global
        .offset:         16
        .size:           8
        .value_kind:     global_buffer
      - .offset:         24
        .size:           32
        .value_kind:     by_value
      - .address_space:  global
        .offset:         56
        .size:           8
        .value_kind:     global_buffer
      - .offset:         64
        .size:           4
        .value_kind:     by_value
      - .offset:         68
        .size:           12
        .value_kind:     by_value
      - .offset:         80
        .size:           4
        .value_kind:     by_value
      - .offset:         84
        .size:           4
        .value_kind:     by_value
      - .offset:         88
        .size:           4
        .value_kind:     by_value
      - .offset:         92
        .size:           12
        .value_kind:     by_value
      - .offset:         104
        .size:           4
        .value_kind:     by_value
      - .offset:         108
        .size:           4
        .value_kind:     by_value
      - .offset:         112
        .size:           4
        .value_kind:     by_value
      - .offset:         116
        .size:           12
        .value_kind:     by_value
      - .offset:         128
        .size:           4
        .value_kind:     by_value
      - .offset:         132
        .size:           4
        .value_kind:     by_value
      - .offset:         136
        .size:           4
        .value_kind:     by_value
      - .offset:         140
        .size:           4
        .value_kind:     by_value
    .group_segment_fixed_size: 2048
    .kernarg_segment_align: 8
    .kernarg_segment_size: 144
    .language:       OpenCL C
    .language_version:
      - 2
      - 0
    .max_flat_workgroup_size: 128
    .name:           _ZL13mul_mat_vec_qIL9ggml_type19ELi4ELb0ELb0EEvPKvS2_PKi31ggml_cuda_mm_fusion_args_devicePfj15HIP_vector_typeIjLj3EEjjjS8_jjjS8_jjjj
    .private_segment_fixed_size: 48
    .sgpr_count:     36
    .sgpr_spill_count: 0
    .symbol:         _ZL13mul_mat_vec_qIL9ggml_type19ELi4ELb0ELb0EEvPKvS2_PKi31ggml_cuda_mm_fusion_args_devicePfj15HIP_vector_typeIjLj3EEjjjS8_jjjS8_jjjj.kd
    .uniform_work_group_size: 1
    .uses_dynamic_stack: false
    .vgpr_count:     63
    .vgpr_spill_count: 0
    .wavefront_size: 64
  - .agpr_count:     0
    .args:
      - .address_space:  global
        .offset:         0
        .size:           8
        .value_kind:     global_buffer
      - .address_space:  global
        .offset:         8
        .size:           8
        .value_kind:     global_buffer
      - .address_space:  global
        .offset:         16
        .size:           8
        .value_kind:     global_buffer
      - .offset:         24
        .size:           32
        .value_kind:     by_value
      - .address_space:  global
        .offset:         56
        .size:           8
        .value_kind:     global_buffer
      - .offset:         64
        .size:           4
        .value_kind:     by_value
      - .offset:         68
        .size:           12
        .value_kind:     by_value
      - .offset:         80
        .size:           4
        .value_kind:     by_value
      - .offset:         84
        .size:           4
        .value_kind:     by_value
      - .offset:         88
        .size:           4
        .value_kind:     by_value
      - .offset:         92
        .size:           12
        .value_kind:     by_value
      - .offset:         104
        .size:           4
        .value_kind:     by_value
      - .offset:         108
        .size:           4
        .value_kind:     by_value
      - .offset:         112
        .size:           4
        .value_kind:     by_value
      - .offset:         116
        .size:           12
        .value_kind:     by_value
      - .offset:         128
        .size:           4
        .value_kind:     by_value
      - .offset:         132
        .size:           4
        .value_kind:     by_value
      - .offset:         136
        .size:           4
        .value_kind:     by_value
      - .offset:         140
        .size:           4
        .value_kind:     by_value
    .group_segment_fixed_size: 0
    .kernarg_segment_align: 8
    .kernarg_segment_size: 144
    .language:       OpenCL C
    .language_version:
      - 2
      - 0
    .max_flat_workgroup_size: 64
    .name:           _ZL13mul_mat_vec_qIL9ggml_type19ELi5ELb0ELb0EEvPKvS2_PKi31ggml_cuda_mm_fusion_args_devicePfj15HIP_vector_typeIjLj3EEjjjS8_jjjS8_jjjj
    .private_segment_fixed_size: 48
    .sgpr_count:     36
    .sgpr_spill_count: 0
    .symbol:         _ZL13mul_mat_vec_qIL9ggml_type19ELi5ELb0ELb0EEvPKvS2_PKi31ggml_cuda_mm_fusion_args_devicePfj15HIP_vector_typeIjLj3EEjjjS8_jjjS8_jjjj.kd
    .uniform_work_group_size: 1
    .uses_dynamic_stack: false
    .vgpr_count:     56
    .vgpr_spill_count: 0
    .wavefront_size: 64
  - .agpr_count:     0
    .args:
      - .address_space:  global
        .offset:         0
        .size:           8
        .value_kind:     global_buffer
      - .address_space:  global
        .offset:         8
        .size:           8
        .value_kind:     global_buffer
      - .address_space:  global
        .offset:         16
        .size:           8
        .value_kind:     global_buffer
      - .offset:         24
        .size:           32
        .value_kind:     by_value
      - .address_space:  global
        .offset:         56
        .size:           8
        .value_kind:     global_buffer
      - .offset:         64
        .size:           4
        .value_kind:     by_value
      - .offset:         68
        .size:           12
        .value_kind:     by_value
      - .offset:         80
        .size:           4
        .value_kind:     by_value
      - .offset:         84
        .size:           4
        .value_kind:     by_value
      - .offset:         88
        .size:           4
        .value_kind:     by_value
      - .offset:         92
        .size:           12
        .value_kind:     by_value
      - .offset:         104
        .size:           4
        .value_kind:     by_value
      - .offset:         108
        .size:           4
        .value_kind:     by_value
      - .offset:         112
        .size:           4
        .value_kind:     by_value
      - .offset:         116
        .size:           12
        .value_kind:     by_value
      - .offset:         128
        .size:           4
        .value_kind:     by_value
      - .offset:         132
        .size:           4
        .value_kind:     by_value
      - .offset:         136
        .size:           4
        .value_kind:     by_value
      - .offset:         140
        .size:           4
        .value_kind:     by_value
    .group_segment_fixed_size: 0
    .kernarg_segment_align: 8
    .kernarg_segment_size: 144
    .language:       OpenCL C
    .language_version:
      - 2
      - 0
    .max_flat_workgroup_size: 64
    .name:           _ZL13mul_mat_vec_qIL9ggml_type19ELi6ELb0ELb0EEvPKvS2_PKi31ggml_cuda_mm_fusion_args_devicePfj15HIP_vector_typeIjLj3EEjjjS8_jjjS8_jjjj
    .private_segment_fixed_size: 64
    .sgpr_count:     38
    .sgpr_spill_count: 0
    .symbol:         _ZL13mul_mat_vec_qIL9ggml_type19ELi6ELb0ELb0EEvPKvS2_PKi31ggml_cuda_mm_fusion_args_devicePfj15HIP_vector_typeIjLj3EEjjjS8_jjjS8_jjjj.kd
    .uniform_work_group_size: 1
    .uses_dynamic_stack: false
    .vgpr_count:     56
    .vgpr_spill_count: 0
    .wavefront_size: 64
  - .agpr_count:     0
    .args:
      - .address_space:  global
        .offset:         0
        .size:           8
        .value_kind:     global_buffer
      - .address_space:  global
        .offset:         8
        .size:           8
        .value_kind:     global_buffer
      - .address_space:  global
        .offset:         16
        .size:           8
        .value_kind:     global_buffer
      - .offset:         24
        .size:           32
        .value_kind:     by_value
      - .address_space:  global
        .offset:         56
        .size:           8
        .value_kind:     global_buffer
      - .offset:         64
        .size:           4
        .value_kind:     by_value
      - .offset:         68
        .size:           12
        .value_kind:     by_value
      - .offset:         80
        .size:           4
        .value_kind:     by_value
      - .offset:         84
        .size:           4
        .value_kind:     by_value
      - .offset:         88
        .size:           4
        .value_kind:     by_value
      - .offset:         92
        .size:           12
        .value_kind:     by_value
      - .offset:         104
        .size:           4
        .value_kind:     by_value
      - .offset:         108
        .size:           4
        .value_kind:     by_value
      - .offset:         112
        .size:           4
        .value_kind:     by_value
      - .offset:         116
        .size:           12
        .value_kind:     by_value
      - .offset:         128
        .size:           4
        .value_kind:     by_value
      - .offset:         132
        .size:           4
        .value_kind:     by_value
      - .offset:         136
        .size:           4
        .value_kind:     by_value
      - .offset:         140
        .size:           4
        .value_kind:     by_value
    .group_segment_fixed_size: 0
    .kernarg_segment_align: 8
    .kernarg_segment_size: 144
    .language:       OpenCL C
    .language_version:
      - 2
      - 0
    .max_flat_workgroup_size: 64
    .name:           _ZL13mul_mat_vec_qIL9ggml_type19ELi7ELb0ELb0EEvPKvS2_PKi31ggml_cuda_mm_fusion_args_devicePfj15HIP_vector_typeIjLj3EEjjjS8_jjjS8_jjjj
    .private_segment_fixed_size: 64
    .sgpr_count:     38
    .sgpr_spill_count: 0
    .symbol:         _ZL13mul_mat_vec_qIL9ggml_type19ELi7ELb0ELb0EEvPKvS2_PKi31ggml_cuda_mm_fusion_args_devicePfj15HIP_vector_typeIjLj3EEjjjS8_jjjS8_jjjj.kd
    .uniform_work_group_size: 1
    .uses_dynamic_stack: false
    .vgpr_count:     58
    .vgpr_spill_count: 0
    .wavefront_size: 64
  - .agpr_count:     0
    .args:
      - .address_space:  global
        .offset:         0
        .size:           8
        .value_kind:     global_buffer
      - .address_space:  global
        .offset:         8
        .size:           8
        .value_kind:     global_buffer
      - .address_space:  global
        .offset:         16
        .size:           8
        .value_kind:     global_buffer
      - .offset:         24
        .size:           32
        .value_kind:     by_value
      - .address_space:  global
        .offset:         56
        .size:           8
        .value_kind:     global_buffer
      - .offset:         64
        .size:           4
        .value_kind:     by_value
      - .offset:         68
        .size:           12
        .value_kind:     by_value
      - .offset:         80
        .size:           4
        .value_kind:     by_value
      - .offset:         84
        .size:           4
        .value_kind:     by_value
      - .offset:         88
        .size:           4
        .value_kind:     by_value
      - .offset:         92
        .size:           12
        .value_kind:     by_value
      - .offset:         104
        .size:           4
        .value_kind:     by_value
      - .offset:         108
        .size:           4
        .value_kind:     by_value
      - .offset:         112
        .size:           4
        .value_kind:     by_value
      - .offset:         116
        .size:           12
        .value_kind:     by_value
      - .offset:         128
        .size:           4
        .value_kind:     by_value
      - .offset:         132
        .size:           4
        .value_kind:     by_value
      - .offset:         136
        .size:           4
        .value_kind:     by_value
      - .offset:         140
        .size:           4
        .value_kind:     by_value
    .group_segment_fixed_size: 0
    .kernarg_segment_align: 8
    .kernarg_segment_size: 144
    .language:       OpenCL C
    .language_version:
      - 2
      - 0
    .max_flat_workgroup_size: 64
    .name:           _ZL13mul_mat_vec_qIL9ggml_type19ELi8ELb0ELb0EEvPKvS2_PKi31ggml_cuda_mm_fusion_args_devicePfj15HIP_vector_typeIjLj3EEjjjS8_jjjS8_jjjj
    .private_segment_fixed_size: 80
    .sgpr_count:     38
    .sgpr_spill_count: 0
    .symbol:         _ZL13mul_mat_vec_qIL9ggml_type19ELi8ELb0ELb0EEvPKvS2_PKi31ggml_cuda_mm_fusion_args_devicePfj15HIP_vector_typeIjLj3EEjjjS8_jjjS8_jjjj.kd
    .uniform_work_group_size: 1
    .uses_dynamic_stack: false
    .vgpr_count:     60
    .vgpr_spill_count: 0
    .wavefront_size: 64
  - .agpr_count:     0
    .args:
      - .address_space:  global
        .offset:         0
        .size:           8
        .value_kind:     global_buffer
      - .address_space:  global
        .offset:         8
        .size:           8
        .value_kind:     global_buffer
      - .address_space:  global
        .offset:         16
        .size:           8
        .value_kind:     global_buffer
      - .address_space:  global
        .offset:         24
        .size:           8
        .value_kind:     global_buffer
      - .offset:         32
        .size:           4
        .value_kind:     by_value
      - .offset:         36
        .size:           12
        .value_kind:     by_value
      - .offset:         48
        .size:           4
        .value_kind:     by_value
      - .offset:         52
        .size:           4
        .value_kind:     by_value
      - .offset:         56
        .size:           4
        .value_kind:     by_value
      - .offset:         60
        .size:           4
        .value_kind:     by_value
      - .offset:         64
        .size:           4
        .value_kind:     by_value
      - .offset:         68
        .size:           4
        .value_kind:     by_value
      - .offset:         72
        .size:           4
        .value_kind:     by_value
      - .offset:         76
        .size:           4
        .value_kind:     by_value
      - .offset:         80
        .size:           4
        .value_kind:     by_value
    .group_segment_fixed_size: 0
    .kernarg_segment_align: 8
    .kernarg_segment_size: 84
    .language:       OpenCL C
    .language_version:
      - 2
      - 0
    .max_flat_workgroup_size: 512
    .name:           _ZL17mul_mat_vec_q_moeIL9ggml_type29ELi2EEvPKvS2_PKiPfj15HIP_vector_typeIjLj3EEjjjjjjjjj
    .private_segment_fixed_size: 0
    .sgpr_count:     41
    .sgpr_spill_count: 0
    .symbol:         _ZL17mul_mat_vec_q_moeIL9ggml_type29ELi2EEvPKvS2_PKiPfj15HIP_vector_typeIjLj3EEjjjjjjjjj.kd
    .uniform_work_group_size: 1
    .uses_dynamic_stack: false
    .vgpr_count:     67
    .vgpr_spill_count: 0
    .wavefront_size: 64
  - .agpr_count:     0
    .args:
      - .address_space:  global
        .offset:         0
        .size:           8
        .value_kind:     global_buffer
      - .address_space:  global
        .offset:         8
        .size:           8
        .value_kind:     global_buffer
      - .address_space:  global
        .offset:         16
        .size:           8
        .value_kind:     global_buffer
      - .offset:         24
        .size:           32
        .value_kind:     by_value
      - .address_space:  global
        .offset:         56
        .size:           8
        .value_kind:     global_buffer
      - .offset:         64
        .size:           4
        .value_kind:     by_value
      - .offset:         68
        .size:           12
        .value_kind:     by_value
      - .offset:         80
        .size:           4
        .value_kind:     by_value
      - .offset:         84
        .size:           4
        .value_kind:     by_value
      - .offset:         88
        .size:           4
        .value_kind:     by_value
      - .offset:         92
        .size:           12
        .value_kind:     by_value
      - .offset:         104
        .size:           4
        .value_kind:     by_value
      - .offset:         108
        .size:           4
        .value_kind:     by_value
      - .offset:         112
        .size:           4
        .value_kind:     by_value
      - .offset:         116
        .size:           12
        .value_kind:     by_value
      - .offset:         128
        .size:           4
        .value_kind:     by_value
      - .offset:         132
        .size:           4
        .value_kind:     by_value
      - .offset:         136
        .size:           4
        .value_kind:     by_value
      - .offset:         140
        .size:           4
        .value_kind:     by_value
    .group_segment_fixed_size: 3072
    .kernarg_segment_align: 8
    .kernarg_segment_size: 144
    .language:       OpenCL C
    .language_version:
      - 2
      - 0
    .max_flat_workgroup_size: 128
    .name:           _ZL13mul_mat_vec_qIL9ggml_type29ELi1ELb1ELb1EEvPKvS2_PKi31ggml_cuda_mm_fusion_args_devicePfj15HIP_vector_typeIjLj3EEjjjS8_jjjS8_jjjj
    .private_segment_fixed_size: 0
    .sgpr_count:     52
    .sgpr_spill_count: 0
    .symbol:         _ZL13mul_mat_vec_qIL9ggml_type29ELi1ELb1ELb1EEvPKvS2_PKi31ggml_cuda_mm_fusion_args_devicePfj15HIP_vector_typeIjLj3EEjjjS8_jjjS8_jjjj.kd
    .uniform_work_group_size: 1
    .uses_dynamic_stack: false
    .vgpr_count:     67
    .vgpr_spill_count: 0
    .wavefront_size: 64
  - .agpr_count:     0
    .args:
      - .address_space:  global
        .offset:         0
        .size:           8
        .value_kind:     global_buffer
      - .address_space:  global
        .offset:         8
        .size:           8
        .value_kind:     global_buffer
      - .address_space:  global
        .offset:         16
        .size:           8
        .value_kind:     global_buffer
      - .offset:         24
        .size:           32
        .value_kind:     by_value
      - .address_space:  global
        .offset:         56
        .size:           8
        .value_kind:     global_buffer
      - .offset:         64
        .size:           4
        .value_kind:     by_value
      - .offset:         68
        .size:           12
        .value_kind:     by_value
      - .offset:         80
        .size:           4
        .value_kind:     by_value
      - .offset:         84
        .size:           4
        .value_kind:     by_value
      - .offset:         88
        .size:           4
        .value_kind:     by_value
      - .offset:         92
        .size:           12
        .value_kind:     by_value
      - .offset:         104
        .size:           4
        .value_kind:     by_value
      - .offset:         108
        .size:           4
        .value_kind:     by_value
      - .offset:         112
        .size:           4
        .value_kind:     by_value
      - .offset:         116
        .size:           12
        .value_kind:     by_value
      - .offset:         128
        .size:           4
        .value_kind:     by_value
      - .offset:         132
        .size:           4
        .value_kind:     by_value
      - .offset:         136
        .size:           4
        .value_kind:     by_value
      - .offset:         140
        .size:           4
        .value_kind:     by_value
    .group_segment_fixed_size: 1536
    .kernarg_segment_align: 8
    .kernarg_segment_size: 144
    .language:       OpenCL C
    .language_version:
      - 2
      - 0
    .max_flat_workgroup_size: 128
    .name:           _ZL13mul_mat_vec_qIL9ggml_type29ELi1ELb0ELb1EEvPKvS2_PKi31ggml_cuda_mm_fusion_args_devicePfj15HIP_vector_typeIjLj3EEjjjS8_jjjS8_jjjj
    .private_segment_fixed_size: 0
    .sgpr_count:     34
    .sgpr_spill_count: 0
    .symbol:         _ZL13mul_mat_vec_qIL9ggml_type29ELi1ELb0ELb1EEvPKvS2_PKi31ggml_cuda_mm_fusion_args_devicePfj15HIP_vector_typeIjLj3EEjjjS8_jjjS8_jjjj.kd
    .uniform_work_group_size: 1
    .uses_dynamic_stack: false
    .vgpr_count:     64
    .vgpr_spill_count: 0
    .wavefront_size: 64
  - .agpr_count:     0
    .args:
      - .address_space:  global
        .offset:         0
        .size:           8
        .value_kind:     global_buffer
      - .address_space:  global
        .offset:         8
        .size:           8
        .value_kind:     global_buffer
      - .address_space:  global
        .offset:         16
        .size:           8
        .value_kind:     global_buffer
      - .offset:         24
        .size:           32
        .value_kind:     by_value
      - .address_space:  global
        .offset:         56
        .size:           8
        .value_kind:     global_buffer
      - .offset:         64
        .size:           4
        .value_kind:     by_value
      - .offset:         68
        .size:           12
        .value_kind:     by_value
      - .offset:         80
        .size:           4
        .value_kind:     by_value
      - .offset:         84
        .size:           4
        .value_kind:     by_value
      - .offset:         88
        .size:           4
        .value_kind:     by_value
      - .offset:         92
        .size:           12
        .value_kind:     by_value
      - .offset:         104
        .size:           4
        .value_kind:     by_value
      - .offset:         108
        .size:           4
        .value_kind:     by_value
      - .offset:         112
        .size:           4
        .value_kind:     by_value
      - .offset:         116
        .size:           12
        .value_kind:     by_value
      - .offset:         128
        .size:           4
        .value_kind:     by_value
      - .offset:         132
        .size:           4
        .value_kind:     by_value
      - .offset:         136
        .size:           4
        .value_kind:     by_value
      - .offset:         140
        .size:           4
        .value_kind:     by_value
    .group_segment_fixed_size: 512
    .kernarg_segment_align: 8
    .kernarg_segment_size: 144
    .language:       OpenCL C
    .language_version:
      - 2
      - 0
    .max_flat_workgroup_size: 128
    .name:           _ZL13mul_mat_vec_qIL9ggml_type29ELi1ELb1ELb0EEvPKvS2_PKi31ggml_cuda_mm_fusion_args_devicePfj15HIP_vector_typeIjLj3EEjjjS8_jjjS8_jjjj
    .private_segment_fixed_size: 0
    .sgpr_count:     50
    .sgpr_spill_count: 0
    .symbol:         _ZL13mul_mat_vec_qIL9ggml_type29ELi1ELb1ELb0EEvPKvS2_PKi31ggml_cuda_mm_fusion_args_devicePfj15HIP_vector_typeIjLj3EEjjjS8_jjjS8_jjjj.kd
    .uniform_work_group_size: 1
    .uses_dynamic_stack: false
    .vgpr_count:     58
    .vgpr_spill_count: 0
    .wavefront_size: 64
  - .agpr_count:     0
    .args:
      - .address_space:  global
        .offset:         0
        .size:           8
        .value_kind:     global_buffer
      - .address_space:  global
        .offset:         8
        .size:           8
        .value_kind:     global_buffer
      - .address_space:  global
        .offset:         16
        .size:           8
        .value_kind:     global_buffer
      - .offset:         24
        .size:           32
        .value_kind:     by_value
      - .address_space:  global
        .offset:         56
        .size:           8
        .value_kind:     global_buffer
      - .offset:         64
        .size:           4
        .value_kind:     by_value
      - .offset:         68
        .size:           12
        .value_kind:     by_value
      - .offset:         80
        .size:           4
        .value_kind:     by_value
      - .offset:         84
        .size:           4
        .value_kind:     by_value
      - .offset:         88
        .size:           4
        .value_kind:     by_value
      - .offset:         92
        .size:           12
        .value_kind:     by_value
      - .offset:         104
        .size:           4
        .value_kind:     by_value
      - .offset:         108
        .size:           4
        .value_kind:     by_value
      - .offset:         112
        .size:           4
        .value_kind:     by_value
      - .offset:         116
        .size:           12
        .value_kind:     by_value
      - .offset:         128
        .size:           4
        .value_kind:     by_value
      - .offset:         132
        .size:           4
        .value_kind:     by_value
      - .offset:         136
        .size:           4
        .value_kind:     by_value
      - .offset:         140
        .size:           4
        .value_kind:     by_value
    .group_segment_fixed_size: 256
    .kernarg_segment_align: 8
    .kernarg_segment_size: 144
    .language:       OpenCL C
    .language_version:
      - 2
      - 0
    .max_flat_workgroup_size: 128
    .name:           _ZL13mul_mat_vec_qIL9ggml_type29ELi1ELb0ELb0EEvPKvS2_PKi31ggml_cuda_mm_fusion_args_devicePfj15HIP_vector_typeIjLj3EEjjjS8_jjjS8_jjjj
    .private_segment_fixed_size: 0
    .sgpr_count:     30
    .sgpr_spill_count: 0
    .symbol:         _ZL13mul_mat_vec_qIL9ggml_type29ELi1ELb0ELb0EEvPKvS2_PKi31ggml_cuda_mm_fusion_args_devicePfj15HIP_vector_typeIjLj3EEjjjS8_jjjS8_jjjj.kd
    .uniform_work_group_size: 1
    .uses_dynamic_stack: false
    .vgpr_count:     45
    .vgpr_spill_count: 0
    .wavefront_size: 64
  - .agpr_count:     0
    .args:
      - .address_space:  global
        .offset:         0
        .size:           8
        .value_kind:     global_buffer
      - .address_space:  global
        .offset:         8
        .size:           8
        .value_kind:     global_buffer
      - .address_space:  global
        .offset:         16
        .size:           8
        .value_kind:     global_buffer
      - .offset:         24
        .size:           32
        .value_kind:     by_value
      - .address_space:  global
        .offset:         56
        .size:           8
        .value_kind:     global_buffer
      - .offset:         64
        .size:           4
        .value_kind:     by_value
      - .offset:         68
        .size:           12
        .value_kind:     by_value
      - .offset:         80
        .size:           4
        .value_kind:     by_value
      - .offset:         84
        .size:           4
        .value_kind:     by_value
      - .offset:         88
        .size:           4
        .value_kind:     by_value
      - .offset:         92
        .size:           12
        .value_kind:     by_value
      - .offset:         104
        .size:           4
        .value_kind:     by_value
      - .offset:         108
        .size:           4
        .value_kind:     by_value
      - .offset:         112
        .size:           4
        .value_kind:     by_value
      - .offset:         116
        .size:           12
        .value_kind:     by_value
      - .offset:         128
        .size:           4
        .value_kind:     by_value
      - .offset:         132
        .size:           4
        .value_kind:     by_value
      - .offset:         136
        .size:           4
        .value_kind:     by_value
      - .offset:         140
        .size:           4
        .value_kind:     by_value
    .group_segment_fixed_size: 3072
    .kernarg_segment_align: 8
    .kernarg_segment_size: 144
    .language:       OpenCL C
    .language_version:
      - 2
      - 0
    .max_flat_workgroup_size: 128
    .name:           _ZL13mul_mat_vec_qIL9ggml_type29ELi2ELb0ELb0EEvPKvS2_PKi31ggml_cuda_mm_fusion_args_devicePfj15HIP_vector_typeIjLj3EEjjjS8_jjjS8_jjjj
    .private_segment_fixed_size: 0
    .sgpr_count:     36
    .sgpr_spill_count: 0
    .symbol:         _ZL13mul_mat_vec_qIL9ggml_type29ELi2ELb0ELb0EEvPKvS2_PKi31ggml_cuda_mm_fusion_args_devicePfj15HIP_vector_typeIjLj3EEjjjS8_jjjS8_jjjj.kd
    .uniform_work_group_size: 1
    .uses_dynamic_stack: false
    .vgpr_count:     72
    .vgpr_spill_count: 0
    .wavefront_size: 64
  - .agpr_count:     0
    .args:
      - .address_space:  global
        .offset:         0
        .size:           8
        .value_kind:     global_buffer
      - .address_space:  global
        .offset:         8
        .size:           8
        .value_kind:     global_buffer
      - .address_space:  global
        .offset:         16
        .size:           8
        .value_kind:     global_buffer
      - .offset:         24
        .size:           32
        .value_kind:     by_value
      - .address_space:  global
        .offset:         56
        .size:           8
        .value_kind:     global_buffer
      - .offset:         64
        .size:           4
        .value_kind:     by_value
      - .offset:         68
        .size:           12
        .value_kind:     by_value
      - .offset:         80
        .size:           4
        .value_kind:     by_value
      - .offset:         84
        .size:           4
        .value_kind:     by_value
      - .offset:         88
        .size:           4
        .value_kind:     by_value
      - .offset:         92
        .size:           12
        .value_kind:     by_value
      - .offset:         104
        .size:           4
        .value_kind:     by_value
      - .offset:         108
        .size:           4
        .value_kind:     by_value
      - .offset:         112
        .size:           4
        .value_kind:     by_value
      - .offset:         116
        .size:           12
        .value_kind:     by_value
      - .offset:         128
        .size:           4
        .value_kind:     by_value
      - .offset:         132
        .size:           4
        .value_kind:     by_value
      - .offset:         136
        .size:           4
        .value_kind:     by_value
      - .offset:         140
        .size:           4
        .value_kind:     by_value
    .group_segment_fixed_size: 1536
    .kernarg_segment_align: 8
    .kernarg_segment_size: 144
    .language:       OpenCL C
    .language_version:
      - 2
      - 0
    .max_flat_workgroup_size: 128
    .name:           _ZL13mul_mat_vec_qIL9ggml_type29ELi3ELb0ELb0EEvPKvS2_PKi31ggml_cuda_mm_fusion_args_devicePfj15HIP_vector_typeIjLj3EEjjjS8_jjjS8_jjjj
    .private_segment_fixed_size: 32
    .sgpr_count:     36
    .sgpr_spill_count: 0
    .symbol:         _ZL13mul_mat_vec_qIL9ggml_type29ELi3ELb0ELb0EEvPKvS2_PKi31ggml_cuda_mm_fusion_args_devicePfj15HIP_vector_typeIjLj3EEjjjS8_jjjS8_jjjj.kd
    .uniform_work_group_size: 1
    .uses_dynamic_stack: false
    .vgpr_count:     74
    .vgpr_spill_count: 0
    .wavefront_size: 64
  - .agpr_count:     0
    .args:
      - .address_space:  global
        .offset:         0
        .size:           8
        .value_kind:     global_buffer
      - .address_space:  global
        .offset:         8
        .size:           8
        .value_kind:     global_buffer
      - .address_space:  global
        .offset:         16
        .size:           8
        .value_kind:     global_buffer
      - .offset:         24
        .size:           32
        .value_kind:     by_value
      - .address_space:  global
        .offset:         56
        .size:           8
        .value_kind:     global_buffer
      - .offset:         64
        .size:           4
        .value_kind:     by_value
      - .offset:         68
        .size:           12
        .value_kind:     by_value
      - .offset:         80
        .size:           4
        .value_kind:     by_value
      - .offset:         84
        .size:           4
        .value_kind:     by_value
      - .offset:         88
        .size:           4
        .value_kind:     by_value
      - .offset:         92
        .size:           12
        .value_kind:     by_value
      - .offset:         104
        .size:           4
        .value_kind:     by_value
      - .offset:         108
        .size:           4
        .value_kind:     by_value
      - .offset:         112
        .size:           4
        .value_kind:     by_value
      - .offset:         116
        .size:           12
        .value_kind:     by_value
      - .offset:         128
        .size:           4
        .value_kind:     by_value
      - .offset:         132
        .size:           4
        .value_kind:     by_value
      - .offset:         136
        .size:           4
        .value_kind:     by_value
      - .offset:         140
        .size:           4
        .value_kind:     by_value
    .group_segment_fixed_size: 2048
    .kernarg_segment_align: 8
    .kernarg_segment_size: 144
    .language:       OpenCL C
    .language_version:
      - 2
      - 0
    .max_flat_workgroup_size: 128
    .name:           _ZL13mul_mat_vec_qIL9ggml_type29ELi4ELb0ELb0EEvPKvS2_PKi31ggml_cuda_mm_fusion_args_devicePfj15HIP_vector_typeIjLj3EEjjjS8_jjjS8_jjjj
    .private_segment_fixed_size: 48
    .sgpr_count:     36
    .sgpr_spill_count: 0
    .symbol:         _ZL13mul_mat_vec_qIL9ggml_type29ELi4ELb0ELb0EEvPKvS2_PKi31ggml_cuda_mm_fusion_args_devicePfj15HIP_vector_typeIjLj3EEjjjS8_jjjS8_jjjj.kd
    .uniform_work_group_size: 1
    .uses_dynamic_stack: false
    .vgpr_count:     78
    .vgpr_spill_count: 0
    .wavefront_size: 64
  - .agpr_count:     0
    .args:
      - .address_space:  global
        .offset:         0
        .size:           8
        .value_kind:     global_buffer
      - .address_space:  global
        .offset:         8
        .size:           8
        .value_kind:     global_buffer
      - .address_space:  global
        .offset:         16
        .size:           8
        .value_kind:     global_buffer
      - .offset:         24
        .size:           32
        .value_kind:     by_value
      - .address_space:  global
        .offset:         56
        .size:           8
        .value_kind:     global_buffer
      - .offset:         64
        .size:           4
        .value_kind:     by_value
      - .offset:         68
        .size:           12
        .value_kind:     by_value
      - .offset:         80
        .size:           4
        .value_kind:     by_value
      - .offset:         84
        .size:           4
        .value_kind:     by_value
      - .offset:         88
        .size:           4
        .value_kind:     by_value
      - .offset:         92
        .size:           12
        .value_kind:     by_value
      - .offset:         104
        .size:           4
        .value_kind:     by_value
      - .offset:         108
        .size:           4
        .value_kind:     by_value
      - .offset:         112
        .size:           4
        .value_kind:     by_value
      - .offset:         116
        .size:           12
        .value_kind:     by_value
      - .offset:         128
        .size:           4
        .value_kind:     by_value
      - .offset:         132
        .size:           4
        .value_kind:     by_value
      - .offset:         136
        .size:           4
        .value_kind:     by_value
      - .offset:         140
        .size:           4
        .value_kind:     by_value
    .group_segment_fixed_size: 0
    .kernarg_segment_align: 8
    .kernarg_segment_size: 144
    .language:       OpenCL C
    .language_version:
      - 2
      - 0
    .max_flat_workgroup_size: 64
    .name:           _ZL13mul_mat_vec_qIL9ggml_type29ELi5ELb0ELb0EEvPKvS2_PKi31ggml_cuda_mm_fusion_args_devicePfj15HIP_vector_typeIjLj3EEjjjS8_jjjS8_jjjj
    .private_segment_fixed_size: 48
    .sgpr_count:     42
    .sgpr_spill_count: 0
    .symbol:         _ZL13mul_mat_vec_qIL9ggml_type29ELi5ELb0ELb0EEvPKvS2_PKi31ggml_cuda_mm_fusion_args_devicePfj15HIP_vector_typeIjLj3EEjjjS8_jjjS8_jjjj.kd
    .uniform_work_group_size: 1
    .uses_dynamic_stack: false
    .vgpr_count:     78
    .vgpr_spill_count: 0
    .wavefront_size: 64
  - .agpr_count:     0
    .args:
      - .address_space:  global
        .offset:         0
        .size:           8
        .value_kind:     global_buffer
      - .address_space:  global
        .offset:         8
        .size:           8
        .value_kind:     global_buffer
      - .address_space:  global
        .offset:         16
        .size:           8
        .value_kind:     global_buffer
      - .offset:         24
        .size:           32
        .value_kind:     by_value
      - .address_space:  global
        .offset:         56
        .size:           8
        .value_kind:     global_buffer
      - .offset:         64
        .size:           4
        .value_kind:     by_value
      - .offset:         68
        .size:           12
        .value_kind:     by_value
      - .offset:         80
        .size:           4
        .value_kind:     by_value
      - .offset:         84
        .size:           4
        .value_kind:     by_value
      - .offset:         88
        .size:           4
        .value_kind:     by_value
      - .offset:         92
        .size:           12
        .value_kind:     by_value
      - .offset:         104
        .size:           4
        .value_kind:     by_value
      - .offset:         108
        .size:           4
        .value_kind:     by_value
      - .offset:         112
        .size:           4
        .value_kind:     by_value
      - .offset:         116
        .size:           12
        .value_kind:     by_value
      - .offset:         128
        .size:           4
        .value_kind:     by_value
      - .offset:         132
        .size:           4
        .value_kind:     by_value
      - .offset:         136
        .size:           4
        .value_kind:     by_value
      - .offset:         140
        .size:           4
        .value_kind:     by_value
    .group_segment_fixed_size: 0
    .kernarg_segment_align: 8
    .kernarg_segment_size: 144
    .language:       OpenCL C
    .language_version:
      - 2
      - 0
    .max_flat_workgroup_size: 64
    .name:           _ZL13mul_mat_vec_qIL9ggml_type29ELi6ELb0ELb0EEvPKvS2_PKi31ggml_cuda_mm_fusion_args_devicePfj15HIP_vector_typeIjLj3EEjjjS8_jjjS8_jjjj
    .private_segment_fixed_size: 64
    .sgpr_count:     42
    .sgpr_spill_count: 0
    .symbol:         _ZL13mul_mat_vec_qIL9ggml_type29ELi6ELb0ELb0EEvPKvS2_PKi31ggml_cuda_mm_fusion_args_devicePfj15HIP_vector_typeIjLj3EEjjjS8_jjjS8_jjjj.kd
    .uniform_work_group_size: 1
    .uses_dynamic_stack: false
    .vgpr_count:     80
    .vgpr_spill_count: 0
    .wavefront_size: 64
  - .agpr_count:     0
    .args:
      - .address_space:  global
        .offset:         0
        .size:           8
        .value_kind:     global_buffer
      - .address_space:  global
        .offset:         8
        .size:           8
        .value_kind:     global_buffer
      - .address_space:  global
        .offset:         16
        .size:           8
        .value_kind:     global_buffer
      - .offset:         24
        .size:           32
        .value_kind:     by_value
      - .address_space:  global
        .offset:         56
        .size:           8
        .value_kind:     global_buffer
      - .offset:         64
        .size:           4
        .value_kind:     by_value
      - .offset:         68
        .size:           12
        .value_kind:     by_value
      - .offset:         80
        .size:           4
        .value_kind:     by_value
      - .offset:         84
        .size:           4
        .value_kind:     by_value
      - .offset:         88
        .size:           4
        .value_kind:     by_value
      - .offset:         92
        .size:           12
        .value_kind:     by_value
      - .offset:         104
        .size:           4
        .value_kind:     by_value
      - .offset:         108
        .size:           4
        .value_kind:     by_value
      - .offset:         112
        .size:           4
        .value_kind:     by_value
      - .offset:         116
        .size:           12
        .value_kind:     by_value
      - .offset:         128
        .size:           4
        .value_kind:     by_value
      - .offset:         132
        .size:           4
        .value_kind:     by_value
      - .offset:         136
        .size:           4
        .value_kind:     by_value
      - .offset:         140
        .size:           4
        .value_kind:     by_value
    .group_segment_fixed_size: 0
    .kernarg_segment_align: 8
    .kernarg_segment_size: 144
    .language:       OpenCL C
    .language_version:
      - 2
      - 0
    .max_flat_workgroup_size: 64
    .name:           _ZL13mul_mat_vec_qIL9ggml_type29ELi7ELb0ELb0EEvPKvS2_PKi31ggml_cuda_mm_fusion_args_devicePfj15HIP_vector_typeIjLj3EEjjjS8_jjjS8_jjjj
    .private_segment_fixed_size: 64
    .sgpr_count:     44
    .sgpr_spill_count: 0
    .symbol:         _ZL13mul_mat_vec_qIL9ggml_type29ELi7ELb0ELb0EEvPKvS2_PKi31ggml_cuda_mm_fusion_args_devicePfj15HIP_vector_typeIjLj3EEjjjS8_jjjS8_jjjj.kd
    .uniform_work_group_size: 1
    .uses_dynamic_stack: false
    .vgpr_count:     81
    .vgpr_spill_count: 0
    .wavefront_size: 64
  - .agpr_count:     0
    .args:
      - .address_space:  global
        .offset:         0
        .size:           8
        .value_kind:     global_buffer
      - .address_space:  global
        .offset:         8
        .size:           8
        .value_kind:     global_buffer
      - .address_space:  global
        .offset:         16
        .size:           8
        .value_kind:     global_buffer
      - .offset:         24
        .size:           32
        .value_kind:     by_value
      - .address_space:  global
        .offset:         56
        .size:           8
        .value_kind:     global_buffer
      - .offset:         64
        .size:           4
        .value_kind:     by_value
      - .offset:         68
        .size:           12
        .value_kind:     by_value
      - .offset:         80
        .size:           4
        .value_kind:     by_value
      - .offset:         84
        .size:           4
        .value_kind:     by_value
      - .offset:         88
        .size:           4
        .value_kind:     by_value
      - .offset:         92
        .size:           12
        .value_kind:     by_value
      - .offset:         104
        .size:           4
        .value_kind:     by_value
      - .offset:         108
        .size:           4
        .value_kind:     by_value
      - .offset:         112
        .size:           4
        .value_kind:     by_value
      - .offset:         116
        .size:           12
        .value_kind:     by_value
      - .offset:         128
        .size:           4
        .value_kind:     by_value
      - .offset:         132
        .size:           4
        .value_kind:     by_value
      - .offset:         136
        .size:           4
        .value_kind:     by_value
      - .offset:         140
        .size:           4
        .value_kind:     by_value
    .group_segment_fixed_size: 0
    .kernarg_segment_align: 8
    .kernarg_segment_size: 144
    .language:       OpenCL C
    .language_version:
      - 2
      - 0
    .max_flat_workgroup_size: 64
    .name:           _ZL13mul_mat_vec_qIL9ggml_type29ELi8ELb0ELb0EEvPKvS2_PKi31ggml_cuda_mm_fusion_args_devicePfj15HIP_vector_typeIjLj3EEjjjS8_jjjS8_jjjj
    .private_segment_fixed_size: 80
    .sgpr_count:     44
    .sgpr_spill_count: 0
    .symbol:         _ZL13mul_mat_vec_qIL9ggml_type29ELi8ELb0ELb0EEvPKvS2_PKi31ggml_cuda_mm_fusion_args_devicePfj15HIP_vector_typeIjLj3EEjjjS8_jjjS8_jjjj.kd
    .uniform_work_group_size: 1
    .uses_dynamic_stack: false
    .vgpr_count:     94
    .vgpr_spill_count: 0
    .wavefront_size: 64
  - .agpr_count:     0
    .args:
      - .address_space:  global
        .offset:         0
        .size:           8
        .value_kind:     global_buffer
      - .address_space:  global
        .offset:         8
        .size:           8
        .value_kind:     global_buffer
      - .address_space:  global
        .offset:         16
        .size:           8
        .value_kind:     global_buffer
      - .address_space:  global
        .offset:         24
        .size:           8
        .value_kind:     global_buffer
      - .offset:         32
        .size:           4
        .value_kind:     by_value
      - .offset:         36
        .size:           12
        .value_kind:     by_value
      - .offset:         48
        .size:           4
        .value_kind:     by_value
      - .offset:         52
        .size:           4
        .value_kind:     by_value
      - .offset:         56
        .size:           4
        .value_kind:     by_value
      - .offset:         60
        .size:           4
        .value_kind:     by_value
      - .offset:         64
        .size:           4
        .value_kind:     by_value
      - .offset:         68
        .size:           4
        .value_kind:     by_value
      - .offset:         72
        .size:           4
        .value_kind:     by_value
      - .offset:         76
        .size:           4
        .value_kind:     by_value
      - .offset:         80
        .size:           4
        .value_kind:     by_value
    .group_segment_fixed_size: 0
    .kernarg_segment_align: 8
    .kernarg_segment_size: 84
    .language:       OpenCL C
    .language_version:
      - 2
      - 0
    .max_flat_workgroup_size: 512
    .name:           _ZL17mul_mat_vec_q_moeIL9ggml_type20ELi2EEvPKvS2_PKiPfj15HIP_vector_typeIjLj3EEjjjjjjjjj
    .private_segment_fixed_size: 0
    .sgpr_count:     35
    .sgpr_spill_count: 0
    .symbol:         _ZL17mul_mat_vec_q_moeIL9ggml_type20ELi2EEvPKvS2_PKiPfj15HIP_vector_typeIjLj3EEjjjjjjjjj.kd
    .uniform_work_group_size: 1
    .uses_dynamic_stack: false
    .vgpr_count:     48
    .vgpr_spill_count: 0
    .wavefront_size: 64
  - .agpr_count:     0
    .args:
      - .address_space:  global
        .offset:         0
        .size:           8
        .value_kind:     global_buffer
      - .address_space:  global
        .offset:         8
        .size:           8
        .value_kind:     global_buffer
      - .address_space:  global
        .offset:         16
        .size:           8
        .value_kind:     global_buffer
      - .offset:         24
        .size:           32
        .value_kind:     by_value
      - .address_space:  global
        .offset:         56
        .size:           8
        .value_kind:     global_buffer
      - .offset:         64
        .size:           4
        .value_kind:     by_value
      - .offset:         68
        .size:           12
        .value_kind:     by_value
      - .offset:         80
        .size:           4
        .value_kind:     by_value
      - .offset:         84
        .size:           4
        .value_kind:     by_value
      - .offset:         88
        .size:           4
        .value_kind:     by_value
      - .offset:         92
        .size:           12
        .value_kind:     by_value
      - .offset:         104
        .size:           4
        .value_kind:     by_value
      - .offset:         108
        .size:           4
        .value_kind:     by_value
      - .offset:         112
        .size:           4
        .value_kind:     by_value
      - .offset:         116
        .size:           12
        .value_kind:     by_value
      - .offset:         128
        .size:           4
        .value_kind:     by_value
      - .offset:         132
        .size:           4
        .value_kind:     by_value
      - .offset:         136
        .size:           4
        .value_kind:     by_value
      - .offset:         140
        .size:           4
        .value_kind:     by_value
    .group_segment_fixed_size: 3072
    .kernarg_segment_align: 8
    .kernarg_segment_size: 144
    .language:       OpenCL C
    .language_version:
      - 2
      - 0
    .max_flat_workgroup_size: 128
    .name:           _ZL13mul_mat_vec_qIL9ggml_type20ELi1ELb1ELb1EEvPKvS2_PKi31ggml_cuda_mm_fusion_args_devicePfj15HIP_vector_typeIjLj3EEjjjS8_jjjS8_jjjj
    .private_segment_fixed_size: 0
    .sgpr_count:     52
    .sgpr_spill_count: 0
    .symbol:         _ZL13mul_mat_vec_qIL9ggml_type20ELi1ELb1ELb1EEvPKvS2_PKi31ggml_cuda_mm_fusion_args_devicePfj15HIP_vector_typeIjLj3EEjjjS8_jjjS8_jjjj.kd
    .uniform_work_group_size: 1
    .uses_dynamic_stack: false
    .vgpr_count:     45
    .vgpr_spill_count: 0
    .wavefront_size: 64
  - .agpr_count:     0
    .args:
      - .address_space:  global
        .offset:         0
        .size:           8
        .value_kind:     global_buffer
      - .address_space:  global
        .offset:         8
        .size:           8
        .value_kind:     global_buffer
      - .address_space:  global
        .offset:         16
        .size:           8
        .value_kind:     global_buffer
      - .offset:         24
        .size:           32
        .value_kind:     by_value
      - .address_space:  global
        .offset:         56
        .size:           8
        .value_kind:     global_buffer
      - .offset:         64
        .size:           4
        .value_kind:     by_value
      - .offset:         68
        .size:           12
        .value_kind:     by_value
      - .offset:         80
        .size:           4
        .value_kind:     by_value
      - .offset:         84
        .size:           4
        .value_kind:     by_value
      - .offset:         88
        .size:           4
        .value_kind:     by_value
      - .offset:         92
        .size:           12
        .value_kind:     by_value
      - .offset:         104
        .size:           4
        .value_kind:     by_value
      - .offset:         108
        .size:           4
        .value_kind:     by_value
      - .offset:         112
        .size:           4
        .value_kind:     by_value
      - .offset:         116
        .size:           12
        .value_kind:     by_value
      - .offset:         128
        .size:           4
        .value_kind:     by_value
      - .offset:         132
        .size:           4
        .value_kind:     by_value
      - .offset:         136
        .size:           4
        .value_kind:     by_value
      - .offset:         140
        .size:           4
        .value_kind:     by_value
    .group_segment_fixed_size: 1536
    .kernarg_segment_align: 8
    .kernarg_segment_size: 144
    .language:       OpenCL C
    .language_version:
      - 2
      - 0
    .max_flat_workgroup_size: 128
    .name:           _ZL13mul_mat_vec_qIL9ggml_type20ELi1ELb0ELb1EEvPKvS2_PKi31ggml_cuda_mm_fusion_args_devicePfj15HIP_vector_typeIjLj3EEjjjS8_jjjS8_jjjj
    .private_segment_fixed_size: 0
    .sgpr_count:     30
    .sgpr_spill_count: 0
    .symbol:         _ZL13mul_mat_vec_qIL9ggml_type20ELi1ELb0ELb1EEvPKvS2_PKi31ggml_cuda_mm_fusion_args_devicePfj15HIP_vector_typeIjLj3EEjjjS8_jjjS8_jjjj.kd
    .uniform_work_group_size: 1
    .uses_dynamic_stack: false
    .vgpr_count:     48
    .vgpr_spill_count: 0
    .wavefront_size: 64
  - .agpr_count:     0
    .args:
      - .address_space:  global
        .offset:         0
        .size:           8
        .value_kind:     global_buffer
      - .address_space:  global
        .offset:         8
        .size:           8
        .value_kind:     global_buffer
      - .address_space:  global
        .offset:         16
        .size:           8
        .value_kind:     global_buffer
      - .offset:         24
        .size:           32
        .value_kind:     by_value
      - .address_space:  global
        .offset:         56
        .size:           8
        .value_kind:     global_buffer
      - .offset:         64
        .size:           4
        .value_kind:     by_value
      - .offset:         68
        .size:           12
        .value_kind:     by_value
      - .offset:         80
        .size:           4
        .value_kind:     by_value
      - .offset:         84
        .size:           4
        .value_kind:     by_value
      - .offset:         88
        .size:           4
        .value_kind:     by_value
      - .offset:         92
        .size:           12
        .value_kind:     by_value
      - .offset:         104
        .size:           4
        .value_kind:     by_value
      - .offset:         108
        .size:           4
        .value_kind:     by_value
      - .offset:         112
        .size:           4
        .value_kind:     by_value
      - .offset:         116
        .size:           12
        .value_kind:     by_value
      - .offset:         128
        .size:           4
        .value_kind:     by_value
      - .offset:         132
        .size:           4
        .value_kind:     by_value
      - .offset:         136
        .size:           4
        .value_kind:     by_value
      - .offset:         140
        .size:           4
        .value_kind:     by_value
    .group_segment_fixed_size: 512
    .kernarg_segment_align: 8
    .kernarg_segment_size: 144
    .language:       OpenCL C
    .language_version:
      - 2
      - 0
    .max_flat_workgroup_size: 128
    .name:           _ZL13mul_mat_vec_qIL9ggml_type20ELi1ELb1ELb0EEvPKvS2_PKi31ggml_cuda_mm_fusion_args_devicePfj15HIP_vector_typeIjLj3EEjjjS8_jjjS8_jjjj
    .private_segment_fixed_size: 0
    .sgpr_count:     50
    .sgpr_spill_count: 0
    .symbol:         _ZL13mul_mat_vec_qIL9ggml_type20ELi1ELb1ELb0EEvPKvS2_PKi31ggml_cuda_mm_fusion_args_devicePfj15HIP_vector_typeIjLj3EEjjjS8_jjjS8_jjjj.kd
    .uniform_work_group_size: 1
    .uses_dynamic_stack: false
    .vgpr_count:     38
    .vgpr_spill_count: 0
    .wavefront_size: 64
  - .agpr_count:     0
    .args:
      - .address_space:  global
        .offset:         0
        .size:           8
        .value_kind:     global_buffer
      - .address_space:  global
        .offset:         8
        .size:           8
        .value_kind:     global_buffer
      - .address_space:  global
        .offset:         16
        .size:           8
        .value_kind:     global_buffer
      - .offset:         24
        .size:           32
        .value_kind:     by_value
      - .address_space:  global
        .offset:         56
        .size:           8
        .value_kind:     global_buffer
      - .offset:         64
        .size:           4
        .value_kind:     by_value
      - .offset:         68
        .size:           12
        .value_kind:     by_value
      - .offset:         80
        .size:           4
        .value_kind:     by_value
      - .offset:         84
        .size:           4
        .value_kind:     by_value
      - .offset:         88
        .size:           4
        .value_kind:     by_value
      - .offset:         92
        .size:           12
        .value_kind:     by_value
      - .offset:         104
        .size:           4
        .value_kind:     by_value
      - .offset:         108
        .size:           4
        .value_kind:     by_value
      - .offset:         112
        .size:           4
        .value_kind:     by_value
      - .offset:         116
        .size:           12
        .value_kind:     by_value
      - .offset:         128
        .size:           4
        .value_kind:     by_value
      - .offset:         132
        .size:           4
        .value_kind:     by_value
      - .offset:         136
        .size:           4
        .value_kind:     by_value
      - .offset:         140
        .size:           4
        .value_kind:     by_value
    .group_segment_fixed_size: 256
    .kernarg_segment_align: 8
    .kernarg_segment_size: 144
    .language:       OpenCL C
    .language_version:
      - 2
      - 0
    .max_flat_workgroup_size: 128
    .name:           _ZL13mul_mat_vec_qIL9ggml_type20ELi1ELb0ELb0EEvPKvS2_PKi31ggml_cuda_mm_fusion_args_devicePfj15HIP_vector_typeIjLj3EEjjjS8_jjjS8_jjjj
    .private_segment_fixed_size: 0
    .sgpr_count:     30
    .sgpr_spill_count: 0
    .symbol:         _ZL13mul_mat_vec_qIL9ggml_type20ELi1ELb0ELb0EEvPKvS2_PKi31ggml_cuda_mm_fusion_args_devicePfj15HIP_vector_typeIjLj3EEjjjS8_jjjS8_jjjj.kd
    .uniform_work_group_size: 1
    .uses_dynamic_stack: false
    .vgpr_count:     32
    .vgpr_spill_count: 0
    .wavefront_size: 64
  - .agpr_count:     0
    .args:
      - .address_space:  global
        .offset:         0
        .size:           8
        .value_kind:     global_buffer
      - .address_space:  global
        .offset:         8
        .size:           8
        .value_kind:     global_buffer
      - .address_space:  global
        .offset:         16
        .size:           8
        .value_kind:     global_buffer
      - .offset:         24
        .size:           32
        .value_kind:     by_value
      - .address_space:  global
        .offset:         56
        .size:           8
        .value_kind:     global_buffer
      - .offset:         64
        .size:           4
        .value_kind:     by_value
      - .offset:         68
        .size:           12
        .value_kind:     by_value
      - .offset:         80
        .size:           4
        .value_kind:     by_value
      - .offset:         84
        .size:           4
        .value_kind:     by_value
      - .offset:         88
        .size:           4
        .value_kind:     by_value
      - .offset:         92
        .size:           12
        .value_kind:     by_value
      - .offset:         104
        .size:           4
        .value_kind:     by_value
      - .offset:         108
        .size:           4
        .value_kind:     by_value
      - .offset:         112
        .size:           4
        .value_kind:     by_value
      - .offset:         116
        .size:           12
        .value_kind:     by_value
      - .offset:         128
        .size:           4
        .value_kind:     by_value
      - .offset:         132
        .size:           4
        .value_kind:     by_value
      - .offset:         136
        .size:           4
        .value_kind:     by_value
      - .offset:         140
        .size:           4
        .value_kind:     by_value
    .group_segment_fixed_size: 3072
    .kernarg_segment_align: 8
    .kernarg_segment_size: 144
    .language:       OpenCL C
    .language_version:
      - 2
      - 0
    .max_flat_workgroup_size: 128
    .name:           _ZL13mul_mat_vec_qIL9ggml_type20ELi2ELb0ELb0EEvPKvS2_PKi31ggml_cuda_mm_fusion_args_devicePfj15HIP_vector_typeIjLj3EEjjjS8_jjjS8_jjjj
    .private_segment_fixed_size: 0
    .sgpr_count:     32
    .sgpr_spill_count: 0
    .symbol:         _ZL13mul_mat_vec_qIL9ggml_type20ELi2ELb0ELb0EEvPKvS2_PKi31ggml_cuda_mm_fusion_args_devicePfj15HIP_vector_typeIjLj3EEjjjS8_jjjS8_jjjj.kd
    .uniform_work_group_size: 1
    .uses_dynamic_stack: false
    .vgpr_count:     57
    .vgpr_spill_count: 0
    .wavefront_size: 64
  - .agpr_count:     0
    .args:
      - .address_space:  global
        .offset:         0
        .size:           8
        .value_kind:     global_buffer
      - .address_space:  global
        .offset:         8
        .size:           8
        .value_kind:     global_buffer
      - .address_space:  global
        .offset:         16
        .size:           8
        .value_kind:     global_buffer
      - .offset:         24
        .size:           32
        .value_kind:     by_value
      - .address_space:  global
        .offset:         56
        .size:           8
        .value_kind:     global_buffer
      - .offset:         64
        .size:           4
        .value_kind:     by_value
      - .offset:         68
        .size:           12
        .value_kind:     by_value
      - .offset:         80
        .size:           4
        .value_kind:     by_value
      - .offset:         84
        .size:           4
        .value_kind:     by_value
      - .offset:         88
        .size:           4
        .value_kind:     by_value
      - .offset:         92
        .size:           12
        .value_kind:     by_value
      - .offset:         104
        .size:           4
        .value_kind:     by_value
      - .offset:         108
        .size:           4
        .value_kind:     by_value
      - .offset:         112
        .size:           4
        .value_kind:     by_value
      - .offset:         116
        .size:           12
        .value_kind:     by_value
      - .offset:         128
        .size:           4
        .value_kind:     by_value
      - .offset:         132
        .size:           4
        .value_kind:     by_value
      - .offset:         136
        .size:           4
        .value_kind:     by_value
      - .offset:         140
        .size:           4
        .value_kind:     by_value
    .group_segment_fixed_size: 1536
    .kernarg_segment_align: 8
    .kernarg_segment_size: 144
    .language:       OpenCL C
    .language_version:
      - 2
      - 0
    .max_flat_workgroup_size: 128
    .name:           _ZL13mul_mat_vec_qIL9ggml_type20ELi3ELb0ELb0EEvPKvS2_PKi31ggml_cuda_mm_fusion_args_devicePfj15HIP_vector_typeIjLj3EEjjjS8_jjjS8_jjjj
    .private_segment_fixed_size: 32
    .sgpr_count:     34
    .sgpr_spill_count: 0
    .symbol:         _ZL13mul_mat_vec_qIL9ggml_type20ELi3ELb0ELb0EEvPKvS2_PKi31ggml_cuda_mm_fusion_args_devicePfj15HIP_vector_typeIjLj3EEjjjS8_jjjS8_jjjj.kd
    .uniform_work_group_size: 1
    .uses_dynamic_stack: false
    .vgpr_count:     62
    .vgpr_spill_count: 0
    .wavefront_size: 64
  - .agpr_count:     0
    .args:
      - .address_space:  global
        .offset:         0
        .size:           8
        .value_kind:     global_buffer
      - .address_space:  global
        .offset:         8
        .size:           8
        .value_kind:     global_buffer
      - .address_space:  global
        .offset:         16
        .size:           8
        .value_kind:     global_buffer
      - .offset:         24
        .size:           32
        .value_kind:     by_value
      - .address_space:  global
        .offset:         56
        .size:           8
        .value_kind:     global_buffer
      - .offset:         64
        .size:           4
        .value_kind:     by_value
      - .offset:         68
        .size:           12
        .value_kind:     by_value
      - .offset:         80
        .size:           4
        .value_kind:     by_value
      - .offset:         84
        .size:           4
        .value_kind:     by_value
      - .offset:         88
        .size:           4
        .value_kind:     by_value
      - .offset:         92
        .size:           12
        .value_kind:     by_value
      - .offset:         104
        .size:           4
        .value_kind:     by_value
      - .offset:         108
        .size:           4
        .value_kind:     by_value
      - .offset:         112
        .size:           4
        .value_kind:     by_value
      - .offset:         116
        .size:           12
        .value_kind:     by_value
      - .offset:         128
        .size:           4
        .value_kind:     by_value
      - .offset:         132
        .size:           4
        .value_kind:     by_value
      - .offset:         136
        .size:           4
        .value_kind:     by_value
      - .offset:         140
        .size:           4
        .value_kind:     by_value
    .group_segment_fixed_size: 2048
    .kernarg_segment_align: 8
    .kernarg_segment_size: 144
    .language:       OpenCL C
    .language_version:
      - 2
      - 0
    .max_flat_workgroup_size: 128
    .name:           _ZL13mul_mat_vec_qIL9ggml_type20ELi4ELb0ELb0EEvPKvS2_PKi31ggml_cuda_mm_fusion_args_devicePfj15HIP_vector_typeIjLj3EEjjjS8_jjjS8_jjjj
    .private_segment_fixed_size: 48
    .sgpr_count:     34
    .sgpr_spill_count: 0
    .symbol:         _ZL13mul_mat_vec_qIL9ggml_type20ELi4ELb0ELb0EEvPKvS2_PKi31ggml_cuda_mm_fusion_args_devicePfj15HIP_vector_typeIjLj3EEjjjS8_jjjS8_jjjj.kd
    .uniform_work_group_size: 1
    .uses_dynamic_stack: false
    .vgpr_count:     65
    .vgpr_spill_count: 0
    .wavefront_size: 64
  - .agpr_count:     0
    .args:
      - .address_space:  global
        .offset:         0
        .size:           8
        .value_kind:     global_buffer
      - .address_space:  global
        .offset:         8
        .size:           8
        .value_kind:     global_buffer
      - .address_space:  global
        .offset:         16
        .size:           8
        .value_kind:     global_buffer
      - .offset:         24
        .size:           32
        .value_kind:     by_value
      - .address_space:  global
        .offset:         56
        .size:           8
        .value_kind:     global_buffer
      - .offset:         64
        .size:           4
        .value_kind:     by_value
      - .offset:         68
        .size:           12
        .value_kind:     by_value
      - .offset:         80
        .size:           4
        .value_kind:     by_value
      - .offset:         84
        .size:           4
        .value_kind:     by_value
      - .offset:         88
        .size:           4
        .value_kind:     by_value
      - .offset:         92
        .size:           12
        .value_kind:     by_value
      - .offset:         104
        .size:           4
        .value_kind:     by_value
      - .offset:         108
        .size:           4
        .value_kind:     by_value
      - .offset:         112
        .size:           4
        .value_kind:     by_value
      - .offset:         116
        .size:           12
        .value_kind:     by_value
      - .offset:         128
        .size:           4
        .value_kind:     by_value
      - .offset:         132
        .size:           4
        .value_kind:     by_value
      - .offset:         136
        .size:           4
        .value_kind:     by_value
      - .offset:         140
        .size:           4
        .value_kind:     by_value
    .group_segment_fixed_size: 0
    .kernarg_segment_align: 8
    .kernarg_segment_size: 144
    .language:       OpenCL C
    .language_version:
      - 2
      - 0
    .max_flat_workgroup_size: 64
    .name:           _ZL13mul_mat_vec_qIL9ggml_type20ELi5ELb0ELb0EEvPKvS2_PKi31ggml_cuda_mm_fusion_args_devicePfj15HIP_vector_typeIjLj3EEjjjS8_jjjS8_jjjj
    .private_segment_fixed_size: 48
    .sgpr_count:     36
    .sgpr_spill_count: 0
    .symbol:         _ZL13mul_mat_vec_qIL9ggml_type20ELi5ELb0ELb0EEvPKvS2_PKi31ggml_cuda_mm_fusion_args_devicePfj15HIP_vector_typeIjLj3EEjjjS8_jjjS8_jjjj.kd
    .uniform_work_group_size: 1
    .uses_dynamic_stack: false
    .vgpr_count:     65
    .vgpr_spill_count: 0
    .wavefront_size: 64
  - .agpr_count:     0
    .args:
      - .address_space:  global
        .offset:         0
        .size:           8
        .value_kind:     global_buffer
      - .address_space:  global
        .offset:         8
        .size:           8
        .value_kind:     global_buffer
      - .address_space:  global
        .offset:         16
        .size:           8
        .value_kind:     global_buffer
      - .offset:         24
        .size:           32
        .value_kind:     by_value
      - .address_space:  global
        .offset:         56
        .size:           8
        .value_kind:     global_buffer
      - .offset:         64
        .size:           4
        .value_kind:     by_value
      - .offset:         68
        .size:           12
        .value_kind:     by_value
      - .offset:         80
        .size:           4
        .value_kind:     by_value
      - .offset:         84
        .size:           4
        .value_kind:     by_value
      - .offset:         88
        .size:           4
        .value_kind:     by_value
      - .offset:         92
        .size:           12
        .value_kind:     by_value
      - .offset:         104
        .size:           4
        .value_kind:     by_value
      - .offset:         108
        .size:           4
        .value_kind:     by_value
      - .offset:         112
        .size:           4
        .value_kind:     by_value
      - .offset:         116
        .size:           12
        .value_kind:     by_value
      - .offset:         128
        .size:           4
        .value_kind:     by_value
      - .offset:         132
        .size:           4
        .value_kind:     by_value
      - .offset:         136
        .size:           4
        .value_kind:     by_value
      - .offset:         140
        .size:           4
        .value_kind:     by_value
    .group_segment_fixed_size: 0
    .kernarg_segment_align: 8
    .kernarg_segment_size: 144
    .language:       OpenCL C
    .language_version:
      - 2
      - 0
    .max_flat_workgroup_size: 64
    .name:           _ZL13mul_mat_vec_qIL9ggml_type20ELi6ELb0ELb0EEvPKvS2_PKi31ggml_cuda_mm_fusion_args_devicePfj15HIP_vector_typeIjLj3EEjjjS8_jjjS8_jjjj
    .private_segment_fixed_size: 64
    .sgpr_count:     36
    .sgpr_spill_count: 0
    .symbol:         _ZL13mul_mat_vec_qIL9ggml_type20ELi6ELb0ELb0EEvPKvS2_PKi31ggml_cuda_mm_fusion_args_devicePfj15HIP_vector_typeIjLj3EEjjjS8_jjjS8_jjjj.kd
    .uniform_work_group_size: 1
    .uses_dynamic_stack: false
    .vgpr_count:     71
    .vgpr_spill_count: 0
    .wavefront_size: 64
  - .agpr_count:     0
    .args:
      - .address_space:  global
        .offset:         0
        .size:           8
        .value_kind:     global_buffer
      - .address_space:  global
        .offset:         8
        .size:           8
        .value_kind:     global_buffer
      - .address_space:  global
        .offset:         16
        .size:           8
        .value_kind:     global_buffer
      - .offset:         24
        .size:           32
        .value_kind:     by_value
      - .address_space:  global
        .offset:         56
        .size:           8
        .value_kind:     global_buffer
      - .offset:         64
        .size:           4
        .value_kind:     by_value
      - .offset:         68
        .size:           12
        .value_kind:     by_value
      - .offset:         80
        .size:           4
        .value_kind:     by_value
      - .offset:         84
        .size:           4
        .value_kind:     by_value
      - .offset:         88
        .size:           4
        .value_kind:     by_value
      - .offset:         92
        .size:           12
        .value_kind:     by_value
      - .offset:         104
        .size:           4
        .value_kind:     by_value
      - .offset:         108
        .size:           4
        .value_kind:     by_value
      - .offset:         112
        .size:           4
        .value_kind:     by_value
      - .offset:         116
        .size:           12
        .value_kind:     by_value
      - .offset:         128
        .size:           4
        .value_kind:     by_value
      - .offset:         132
        .size:           4
        .value_kind:     by_value
      - .offset:         136
        .size:           4
        .value_kind:     by_value
      - .offset:         140
        .size:           4
        .value_kind:     by_value
    .group_segment_fixed_size: 0
    .kernarg_segment_align: 8
    .kernarg_segment_size: 144
    .language:       OpenCL C
    .language_version:
      - 2
      - 0
    .max_flat_workgroup_size: 64
    .name:           _ZL13mul_mat_vec_qIL9ggml_type20ELi7ELb0ELb0EEvPKvS2_PKi31ggml_cuda_mm_fusion_args_devicePfj15HIP_vector_typeIjLj3EEjjjS8_jjjS8_jjjj
    .private_segment_fixed_size: 64
    .sgpr_count:     38
    .sgpr_spill_count: 0
    .symbol:         _ZL13mul_mat_vec_qIL9ggml_type20ELi7ELb0ELb0EEvPKvS2_PKi31ggml_cuda_mm_fusion_args_devicePfj15HIP_vector_typeIjLj3EEjjjS8_jjjS8_jjjj.kd
    .uniform_work_group_size: 1
    .uses_dynamic_stack: false
    .vgpr_count:     48
    .vgpr_spill_count: 0
    .wavefront_size: 64
  - .agpr_count:     0
    .args:
      - .address_space:  global
        .offset:         0
        .size:           8
        .value_kind:     global_buffer
      - .address_space:  global
        .offset:         8
        .size:           8
        .value_kind:     global_buffer
      - .address_space:  global
        .offset:         16
        .size:           8
        .value_kind:     global_buffer
      - .offset:         24
        .size:           32
        .value_kind:     by_value
      - .address_space:  global
        .offset:         56
        .size:           8
        .value_kind:     global_buffer
      - .offset:         64
        .size:           4
        .value_kind:     by_value
      - .offset:         68
        .size:           12
        .value_kind:     by_value
      - .offset:         80
        .size:           4
        .value_kind:     by_value
      - .offset:         84
        .size:           4
        .value_kind:     by_value
      - .offset:         88
        .size:           4
        .value_kind:     by_value
      - .offset:         92
        .size:           12
        .value_kind:     by_value
      - .offset:         104
        .size:           4
        .value_kind:     by_value
      - .offset:         108
        .size:           4
        .value_kind:     by_value
      - .offset:         112
        .size:           4
        .value_kind:     by_value
      - .offset:         116
        .size:           12
        .value_kind:     by_value
      - .offset:         128
        .size:           4
        .value_kind:     by_value
      - .offset:         132
        .size:           4
        .value_kind:     by_value
      - .offset:         136
        .size:           4
        .value_kind:     by_value
      - .offset:         140
        .size:           4
        .value_kind:     by_value
    .group_segment_fixed_size: 0
    .kernarg_segment_align: 8
    .kernarg_segment_size: 144
    .language:       OpenCL C
    .language_version:
      - 2
      - 0
    .max_flat_workgroup_size: 64
    .name:           _ZL13mul_mat_vec_qIL9ggml_type20ELi8ELb0ELb0EEvPKvS2_PKi31ggml_cuda_mm_fusion_args_devicePfj15HIP_vector_typeIjLj3EEjjjS8_jjjS8_jjjj
    .private_segment_fixed_size: 80
    .sgpr_count:     38
    .sgpr_spill_count: 0
    .symbol:         _ZL13mul_mat_vec_qIL9ggml_type20ELi8ELb0ELb0EEvPKvS2_PKi31ggml_cuda_mm_fusion_args_devicePfj15HIP_vector_typeIjLj3EEjjjS8_jjjS8_jjjj.kd
    .uniform_work_group_size: 1
    .uses_dynamic_stack: false
    .vgpr_count:     50
    .vgpr_spill_count: 0
    .wavefront_size: 64
  - .agpr_count:     0
    .args:
      - .address_space:  global
        .offset:         0
        .size:           8
        .value_kind:     global_buffer
      - .address_space:  global
        .offset:         8
        .size:           8
        .value_kind:     global_buffer
      - .address_space:  global
        .offset:         16
        .size:           8
        .value_kind:     global_buffer
      - .address_space:  global
        .offset:         24
        .size:           8
        .value_kind:     global_buffer
      - .offset:         32
        .size:           4
        .value_kind:     by_value
      - .offset:         36
        .size:           12
        .value_kind:     by_value
      - .offset:         48
        .size:           4
        .value_kind:     by_value
      - .offset:         52
        .size:           4
        .value_kind:     by_value
      - .offset:         56
        .size:           4
        .value_kind:     by_value
      - .offset:         60
        .size:           4
        .value_kind:     by_value
      - .offset:         64
        .size:           4
        .value_kind:     by_value
      - .offset:         68
        .size:           4
        .value_kind:     by_value
      - .offset:         72
        .size:           4
        .value_kind:     by_value
      - .offset:         76
        .size:           4
        .value_kind:     by_value
      - .offset:         80
        .size:           4
        .value_kind:     by_value
    .group_segment_fixed_size: 0
    .kernarg_segment_align: 8
    .kernarg_segment_size: 84
    .language:       OpenCL C
    .language_version:
      - 2
      - 0
    .max_flat_workgroup_size: 512
    .name:           _ZL17mul_mat_vec_q_moeIL9ggml_type23ELi2EEvPKvS2_PKiPfj15HIP_vector_typeIjLj3EEjjjjjjjjj
    .private_segment_fixed_size: 0
    .sgpr_count:     35
    .sgpr_spill_count: 0
    .symbol:         _ZL17mul_mat_vec_q_moeIL9ggml_type23ELi2EEvPKvS2_PKiPfj15HIP_vector_typeIjLj3EEjjjjjjjjj.kd
    .uniform_work_group_size: 1
    .uses_dynamic_stack: false
    .vgpr_count:     61
    .vgpr_spill_count: 0
    .wavefront_size: 64
  - .agpr_count:     0
    .args:
      - .address_space:  global
        .offset:         0
        .size:           8
        .value_kind:     global_buffer
      - .address_space:  global
        .offset:         8
        .size:           8
        .value_kind:     global_buffer
      - .address_space:  global
        .offset:         16
        .size:           8
        .value_kind:     global_buffer
      - .offset:         24
        .size:           32
        .value_kind:     by_value
      - .address_space:  global
        .offset:         56
        .size:           8
        .value_kind:     global_buffer
      - .offset:         64
        .size:           4
        .value_kind:     by_value
      - .offset:         68
        .size:           12
        .value_kind:     by_value
      - .offset:         80
        .size:           4
        .value_kind:     by_value
      - .offset:         84
        .size:           4
        .value_kind:     by_value
      - .offset:         88
        .size:           4
        .value_kind:     by_value
      - .offset:         92
        .size:           12
        .value_kind:     by_value
      - .offset:         104
        .size:           4
        .value_kind:     by_value
      - .offset:         108
        .size:           4
        .value_kind:     by_value
      - .offset:         112
        .size:           4
        .value_kind:     by_value
      - .offset:         116
        .size:           12
        .value_kind:     by_value
      - .offset:         128
        .size:           4
        .value_kind:     by_value
      - .offset:         132
        .size:           4
        .value_kind:     by_value
      - .offset:         136
        .size:           4
        .value_kind:     by_value
      - .offset:         140
        .size:           4
        .value_kind:     by_value
    .group_segment_fixed_size: 3072
    .kernarg_segment_align: 8
    .kernarg_segment_size: 144
    .language:       OpenCL C
    .language_version:
      - 2
      - 0
    .max_flat_workgroup_size: 128
    .name:           _ZL13mul_mat_vec_qIL9ggml_type23ELi1ELb1ELb1EEvPKvS2_PKi31ggml_cuda_mm_fusion_args_devicePfj15HIP_vector_typeIjLj3EEjjjS8_jjjS8_jjjj
    .private_segment_fixed_size: 0
    .sgpr_count:     52
    .sgpr_spill_count: 0
    .symbol:         _ZL13mul_mat_vec_qIL9ggml_type23ELi1ELb1ELb1EEvPKvS2_PKi31ggml_cuda_mm_fusion_args_devicePfj15HIP_vector_typeIjLj3EEjjjS8_jjjS8_jjjj.kd
    .uniform_work_group_size: 1
    .uses_dynamic_stack: false
    .vgpr_count:     56
    .vgpr_spill_count: 0
    .wavefront_size: 64
  - .agpr_count:     0
    .args:
      - .address_space:  global
        .offset:         0
        .size:           8
        .value_kind:     global_buffer
      - .address_space:  global
        .offset:         8
        .size:           8
        .value_kind:     global_buffer
      - .address_space:  global
        .offset:         16
        .size:           8
        .value_kind:     global_buffer
      - .offset:         24
        .size:           32
        .value_kind:     by_value
      - .address_space:  global
        .offset:         56
        .size:           8
        .value_kind:     global_buffer
      - .offset:         64
        .size:           4
        .value_kind:     by_value
      - .offset:         68
        .size:           12
        .value_kind:     by_value
      - .offset:         80
        .size:           4
        .value_kind:     by_value
      - .offset:         84
        .size:           4
        .value_kind:     by_value
      - .offset:         88
        .size:           4
        .value_kind:     by_value
      - .offset:         92
        .size:           12
        .value_kind:     by_value
      - .offset:         104
        .size:           4
        .value_kind:     by_value
      - .offset:         108
        .size:           4
        .value_kind:     by_value
      - .offset:         112
        .size:           4
        .value_kind:     by_value
      - .offset:         116
        .size:           12
        .value_kind:     by_value
      - .offset:         128
        .size:           4
        .value_kind:     by_value
      - .offset:         132
        .size:           4
        .value_kind:     by_value
      - .offset:         136
        .size:           4
        .value_kind:     by_value
      - .offset:         140
        .size:           4
        .value_kind:     by_value
    .group_segment_fixed_size: 1536
    .kernarg_segment_align: 8
    .kernarg_segment_size: 144
    .language:       OpenCL C
    .language_version:
      - 2
      - 0
    .max_flat_workgroup_size: 128
    .name:           _ZL13mul_mat_vec_qIL9ggml_type23ELi1ELb0ELb1EEvPKvS2_PKi31ggml_cuda_mm_fusion_args_devicePfj15HIP_vector_typeIjLj3EEjjjS8_jjjS8_jjjj
    .private_segment_fixed_size: 0
    .sgpr_count:     34
    .sgpr_spill_count: 0
    .symbol:         _ZL13mul_mat_vec_qIL9ggml_type23ELi1ELb0ELb1EEvPKvS2_PKi31ggml_cuda_mm_fusion_args_devicePfj15HIP_vector_typeIjLj3EEjjjS8_jjjS8_jjjj.kd
    .uniform_work_group_size: 1
    .uses_dynamic_stack: false
    .vgpr_count:     63
    .vgpr_spill_count: 0
    .wavefront_size: 64
  - .agpr_count:     0
    .args:
      - .address_space:  global
        .offset:         0
        .size:           8
        .value_kind:     global_buffer
      - .address_space:  global
        .offset:         8
        .size:           8
        .value_kind:     global_buffer
      - .address_space:  global
        .offset:         16
        .size:           8
        .value_kind:     global_buffer
      - .offset:         24
        .size:           32
        .value_kind:     by_value
      - .address_space:  global
        .offset:         56
        .size:           8
        .value_kind:     global_buffer
      - .offset:         64
        .size:           4
        .value_kind:     by_value
      - .offset:         68
        .size:           12
        .value_kind:     by_value
      - .offset:         80
        .size:           4
        .value_kind:     by_value
      - .offset:         84
        .size:           4
        .value_kind:     by_value
      - .offset:         88
        .size:           4
        .value_kind:     by_value
      - .offset:         92
        .size:           12
        .value_kind:     by_value
      - .offset:         104
        .size:           4
        .value_kind:     by_value
      - .offset:         108
        .size:           4
        .value_kind:     by_value
      - .offset:         112
        .size:           4
        .value_kind:     by_value
      - .offset:         116
        .size:           12
        .value_kind:     by_value
      - .offset:         128
        .size:           4
        .value_kind:     by_value
      - .offset:         132
        .size:           4
        .value_kind:     by_value
      - .offset:         136
        .size:           4
        .value_kind:     by_value
      - .offset:         140
        .size:           4
        .value_kind:     by_value
    .group_segment_fixed_size: 512
    .kernarg_segment_align: 8
    .kernarg_segment_size: 144
    .language:       OpenCL C
    .language_version:
      - 2
      - 0
    .max_flat_workgroup_size: 128
    .name:           _ZL13mul_mat_vec_qIL9ggml_type23ELi1ELb1ELb0EEvPKvS2_PKi31ggml_cuda_mm_fusion_args_devicePfj15HIP_vector_typeIjLj3EEjjjS8_jjjS8_jjjj
    .private_segment_fixed_size: 0
    .sgpr_count:     50
    .sgpr_spill_count: 0
    .symbol:         _ZL13mul_mat_vec_qIL9ggml_type23ELi1ELb1ELb0EEvPKvS2_PKi31ggml_cuda_mm_fusion_args_devicePfj15HIP_vector_typeIjLj3EEjjjS8_jjjS8_jjjj.kd
    .uniform_work_group_size: 1
    .uses_dynamic_stack: false
    .vgpr_count:     63
    .vgpr_spill_count: 0
    .wavefront_size: 64
  - .agpr_count:     0
    .args:
      - .address_space:  global
        .offset:         0
        .size:           8
        .value_kind:     global_buffer
      - .address_space:  global
        .offset:         8
        .size:           8
        .value_kind:     global_buffer
      - .address_space:  global
        .offset:         16
        .size:           8
        .value_kind:     global_buffer
      - .offset:         24
        .size:           32
        .value_kind:     by_value
      - .address_space:  global
        .offset:         56
        .size:           8
        .value_kind:     global_buffer
      - .offset:         64
        .size:           4
        .value_kind:     by_value
      - .offset:         68
        .size:           12
        .value_kind:     by_value
      - .offset:         80
        .size:           4
        .value_kind:     by_value
      - .offset:         84
        .size:           4
        .value_kind:     by_value
      - .offset:         88
        .size:           4
        .value_kind:     by_value
      - .offset:         92
        .size:           12
        .value_kind:     by_value
      - .offset:         104
        .size:           4
        .value_kind:     by_value
      - .offset:         108
        .size:           4
        .value_kind:     by_value
      - .offset:         112
        .size:           4
        .value_kind:     by_value
      - .offset:         116
        .size:           12
        .value_kind:     by_value
      - .offset:         128
        .size:           4
        .value_kind:     by_value
      - .offset:         132
        .size:           4
        .value_kind:     by_value
      - .offset:         136
        .size:           4
        .value_kind:     by_value
      - .offset:         140
        .size:           4
        .value_kind:     by_value
    .group_segment_fixed_size: 256
    .kernarg_segment_align: 8
    .kernarg_segment_size: 144
    .language:       OpenCL C
    .language_version:
      - 2
      - 0
    .max_flat_workgroup_size: 128
    .name:           _ZL13mul_mat_vec_qIL9ggml_type23ELi1ELb0ELb0EEvPKvS2_PKi31ggml_cuda_mm_fusion_args_devicePfj15HIP_vector_typeIjLj3EEjjjS8_jjjS8_jjjj
    .private_segment_fixed_size: 0
    .sgpr_count:     34
    .sgpr_spill_count: 0
    .symbol:         _ZL13mul_mat_vec_qIL9ggml_type23ELi1ELb0ELb0EEvPKvS2_PKi31ggml_cuda_mm_fusion_args_devicePfj15HIP_vector_typeIjLj3EEjjjS8_jjjS8_jjjj.kd
    .uniform_work_group_size: 1
    .uses_dynamic_stack: false
    .vgpr_count:     54
    .vgpr_spill_count: 0
    .wavefront_size: 64
  - .agpr_count:     0
    .args:
      - .address_space:  global
        .offset:         0
        .size:           8
        .value_kind:     global_buffer
      - .address_space:  global
        .offset:         8
        .size:           8
        .value_kind:     global_buffer
      - .address_space:  global
        .offset:         16
        .size:           8
        .value_kind:     global_buffer
      - .offset:         24
        .size:           32
        .value_kind:     by_value
      - .address_space:  global
        .offset:         56
        .size:           8
        .value_kind:     global_buffer
      - .offset:         64
        .size:           4
        .value_kind:     by_value
      - .offset:         68
        .size:           12
        .value_kind:     by_value
      - .offset:         80
        .size:           4
        .value_kind:     by_value
      - .offset:         84
        .size:           4
        .value_kind:     by_value
      - .offset:         88
        .size:           4
        .value_kind:     by_value
      - .offset:         92
        .size:           12
        .value_kind:     by_value
      - .offset:         104
        .size:           4
        .value_kind:     by_value
      - .offset:         108
        .size:           4
        .value_kind:     by_value
      - .offset:         112
        .size:           4
        .value_kind:     by_value
      - .offset:         116
        .size:           12
        .value_kind:     by_value
      - .offset:         128
        .size:           4
        .value_kind:     by_value
      - .offset:         132
        .size:           4
        .value_kind:     by_value
      - .offset:         136
        .size:           4
        .value_kind:     by_value
      - .offset:         140
        .size:           4
        .value_kind:     by_value
    .group_segment_fixed_size: 3072
    .kernarg_segment_align: 8
    .kernarg_segment_size: 144
    .language:       OpenCL C
    .language_version:
      - 2
      - 0
    .max_flat_workgroup_size: 128
    .name:           _ZL13mul_mat_vec_qIL9ggml_type23ELi2ELb0ELb0EEvPKvS2_PKi31ggml_cuda_mm_fusion_args_devicePfj15HIP_vector_typeIjLj3EEjjjS8_jjjS8_jjjj
    .private_segment_fixed_size: 0
    .sgpr_count:     36
    .sgpr_spill_count: 0
    .symbol:         _ZL13mul_mat_vec_qIL9ggml_type23ELi2ELb0ELb0EEvPKvS2_PKi31ggml_cuda_mm_fusion_args_devicePfj15HIP_vector_typeIjLj3EEjjjS8_jjjS8_jjjj.kd
    .uniform_work_group_size: 1
    .uses_dynamic_stack: false
    .vgpr_count:     60
    .vgpr_spill_count: 0
    .wavefront_size: 64
  - .agpr_count:     0
    .args:
      - .address_space:  global
        .offset:         0
        .size:           8
        .value_kind:     global_buffer
      - .address_space:  global
        .offset:         8
        .size:           8
        .value_kind:     global_buffer
      - .address_space:  global
        .offset:         16
        .size:           8
        .value_kind:     global_buffer
      - .offset:         24
        .size:           32
        .value_kind:     by_value
      - .address_space:  global
        .offset:         56
        .size:           8
        .value_kind:     global_buffer
      - .offset:         64
        .size:           4
        .value_kind:     by_value
      - .offset:         68
        .size:           12
        .value_kind:     by_value
      - .offset:         80
        .size:           4
        .value_kind:     by_value
      - .offset:         84
        .size:           4
        .value_kind:     by_value
      - .offset:         88
        .size:           4
        .value_kind:     by_value
      - .offset:         92
        .size:           12
        .value_kind:     by_value
      - .offset:         104
        .size:           4
        .value_kind:     by_value
      - .offset:         108
        .size:           4
        .value_kind:     by_value
      - .offset:         112
        .size:           4
        .value_kind:     by_value
      - .offset:         116
        .size:           12
        .value_kind:     by_value
      - .offset:         128
        .size:           4
        .value_kind:     by_value
      - .offset:         132
        .size:           4
        .value_kind:     by_value
      - .offset:         136
        .size:           4
        .value_kind:     by_value
      - .offset:         140
        .size:           4
        .value_kind:     by_value
    .group_segment_fixed_size: 1536
    .kernarg_segment_align: 8
    .kernarg_segment_size: 144
    .language:       OpenCL C
    .language_version:
      - 2
      - 0
    .max_flat_workgroup_size: 128
    .name:           _ZL13mul_mat_vec_qIL9ggml_type23ELi3ELb0ELb0EEvPKvS2_PKi31ggml_cuda_mm_fusion_args_devicePfj15HIP_vector_typeIjLj3EEjjjS8_jjjS8_jjjj
    .private_segment_fixed_size: 32
    .sgpr_count:     36
    .sgpr_spill_count: 0
    .symbol:         _ZL13mul_mat_vec_qIL9ggml_type23ELi3ELb0ELb0EEvPKvS2_PKi31ggml_cuda_mm_fusion_args_devicePfj15HIP_vector_typeIjLj3EEjjjS8_jjjS8_jjjj.kd
    .uniform_work_group_size: 1
    .uses_dynamic_stack: false
    .vgpr_count:     67
    .vgpr_spill_count: 0
    .wavefront_size: 64
  - .agpr_count:     0
    .args:
      - .address_space:  global
        .offset:         0
        .size:           8
        .value_kind:     global_buffer
      - .address_space:  global
        .offset:         8
        .size:           8
        .value_kind:     global_buffer
      - .address_space:  global
        .offset:         16
        .size:           8
        .value_kind:     global_buffer
      - .offset:         24
        .size:           32
        .value_kind:     by_value
      - .address_space:  global
        .offset:         56
        .size:           8
        .value_kind:     global_buffer
      - .offset:         64
        .size:           4
        .value_kind:     by_value
      - .offset:         68
        .size:           12
        .value_kind:     by_value
      - .offset:         80
        .size:           4
        .value_kind:     by_value
      - .offset:         84
        .size:           4
        .value_kind:     by_value
      - .offset:         88
        .size:           4
        .value_kind:     by_value
      - .offset:         92
        .size:           12
        .value_kind:     by_value
      - .offset:         104
        .size:           4
        .value_kind:     by_value
      - .offset:         108
        .size:           4
        .value_kind:     by_value
      - .offset:         112
        .size:           4
        .value_kind:     by_value
      - .offset:         116
        .size:           12
        .value_kind:     by_value
      - .offset:         128
        .size:           4
        .value_kind:     by_value
      - .offset:         132
        .size:           4
        .value_kind:     by_value
      - .offset:         136
        .size:           4
        .value_kind:     by_value
      - .offset:         140
        .size:           4
        .value_kind:     by_value
    .group_segment_fixed_size: 2048
    .kernarg_segment_align: 8
    .kernarg_segment_size: 144
    .language:       OpenCL C
    .language_version:
      - 2
      - 0
    .max_flat_workgroup_size: 128
    .name:           _ZL13mul_mat_vec_qIL9ggml_type23ELi4ELb0ELb0EEvPKvS2_PKi31ggml_cuda_mm_fusion_args_devicePfj15HIP_vector_typeIjLj3EEjjjS8_jjjS8_jjjj
    .private_segment_fixed_size: 48
    .sgpr_count:     36
    .sgpr_spill_count: 0
    .symbol:         _ZL13mul_mat_vec_qIL9ggml_type23ELi4ELb0ELb0EEvPKvS2_PKi31ggml_cuda_mm_fusion_args_devicePfj15HIP_vector_typeIjLj3EEjjjS8_jjjS8_jjjj.kd
    .uniform_work_group_size: 1
    .uses_dynamic_stack: false
    .vgpr_count:     78
    .vgpr_spill_count: 0
    .wavefront_size: 64
  - .agpr_count:     0
    .args:
      - .address_space:  global
        .offset:         0
        .size:           8
        .value_kind:     global_buffer
      - .address_space:  global
        .offset:         8
        .size:           8
        .value_kind:     global_buffer
      - .address_space:  global
        .offset:         16
        .size:           8
        .value_kind:     global_buffer
      - .offset:         24
        .size:           32
        .value_kind:     by_value
      - .address_space:  global
        .offset:         56
        .size:           8
        .value_kind:     global_buffer
      - .offset:         64
        .size:           4
        .value_kind:     by_value
      - .offset:         68
        .size:           12
        .value_kind:     by_value
      - .offset:         80
        .size:           4
        .value_kind:     by_value
      - .offset:         84
        .size:           4
        .value_kind:     by_value
      - .offset:         88
        .size:           4
        .value_kind:     by_value
      - .offset:         92
        .size:           12
        .value_kind:     by_value
      - .offset:         104
        .size:           4
        .value_kind:     by_value
      - .offset:         108
        .size:           4
        .value_kind:     by_value
      - .offset:         112
        .size:           4
        .value_kind:     by_value
      - .offset:         116
        .size:           12
        .value_kind:     by_value
      - .offset:         128
        .size:           4
        .value_kind:     by_value
      - .offset:         132
        .size:           4
        .value_kind:     by_value
      - .offset:         136
        .size:           4
        .value_kind:     by_value
      - .offset:         140
        .size:           4
        .value_kind:     by_value
    .group_segment_fixed_size: 0
    .kernarg_segment_align: 8
    .kernarg_segment_size: 144
    .language:       OpenCL C
    .language_version:
      - 2
      - 0
    .max_flat_workgroup_size: 64
    .name:           _ZL13mul_mat_vec_qIL9ggml_type23ELi5ELb0ELb0EEvPKvS2_PKi31ggml_cuda_mm_fusion_args_devicePfj15HIP_vector_typeIjLj3EEjjjS8_jjjS8_jjjj
    .private_segment_fixed_size: 48
    .sgpr_count:     36
    .sgpr_spill_count: 0
    .symbol:         _ZL13mul_mat_vec_qIL9ggml_type23ELi5ELb0ELb0EEvPKvS2_PKi31ggml_cuda_mm_fusion_args_devicePfj15HIP_vector_typeIjLj3EEjjjS8_jjjS8_jjjj.kd
    .uniform_work_group_size: 1
    .uses_dynamic_stack: false
    .vgpr_count:     69
    .vgpr_spill_count: 0
    .wavefront_size: 64
  - .agpr_count:     0
    .args:
      - .address_space:  global
        .offset:         0
        .size:           8
        .value_kind:     global_buffer
      - .address_space:  global
        .offset:         8
        .size:           8
        .value_kind:     global_buffer
      - .address_space:  global
        .offset:         16
        .size:           8
        .value_kind:     global_buffer
      - .offset:         24
        .size:           32
        .value_kind:     by_value
      - .address_space:  global
        .offset:         56
        .size:           8
        .value_kind:     global_buffer
      - .offset:         64
        .size:           4
        .value_kind:     by_value
      - .offset:         68
        .size:           12
        .value_kind:     by_value
      - .offset:         80
        .size:           4
        .value_kind:     by_value
      - .offset:         84
        .size:           4
        .value_kind:     by_value
      - .offset:         88
        .size:           4
        .value_kind:     by_value
      - .offset:         92
        .size:           12
        .value_kind:     by_value
      - .offset:         104
        .size:           4
        .value_kind:     by_value
      - .offset:         108
        .size:           4
        .value_kind:     by_value
      - .offset:         112
        .size:           4
        .value_kind:     by_value
      - .offset:         116
        .size:           12
        .value_kind:     by_value
      - .offset:         128
        .size:           4
        .value_kind:     by_value
      - .offset:         132
        .size:           4
        .value_kind:     by_value
      - .offset:         136
        .size:           4
        .value_kind:     by_value
      - .offset:         140
        .size:           4
        .value_kind:     by_value
    .group_segment_fixed_size: 0
    .kernarg_segment_align: 8
    .kernarg_segment_size: 144
    .language:       OpenCL C
    .language_version:
      - 2
      - 0
    .max_flat_workgroup_size: 64
    .name:           _ZL13mul_mat_vec_qIL9ggml_type23ELi6ELb0ELb0EEvPKvS2_PKi31ggml_cuda_mm_fusion_args_devicePfj15HIP_vector_typeIjLj3EEjjjS8_jjjS8_jjjj
    .private_segment_fixed_size: 64
    .sgpr_count:     36
    .sgpr_spill_count: 0
    .symbol:         _ZL13mul_mat_vec_qIL9ggml_type23ELi6ELb0ELb0EEvPKvS2_PKi31ggml_cuda_mm_fusion_args_devicePfj15HIP_vector_typeIjLj3EEjjjS8_jjjS8_jjjj.kd
    .uniform_work_group_size: 1
    .uses_dynamic_stack: false
    .vgpr_count:     72
    .vgpr_spill_count: 0
    .wavefront_size: 64
  - .agpr_count:     0
    .args:
      - .address_space:  global
        .offset:         0
        .size:           8
        .value_kind:     global_buffer
      - .address_space:  global
        .offset:         8
        .size:           8
        .value_kind:     global_buffer
      - .address_space:  global
        .offset:         16
        .size:           8
        .value_kind:     global_buffer
      - .offset:         24
        .size:           32
        .value_kind:     by_value
      - .address_space:  global
        .offset:         56
        .size:           8
        .value_kind:     global_buffer
      - .offset:         64
        .size:           4
        .value_kind:     by_value
      - .offset:         68
        .size:           12
        .value_kind:     by_value
      - .offset:         80
        .size:           4
        .value_kind:     by_value
      - .offset:         84
        .size:           4
        .value_kind:     by_value
      - .offset:         88
        .size:           4
        .value_kind:     by_value
      - .offset:         92
        .size:           12
        .value_kind:     by_value
      - .offset:         104
        .size:           4
        .value_kind:     by_value
      - .offset:         108
        .size:           4
        .value_kind:     by_value
      - .offset:         112
        .size:           4
        .value_kind:     by_value
      - .offset:         116
        .size:           12
        .value_kind:     by_value
      - .offset:         128
        .size:           4
        .value_kind:     by_value
      - .offset:         132
        .size:           4
        .value_kind:     by_value
      - .offset:         136
        .size:           4
        .value_kind:     by_value
      - .offset:         140
        .size:           4
        .value_kind:     by_value
    .group_segment_fixed_size: 0
    .kernarg_segment_align: 8
    .kernarg_segment_size: 144
    .language:       OpenCL C
    .language_version:
      - 2
      - 0
    .max_flat_workgroup_size: 64
    .name:           _ZL13mul_mat_vec_qIL9ggml_type23ELi7ELb0ELb0EEvPKvS2_PKi31ggml_cuda_mm_fusion_args_devicePfj15HIP_vector_typeIjLj3EEjjjS8_jjjS8_jjjj
    .private_segment_fixed_size: 64
    .sgpr_count:     36
    .sgpr_spill_count: 0
    .symbol:         _ZL13mul_mat_vec_qIL9ggml_type23ELi7ELb0ELb0EEvPKvS2_PKi31ggml_cuda_mm_fusion_args_devicePfj15HIP_vector_typeIjLj3EEjjjS8_jjjS8_jjjj.kd
    .uniform_work_group_size: 1
    .uses_dynamic_stack: false
    .vgpr_count:     72
    .vgpr_spill_count: 0
    .wavefront_size: 64
  - .agpr_count:     0
    .args:
      - .address_space:  global
        .offset:         0
        .size:           8
        .value_kind:     global_buffer
      - .address_space:  global
        .offset:         8
        .size:           8
        .value_kind:     global_buffer
      - .address_space:  global
        .offset:         16
        .size:           8
        .value_kind:     global_buffer
      - .offset:         24
        .size:           32
        .value_kind:     by_value
      - .address_space:  global
        .offset:         56
        .size:           8
        .value_kind:     global_buffer
      - .offset:         64
        .size:           4
        .value_kind:     by_value
      - .offset:         68
        .size:           12
        .value_kind:     by_value
      - .offset:         80
        .size:           4
        .value_kind:     by_value
      - .offset:         84
        .size:           4
        .value_kind:     by_value
      - .offset:         88
        .size:           4
        .value_kind:     by_value
      - .offset:         92
        .size:           12
        .value_kind:     by_value
      - .offset:         104
        .size:           4
        .value_kind:     by_value
      - .offset:         108
        .size:           4
        .value_kind:     by_value
      - .offset:         112
        .size:           4
        .value_kind:     by_value
      - .offset:         116
        .size:           12
        .value_kind:     by_value
      - .offset:         128
        .size:           4
        .value_kind:     by_value
      - .offset:         132
        .size:           4
        .value_kind:     by_value
      - .offset:         136
        .size:           4
        .value_kind:     by_value
      - .offset:         140
        .size:           4
        .value_kind:     by_value
    .group_segment_fixed_size: 0
    .kernarg_segment_align: 8
    .kernarg_segment_size: 144
    .language:       OpenCL C
    .language_version:
      - 2
      - 0
    .max_flat_workgroup_size: 64
    .name:           _ZL13mul_mat_vec_qIL9ggml_type23ELi8ELb0ELb0EEvPKvS2_PKi31ggml_cuda_mm_fusion_args_devicePfj15HIP_vector_typeIjLj3EEjjjS8_jjjS8_jjjj
    .private_segment_fixed_size: 80
    .sgpr_count:     38
    .sgpr_spill_count: 0
    .symbol:         _ZL13mul_mat_vec_qIL9ggml_type23ELi8ELb0ELb0EEvPKvS2_PKi31ggml_cuda_mm_fusion_args_devicePfj15HIP_vector_typeIjLj3EEjjjS8_jjjS8_jjjj.kd
    .uniform_work_group_size: 1
    .uses_dynamic_stack: false
    .vgpr_count:     76
    .vgpr_spill_count: 0
    .wavefront_size: 64
  - .agpr_count:     0
    .args:
      - .address_space:  global
        .offset:         0
        .size:           8
        .value_kind:     global_buffer
      - .address_space:  global
        .offset:         8
        .size:           8
        .value_kind:     global_buffer
      - .address_space:  global
        .offset:         16
        .size:           8
        .value_kind:     global_buffer
      - .address_space:  global
        .offset:         24
        .size:           8
        .value_kind:     global_buffer
      - .offset:         32
        .size:           4
        .value_kind:     by_value
      - .offset:         36
        .size:           12
        .value_kind:     by_value
      - .offset:         48
        .size:           4
        .value_kind:     by_value
      - .offset:         52
        .size:           4
        .value_kind:     by_value
      - .offset:         56
        .size:           4
        .value_kind:     by_value
      - .offset:         60
        .size:           4
        .value_kind:     by_value
      - .offset:         64
        .size:           4
        .value_kind:     by_value
      - .offset:         68
        .size:           4
        .value_kind:     by_value
      - .offset:         72
        .size:           4
        .value_kind:     by_value
      - .offset:         76
        .size:           4
        .value_kind:     by_value
      - .offset:         80
        .size:           4
        .value_kind:     by_value
    .group_segment_fixed_size: 0
    .kernarg_segment_align: 8
    .kernarg_segment_size: 84
    .language:       OpenCL C
    .language_version:
      - 2
      - 0
    .max_flat_workgroup_size: 256
    .name:           _ZL17mul_mat_vec_q_moeIL9ggml_type21ELi2EEvPKvS2_PKiPfj15HIP_vector_typeIjLj3EEjjjjjjjjj
    .private_segment_fixed_size: 0
    .sgpr_count:     35
    .sgpr_spill_count: 0
    .symbol:         _ZL17mul_mat_vec_q_moeIL9ggml_type21ELi2EEvPKvS2_PKiPfj15HIP_vector_typeIjLj3EEjjjjjjjjj.kd
    .uniform_work_group_size: 1
    .uses_dynamic_stack: false
    .vgpr_count:     128
    .vgpr_spill_count: 0
    .wavefront_size: 64
  - .agpr_count:     0
    .args:
      - .address_space:  global
        .offset:         0
        .size:           8
        .value_kind:     global_buffer
      - .address_space:  global
        .offset:         8
        .size:           8
        .value_kind:     global_buffer
      - .address_space:  global
        .offset:         16
        .size:           8
        .value_kind:     global_buffer
      - .offset:         24
        .size:           32
        .value_kind:     by_value
      - .address_space:  global
        .offset:         56
        .size:           8
        .value_kind:     global_buffer
      - .offset:         64
        .size:           4
        .value_kind:     by_value
      - .offset:         68
        .size:           12
        .value_kind:     by_value
      - .offset:         80
        .size:           4
        .value_kind:     by_value
      - .offset:         84
        .size:           4
        .value_kind:     by_value
      - .offset:         88
        .size:           4
        .value_kind:     by_value
      - .offset:         92
        .size:           12
        .value_kind:     by_value
      - .offset:         104
        .size:           4
        .value_kind:     by_value
      - .offset:         108
        .size:           4
        .value_kind:     by_value
      - .offset:         112
        .size:           4
        .value_kind:     by_value
      - .offset:         116
        .size:           12
        .value_kind:     by_value
      - .offset:         128
        .size:           4
        .value_kind:     by_value
      - .offset:         132
        .size:           4
        .value_kind:     by_value
      - .offset:         136
        .size:           4
        .value_kind:     by_value
      - .offset:         140
        .size:           4
        .value_kind:     by_value
    .group_segment_fixed_size: 3072
    .kernarg_segment_align: 8
    .kernarg_segment_size: 144
    .language:       OpenCL C
    .language_version:
      - 2
      - 0
    .max_flat_workgroup_size: 128
    .name:           _ZL13mul_mat_vec_qIL9ggml_type21ELi1ELb1ELb1EEvPKvS2_PKi31ggml_cuda_mm_fusion_args_devicePfj15HIP_vector_typeIjLj3EEjjjS8_jjjS8_jjjj
    .private_segment_fixed_size: 0
    .sgpr_count:     52
    .sgpr_spill_count: 0
    .symbol:         _ZL13mul_mat_vec_qIL9ggml_type21ELi1ELb1ELb1EEvPKvS2_PKi31ggml_cuda_mm_fusion_args_devicePfj15HIP_vector_typeIjLj3EEjjjS8_jjjS8_jjjj.kd
    .uniform_work_group_size: 1
    .uses_dynamic_stack: false
    .vgpr_count:     90
    .vgpr_spill_count: 0
    .wavefront_size: 64
  - .agpr_count:     0
    .args:
      - .address_space:  global
        .offset:         0
        .size:           8
        .value_kind:     global_buffer
      - .address_space:  global
        .offset:         8
        .size:           8
        .value_kind:     global_buffer
      - .address_space:  global
        .offset:         16
        .size:           8
        .value_kind:     global_buffer
      - .offset:         24
        .size:           32
        .value_kind:     by_value
      - .address_space:  global
        .offset:         56
        .size:           8
        .value_kind:     global_buffer
      - .offset:         64
        .size:           4
        .value_kind:     by_value
      - .offset:         68
        .size:           12
        .value_kind:     by_value
      - .offset:         80
        .size:           4
        .value_kind:     by_value
      - .offset:         84
        .size:           4
        .value_kind:     by_value
      - .offset:         88
        .size:           4
        .value_kind:     by_value
      - .offset:         92
        .size:           12
        .value_kind:     by_value
      - .offset:         104
        .size:           4
        .value_kind:     by_value
      - .offset:         108
        .size:           4
        .value_kind:     by_value
      - .offset:         112
        .size:           4
        .value_kind:     by_value
      - .offset:         116
        .size:           12
        .value_kind:     by_value
      - .offset:         128
        .size:           4
        .value_kind:     by_value
      - .offset:         132
        .size:           4
        .value_kind:     by_value
      - .offset:         136
        .size:           4
        .value_kind:     by_value
      - .offset:         140
        .size:           4
        .value_kind:     by_value
    .group_segment_fixed_size: 1536
    .kernarg_segment_align: 8
    .kernarg_segment_size: 144
    .language:       OpenCL C
    .language_version:
      - 2
      - 0
    .max_flat_workgroup_size: 128
    .name:           _ZL13mul_mat_vec_qIL9ggml_type21ELi1ELb0ELb1EEvPKvS2_PKi31ggml_cuda_mm_fusion_args_devicePfj15HIP_vector_typeIjLj3EEjjjS8_jjjS8_jjjj
    .private_segment_fixed_size: 0
    .sgpr_count:     30
    .sgpr_spill_count: 0
    .symbol:         _ZL13mul_mat_vec_qIL9ggml_type21ELi1ELb0ELb1EEvPKvS2_PKi31ggml_cuda_mm_fusion_args_devicePfj15HIP_vector_typeIjLj3EEjjjS8_jjjS8_jjjj.kd
    .uniform_work_group_size: 1
    .uses_dynamic_stack: false
    .vgpr_count:     57
    .vgpr_spill_count: 0
    .wavefront_size: 64
  - .agpr_count:     0
    .args:
      - .address_space:  global
        .offset:         0
        .size:           8
        .value_kind:     global_buffer
      - .address_space:  global
        .offset:         8
        .size:           8
        .value_kind:     global_buffer
      - .address_space:  global
        .offset:         16
        .size:           8
        .value_kind:     global_buffer
      - .offset:         24
        .size:           32
        .value_kind:     by_value
      - .address_space:  global
        .offset:         56
        .size:           8
        .value_kind:     global_buffer
      - .offset:         64
        .size:           4
        .value_kind:     by_value
      - .offset:         68
        .size:           12
        .value_kind:     by_value
      - .offset:         80
        .size:           4
        .value_kind:     by_value
      - .offset:         84
        .size:           4
        .value_kind:     by_value
      - .offset:         88
        .size:           4
        .value_kind:     by_value
      - .offset:         92
        .size:           12
        .value_kind:     by_value
      - .offset:         104
        .size:           4
        .value_kind:     by_value
      - .offset:         108
        .size:           4
        .value_kind:     by_value
      - .offset:         112
        .size:           4
        .value_kind:     by_value
      - .offset:         116
        .size:           12
        .value_kind:     by_value
      - .offset:         128
        .size:           4
        .value_kind:     by_value
      - .offset:         132
        .size:           4
        .value_kind:     by_value
      - .offset:         136
        .size:           4
        .value_kind:     by_value
      - .offset:         140
        .size:           4
        .value_kind:     by_value
    .group_segment_fixed_size: 512
    .kernarg_segment_align: 8
    .kernarg_segment_size: 144
    .language:       OpenCL C
    .language_version:
      - 2
      - 0
    .max_flat_workgroup_size: 128
    .name:           _ZL13mul_mat_vec_qIL9ggml_type21ELi1ELb1ELb0EEvPKvS2_PKi31ggml_cuda_mm_fusion_args_devicePfj15HIP_vector_typeIjLj3EEjjjS8_jjjS8_jjjj
    .private_segment_fixed_size: 0
    .sgpr_count:     50
    .sgpr_spill_count: 0
    .symbol:         _ZL13mul_mat_vec_qIL9ggml_type21ELi1ELb1ELb0EEvPKvS2_PKi31ggml_cuda_mm_fusion_args_devicePfj15HIP_vector_typeIjLj3EEjjjS8_jjjS8_jjjj.kd
    .uniform_work_group_size: 1
    .uses_dynamic_stack: false
    .vgpr_count:     65
    .vgpr_spill_count: 0
    .wavefront_size: 64
  - .agpr_count:     0
    .args:
      - .address_space:  global
        .offset:         0
        .size:           8
        .value_kind:     global_buffer
      - .address_space:  global
        .offset:         8
        .size:           8
        .value_kind:     global_buffer
      - .address_space:  global
        .offset:         16
        .size:           8
        .value_kind:     global_buffer
      - .offset:         24
        .size:           32
        .value_kind:     by_value
      - .address_space:  global
        .offset:         56
        .size:           8
        .value_kind:     global_buffer
      - .offset:         64
        .size:           4
        .value_kind:     by_value
      - .offset:         68
        .size:           12
        .value_kind:     by_value
      - .offset:         80
        .size:           4
        .value_kind:     by_value
      - .offset:         84
        .size:           4
        .value_kind:     by_value
      - .offset:         88
        .size:           4
        .value_kind:     by_value
      - .offset:         92
        .size:           12
        .value_kind:     by_value
      - .offset:         104
        .size:           4
        .value_kind:     by_value
      - .offset:         108
        .size:           4
        .value_kind:     by_value
      - .offset:         112
        .size:           4
        .value_kind:     by_value
      - .offset:         116
        .size:           12
        .value_kind:     by_value
      - .offset:         128
        .size:           4
        .value_kind:     by_value
      - .offset:         132
        .size:           4
        .value_kind:     by_value
      - .offset:         136
        .size:           4
        .value_kind:     by_value
      - .offset:         140
        .size:           4
        .value_kind:     by_value
    .group_segment_fixed_size: 256
    .kernarg_segment_align: 8
    .kernarg_segment_size: 144
    .language:       OpenCL C
    .language_version:
      - 2
      - 0
    .max_flat_workgroup_size: 128
    .name:           _ZL13mul_mat_vec_qIL9ggml_type21ELi1ELb0ELb0EEvPKvS2_PKi31ggml_cuda_mm_fusion_args_devicePfj15HIP_vector_typeIjLj3EEjjjS8_jjjS8_jjjj
    .private_segment_fixed_size: 0
    .sgpr_count:     34
    .sgpr_spill_count: 0
    .symbol:         _ZL13mul_mat_vec_qIL9ggml_type21ELi1ELb0ELb0EEvPKvS2_PKi31ggml_cuda_mm_fusion_args_devicePfj15HIP_vector_typeIjLj3EEjjjS8_jjjS8_jjjj.kd
    .uniform_work_group_size: 1
    .uses_dynamic_stack: false
    .vgpr_count:     48
    .vgpr_spill_count: 0
    .wavefront_size: 64
  - .agpr_count:     0
    .args:
      - .address_space:  global
        .offset:         0
        .size:           8
        .value_kind:     global_buffer
      - .address_space:  global
        .offset:         8
        .size:           8
        .value_kind:     global_buffer
      - .address_space:  global
        .offset:         16
        .size:           8
        .value_kind:     global_buffer
      - .offset:         24
        .size:           32
        .value_kind:     by_value
      - .address_space:  global
        .offset:         56
        .size:           8
        .value_kind:     global_buffer
      - .offset:         64
        .size:           4
        .value_kind:     by_value
      - .offset:         68
        .size:           12
        .value_kind:     by_value
      - .offset:         80
        .size:           4
        .value_kind:     by_value
      - .offset:         84
        .size:           4
        .value_kind:     by_value
      - .offset:         88
        .size:           4
        .value_kind:     by_value
      - .offset:         92
        .size:           12
        .value_kind:     by_value
      - .offset:         104
        .size:           4
        .value_kind:     by_value
      - .offset:         108
        .size:           4
        .value_kind:     by_value
      - .offset:         112
        .size:           4
        .value_kind:     by_value
      - .offset:         116
        .size:           12
        .value_kind:     by_value
      - .offset:         128
        .size:           4
        .value_kind:     by_value
      - .offset:         132
        .size:           4
        .value_kind:     by_value
      - .offset:         136
        .size:           4
        .value_kind:     by_value
      - .offset:         140
        .size:           4
        .value_kind:     by_value
    .group_segment_fixed_size: 3072
    .kernarg_segment_align: 8
    .kernarg_segment_size: 144
    .language:       OpenCL C
    .language_version:
      - 2
      - 0
    .max_flat_workgroup_size: 128
    .name:           _ZL13mul_mat_vec_qIL9ggml_type21ELi2ELb0ELb0EEvPKvS2_PKi31ggml_cuda_mm_fusion_args_devicePfj15HIP_vector_typeIjLj3EEjjjS8_jjjS8_jjjj
    .private_segment_fixed_size: 0
    .sgpr_count:     36
    .sgpr_spill_count: 0
    .symbol:         _ZL13mul_mat_vec_qIL9ggml_type21ELi2ELb0ELb0EEvPKvS2_PKi31ggml_cuda_mm_fusion_args_devicePfj15HIP_vector_typeIjLj3EEjjjS8_jjjS8_jjjj.kd
    .uniform_work_group_size: 1
    .uses_dynamic_stack: false
    .vgpr_count:     68
    .vgpr_spill_count: 0
    .wavefront_size: 64
  - .agpr_count:     0
    .args:
      - .address_space:  global
        .offset:         0
        .size:           8
        .value_kind:     global_buffer
      - .address_space:  global
        .offset:         8
        .size:           8
        .value_kind:     global_buffer
      - .address_space:  global
        .offset:         16
        .size:           8
        .value_kind:     global_buffer
      - .offset:         24
        .size:           32
        .value_kind:     by_value
      - .address_space:  global
        .offset:         56
        .size:           8
        .value_kind:     global_buffer
      - .offset:         64
        .size:           4
        .value_kind:     by_value
      - .offset:         68
        .size:           12
        .value_kind:     by_value
      - .offset:         80
        .size:           4
        .value_kind:     by_value
      - .offset:         84
        .size:           4
        .value_kind:     by_value
      - .offset:         88
        .size:           4
        .value_kind:     by_value
      - .offset:         92
        .size:           12
        .value_kind:     by_value
      - .offset:         104
        .size:           4
        .value_kind:     by_value
      - .offset:         108
        .size:           4
        .value_kind:     by_value
      - .offset:         112
        .size:           4
        .value_kind:     by_value
      - .offset:         116
        .size:           12
        .value_kind:     by_value
      - .offset:         128
        .size:           4
        .value_kind:     by_value
      - .offset:         132
        .size:           4
        .value_kind:     by_value
      - .offset:         136
        .size:           4
        .value_kind:     by_value
      - .offset:         140
        .size:           4
        .value_kind:     by_value
    .group_segment_fixed_size: 1536
    .kernarg_segment_align: 8
    .kernarg_segment_size: 144
    .language:       OpenCL C
    .language_version:
      - 2
      - 0
    .max_flat_workgroup_size: 128
    .name:           _ZL13mul_mat_vec_qIL9ggml_type21ELi3ELb0ELb0EEvPKvS2_PKi31ggml_cuda_mm_fusion_args_devicePfj15HIP_vector_typeIjLj3EEjjjS8_jjjS8_jjjj
    .private_segment_fixed_size: 32
    .sgpr_count:     36
    .sgpr_spill_count: 0
    .symbol:         _ZL13mul_mat_vec_qIL9ggml_type21ELi3ELb0ELb0EEvPKvS2_PKi31ggml_cuda_mm_fusion_args_devicePfj15HIP_vector_typeIjLj3EEjjjS8_jjjS8_jjjj.kd
    .uniform_work_group_size: 1
    .uses_dynamic_stack: false
    .vgpr_count:     70
    .vgpr_spill_count: 0
    .wavefront_size: 64
  - .agpr_count:     0
    .args:
      - .address_space:  global
        .offset:         0
        .size:           8
        .value_kind:     global_buffer
      - .address_space:  global
        .offset:         8
        .size:           8
        .value_kind:     global_buffer
      - .address_space:  global
        .offset:         16
        .size:           8
        .value_kind:     global_buffer
      - .offset:         24
        .size:           32
        .value_kind:     by_value
      - .address_space:  global
        .offset:         56
        .size:           8
        .value_kind:     global_buffer
      - .offset:         64
        .size:           4
        .value_kind:     by_value
      - .offset:         68
        .size:           12
        .value_kind:     by_value
      - .offset:         80
        .size:           4
        .value_kind:     by_value
      - .offset:         84
        .size:           4
        .value_kind:     by_value
      - .offset:         88
        .size:           4
        .value_kind:     by_value
      - .offset:         92
        .size:           12
        .value_kind:     by_value
      - .offset:         104
        .size:           4
        .value_kind:     by_value
      - .offset:         108
        .size:           4
        .value_kind:     by_value
      - .offset:         112
        .size:           4
        .value_kind:     by_value
      - .offset:         116
        .size:           12
        .value_kind:     by_value
      - .offset:         128
        .size:           4
        .value_kind:     by_value
      - .offset:         132
        .size:           4
        .value_kind:     by_value
      - .offset:         136
        .size:           4
        .value_kind:     by_value
      - .offset:         140
        .size:           4
        .value_kind:     by_value
    .group_segment_fixed_size: 2048
    .kernarg_segment_align: 8
    .kernarg_segment_size: 144
    .language:       OpenCL C
    .language_version:
      - 2
      - 0
    .max_flat_workgroup_size: 128
    .name:           _ZL13mul_mat_vec_qIL9ggml_type21ELi4ELb0ELb0EEvPKvS2_PKi31ggml_cuda_mm_fusion_args_devicePfj15HIP_vector_typeIjLj3EEjjjS8_jjjS8_jjjj
    .private_segment_fixed_size: 48
    .sgpr_count:     36
    .sgpr_spill_count: 0
    .symbol:         _ZL13mul_mat_vec_qIL9ggml_type21ELi4ELb0ELb0EEvPKvS2_PKi31ggml_cuda_mm_fusion_args_devicePfj15HIP_vector_typeIjLj3EEjjjS8_jjjS8_jjjj.kd
    .uniform_work_group_size: 1
    .uses_dynamic_stack: false
    .vgpr_count:     73
    .vgpr_spill_count: 0
    .wavefront_size: 64
  - .agpr_count:     0
    .args:
      - .address_space:  global
        .offset:         0
        .size:           8
        .value_kind:     global_buffer
      - .address_space:  global
        .offset:         8
        .size:           8
        .value_kind:     global_buffer
      - .address_space:  global
        .offset:         16
        .size:           8
        .value_kind:     global_buffer
      - .offset:         24
        .size:           32
        .value_kind:     by_value
      - .address_space:  global
        .offset:         56
        .size:           8
        .value_kind:     global_buffer
      - .offset:         64
        .size:           4
        .value_kind:     by_value
      - .offset:         68
        .size:           12
        .value_kind:     by_value
      - .offset:         80
        .size:           4
        .value_kind:     by_value
      - .offset:         84
        .size:           4
        .value_kind:     by_value
      - .offset:         88
        .size:           4
        .value_kind:     by_value
      - .offset:         92
        .size:           12
        .value_kind:     by_value
      - .offset:         104
        .size:           4
        .value_kind:     by_value
      - .offset:         108
        .size:           4
        .value_kind:     by_value
      - .offset:         112
        .size:           4
        .value_kind:     by_value
      - .offset:         116
        .size:           12
        .value_kind:     by_value
      - .offset:         128
        .size:           4
        .value_kind:     by_value
      - .offset:         132
        .size:           4
        .value_kind:     by_value
      - .offset:         136
        .size:           4
        .value_kind:     by_value
      - .offset:         140
        .size:           4
        .value_kind:     by_value
    .group_segment_fixed_size: 0
    .kernarg_segment_align: 8
    .kernarg_segment_size: 144
    .language:       OpenCL C
    .language_version:
      - 2
      - 0
    .max_flat_workgroup_size: 64
    .name:           _ZL13mul_mat_vec_qIL9ggml_type21ELi5ELb0ELb0EEvPKvS2_PKi31ggml_cuda_mm_fusion_args_devicePfj15HIP_vector_typeIjLj3EEjjjS8_jjjS8_jjjj
    .private_segment_fixed_size: 48
    .sgpr_count:     36
    .sgpr_spill_count: 0
    .symbol:         _ZL13mul_mat_vec_qIL9ggml_type21ELi5ELb0ELb0EEvPKvS2_PKi31ggml_cuda_mm_fusion_args_devicePfj15HIP_vector_typeIjLj3EEjjjS8_jjjS8_jjjj.kd
    .uniform_work_group_size: 1
    .uses_dynamic_stack: false
    .vgpr_count:     73
    .vgpr_spill_count: 0
    .wavefront_size: 64
  - .agpr_count:     0
    .args:
      - .address_space:  global
        .offset:         0
        .size:           8
        .value_kind:     global_buffer
      - .address_space:  global
        .offset:         8
        .size:           8
        .value_kind:     global_buffer
      - .address_space:  global
        .offset:         16
        .size:           8
        .value_kind:     global_buffer
      - .offset:         24
        .size:           32
        .value_kind:     by_value
      - .address_space:  global
        .offset:         56
        .size:           8
        .value_kind:     global_buffer
      - .offset:         64
        .size:           4
        .value_kind:     by_value
      - .offset:         68
        .size:           12
        .value_kind:     by_value
      - .offset:         80
        .size:           4
        .value_kind:     by_value
      - .offset:         84
        .size:           4
        .value_kind:     by_value
      - .offset:         88
        .size:           4
        .value_kind:     by_value
      - .offset:         92
        .size:           12
        .value_kind:     by_value
      - .offset:         104
        .size:           4
        .value_kind:     by_value
      - .offset:         108
        .size:           4
        .value_kind:     by_value
      - .offset:         112
        .size:           4
        .value_kind:     by_value
      - .offset:         116
        .size:           12
        .value_kind:     by_value
      - .offset:         128
        .size:           4
        .value_kind:     by_value
      - .offset:         132
        .size:           4
        .value_kind:     by_value
      - .offset:         136
        .size:           4
        .value_kind:     by_value
      - .offset:         140
        .size:           4
        .value_kind:     by_value
    .group_segment_fixed_size: 0
    .kernarg_segment_align: 8
    .kernarg_segment_size: 144
    .language:       OpenCL C
    .language_version:
      - 2
      - 0
    .max_flat_workgroup_size: 64
    .name:           _ZL13mul_mat_vec_qIL9ggml_type21ELi6ELb0ELb0EEvPKvS2_PKi31ggml_cuda_mm_fusion_args_devicePfj15HIP_vector_typeIjLj3EEjjjS8_jjjS8_jjjj
    .private_segment_fixed_size: 64
    .sgpr_count:     42
    .sgpr_spill_count: 0
    .symbol:         _ZL13mul_mat_vec_qIL9ggml_type21ELi6ELb0ELb0EEvPKvS2_PKi31ggml_cuda_mm_fusion_args_devicePfj15HIP_vector_typeIjLj3EEjjjS8_jjjS8_jjjj.kd
    .uniform_work_group_size: 1
    .uses_dynamic_stack: false
    .vgpr_count:     107
    .vgpr_spill_count: 0
    .wavefront_size: 64
  - .agpr_count:     0
    .args:
      - .address_space:  global
        .offset:         0
        .size:           8
        .value_kind:     global_buffer
      - .address_space:  global
        .offset:         8
        .size:           8
        .value_kind:     global_buffer
      - .address_space:  global
        .offset:         16
        .size:           8
        .value_kind:     global_buffer
      - .offset:         24
        .size:           32
        .value_kind:     by_value
      - .address_space:  global
        .offset:         56
        .size:           8
        .value_kind:     global_buffer
      - .offset:         64
        .size:           4
        .value_kind:     by_value
      - .offset:         68
        .size:           12
        .value_kind:     by_value
      - .offset:         80
        .size:           4
        .value_kind:     by_value
      - .offset:         84
        .size:           4
        .value_kind:     by_value
      - .offset:         88
        .size:           4
        .value_kind:     by_value
      - .offset:         92
        .size:           12
        .value_kind:     by_value
      - .offset:         104
        .size:           4
        .value_kind:     by_value
      - .offset:         108
        .size:           4
        .value_kind:     by_value
      - .offset:         112
        .size:           4
        .value_kind:     by_value
      - .offset:         116
        .size:           12
        .value_kind:     by_value
      - .offset:         128
        .size:           4
        .value_kind:     by_value
      - .offset:         132
        .size:           4
        .value_kind:     by_value
      - .offset:         136
        .size:           4
        .value_kind:     by_value
      - .offset:         140
        .size:           4
        .value_kind:     by_value
    .group_segment_fixed_size: 0
    .kernarg_segment_align: 8
    .kernarg_segment_size: 144
    .language:       OpenCL C
    .language_version:
      - 2
      - 0
    .max_flat_workgroup_size: 64
    .name:           _ZL13mul_mat_vec_qIL9ggml_type21ELi7ELb0ELb0EEvPKvS2_PKi31ggml_cuda_mm_fusion_args_devicePfj15HIP_vector_typeIjLj3EEjjjS8_jjjS8_jjjj
    .private_segment_fixed_size: 64
    .sgpr_count:     42
    .sgpr_spill_count: 0
    .symbol:         _ZL13mul_mat_vec_qIL9ggml_type21ELi7ELb0ELb0EEvPKvS2_PKi31ggml_cuda_mm_fusion_args_devicePfj15HIP_vector_typeIjLj3EEjjjS8_jjjS8_jjjj.kd
    .uniform_work_group_size: 1
    .uses_dynamic_stack: false
    .vgpr_count:     107
    .vgpr_spill_count: 0
    .wavefront_size: 64
  - .agpr_count:     0
    .args:
      - .address_space:  global
        .offset:         0
        .size:           8
        .value_kind:     global_buffer
      - .address_space:  global
        .offset:         8
        .size:           8
        .value_kind:     global_buffer
      - .address_space:  global
        .offset:         16
        .size:           8
        .value_kind:     global_buffer
      - .offset:         24
        .size:           32
        .value_kind:     by_value
      - .address_space:  global
        .offset:         56
        .size:           8
        .value_kind:     global_buffer
      - .offset:         64
        .size:           4
        .value_kind:     by_value
      - .offset:         68
        .size:           12
        .value_kind:     by_value
      - .offset:         80
        .size:           4
        .value_kind:     by_value
      - .offset:         84
        .size:           4
        .value_kind:     by_value
      - .offset:         88
        .size:           4
        .value_kind:     by_value
      - .offset:         92
        .size:           12
        .value_kind:     by_value
      - .offset:         104
        .size:           4
        .value_kind:     by_value
      - .offset:         108
        .size:           4
        .value_kind:     by_value
      - .offset:         112
        .size:           4
        .value_kind:     by_value
      - .offset:         116
        .size:           12
        .value_kind:     by_value
      - .offset:         128
        .size:           4
        .value_kind:     by_value
      - .offset:         132
        .size:           4
        .value_kind:     by_value
      - .offset:         136
        .size:           4
        .value_kind:     by_value
      - .offset:         140
        .size:           4
        .value_kind:     by_value
    .group_segment_fixed_size: 0
    .kernarg_segment_align: 8
    .kernarg_segment_size: 144
    .language:       OpenCL C
    .language_version:
      - 2
      - 0
    .max_flat_workgroup_size: 64
    .name:           _ZL13mul_mat_vec_qIL9ggml_type21ELi8ELb0ELb0EEvPKvS2_PKi31ggml_cuda_mm_fusion_args_devicePfj15HIP_vector_typeIjLj3EEjjjS8_jjjS8_jjjj
    .private_segment_fixed_size: 80
    .sgpr_count:     42
    .sgpr_spill_count: 0
    .symbol:         _ZL13mul_mat_vec_qIL9ggml_type21ELi8ELb0ELb0EEvPKvS2_PKi31ggml_cuda_mm_fusion_args_devicePfj15HIP_vector_typeIjLj3EEjjjS8_jjjS8_jjjj.kd
    .uniform_work_group_size: 1
    .uses_dynamic_stack: false
    .vgpr_count:     107
    .vgpr_spill_count: 0
    .wavefront_size: 64
amdhsa.target:   amdgcn-amd-amdhsa--gfx942
amdhsa.version:
  - 1
  - 2
...

	.end_amdgpu_metadata
